;; amdgpu-corpus repo=ROCm/rccl kind=compiled arch=gfx942 opt=O3
	.text
	.amdgcn_target "amdgcn-amd-amdhsa--gfx942"
	.amdhsa_code_object_version 6
	.p2align	2                               ; -- Begin function __ockl_fprintf_append_string_n
	.type	__ockl_fprintf_append_string_n,@function
__ockl_fprintf_append_string_n:         ; @__ockl_fprintf_append_string_n
; %bb.0:
	s_waitcnt vmcnt(0) expcnt(0) lgkmcnt(0)
	v_mov_b32_e32 v9, v3
	v_mov_b32_e32 v8, v2
	v_or_b32_e32 v2, 2, v0
	v_cmp_eq_u32_e32 vcc, 0, v6
	s_mov_b32 s18, 0
	s_mov_b64 s[2:3], 0
	v_cndmask_b32_e32 v0, v2, v0, vcc
	v_cmp_ne_u64_e32 vcc, 0, v[8:9]
	v_mbcnt_lo_u32_b32 v2, -1, 0
	s_and_saveexec_b64 s[0:1], vcc
	s_xor_b64 s[4:5], exec, s[0:1]
	s_cbranch_execz .LBB0_86
; %bb.1:
	s_load_dwordx2 s[6:7], s[8:9], 0x50
	v_and_b32_e32 v6, 2, v0
	v_mov_b32_e32 v31, 0
	v_and_b32_e32 v0, -3, v0
	v_mbcnt_hi_u32_b32 v32, -1, v2
	s_movk_i32 s19, 0xff1f
	v_mov_b32_e32 v12, 2
	v_mov_b32_e32 v13, 1
	s_branch .LBB0_3
.LBB0_2:                                ;   in Loop: Header=BB0_3 Depth=1
	s_or_b64 exec, exec, s[12:13]
	v_sub_co_u32_e32 v4, vcc, v4, v34
	v_lshl_add_u64 v[8:9], v[8:9], 0, v[34:35]
	s_nop 0
	v_subb_co_u32_e32 v5, vcc, v5, v35, vcc
	v_cmp_eq_u64_e32 vcc, 0, v[4:5]
	s_or_b64 s[2:3], vcc, s[2:3]
	s_andn2_b64 exec, exec, s[2:3]
	s_cbranch_execz .LBB0_85
.LBB0_3:                                ; =>This Loop Header: Depth=1
                                        ;     Child Loop BB0_6 Depth 2
                                        ;     Child Loop BB0_14 Depth 2
	;; [unrolled: 1-line block ×11, first 2 shown]
	v_cmp_gt_u64_e32 vcc, 56, v[4:5]
                                        ; implicit-def: $vgpr2_vgpr3
                                        ; implicit-def: $sgpr10
	s_nop 1
	v_cndmask_b32_e32 v35, 0, v5, vcc
	v_cndmask_b32_e32 v34, 56, v4, vcc
	v_cmp_gt_u64_e32 vcc, 8, v[4:5]
	s_and_saveexec_b64 s[0:1], vcc
	s_xor_b64 s[0:1], exec, s[0:1]
	s_cbranch_execz .LBB0_9
; %bb.4:                                ;   in Loop: Header=BB0_3 Depth=1
	s_mov_b64 s[12:13], 0
	v_cmp_ne_u64_e32 vcc, 0, v[4:5]
	s_waitcnt vmcnt(0)
	v_mov_b64_e32 v[2:3], 0
	s_and_saveexec_b64 s[10:11], vcc
	s_cbranch_execz .LBB0_8
; %bb.5:                                ;   in Loop: Header=BB0_3 Depth=1
	v_lshlrev_b64 v[10:11], 3, v[34:35]
	v_mov_b64_e32 v[2:3], 0
	v_mov_b64_e32 v[14:15], v[8:9]
	s_mov_b64 s[14:15], 0
.LBB0_6:                                ;   Parent Loop BB0_3 Depth=1
                                        ; =>  This Inner Loop Header: Depth=2
	flat_load_ubyte v7, v[14:15]
	v_mov_b32_e32 v17, s18
	v_lshl_add_u64 v[14:15], v[14:15], 0, 1
	s_waitcnt vmcnt(0) lgkmcnt(0)
	v_and_b32_e32 v16, 0xffff, v7
	v_lshlrev_b64 v[16:17], s14, v[16:17]
	s_add_u32 s14, s14, 8
	s_addc_u32 s15, s15, 0
	v_cmp_eq_u32_e32 vcc, s14, v10
	v_or_b32_e32 v3, v17, v3
	s_or_b64 s[12:13], vcc, s[12:13]
	v_or_b32_e32 v2, v16, v2
	s_andn2_b64 exec, exec, s[12:13]
	s_cbranch_execnz .LBB0_6
; %bb.7:                                ;   in Loop: Header=BB0_3 Depth=1
	s_or_b64 exec, exec, s[12:13]
.LBB0_8:                                ;   in Loop: Header=BB0_3 Depth=1
	s_or_b64 exec, exec, s[10:11]
	s_mov_b32 s10, 0
.LBB0_9:                                ;   in Loop: Header=BB0_3 Depth=1
	s_or_saveexec_b64 s[0:1], s[0:1]
	v_mov_b32_e32 v7, s10
	v_mov_b64_e32 v[10:11], v[8:9]
	s_xor_b64 exec, exec, s[0:1]
	s_cbranch_execz .LBB0_11
; %bb.10:                               ;   in Loop: Header=BB0_3 Depth=1
	s_waitcnt vmcnt(0)
	flat_load_dwordx2 v[2:3], v[8:9]
	v_add_u32_e32 v7, -8, v34
	s_waitcnt vmcnt(0) lgkmcnt(0)
	v_and_b32_e32 v10, 0xff, v3
	v_and_b32_e32 v11, 0xff00, v3
	;; [unrolled: 1-line block ×4, first 2 shown]
	v_or_b32_e32 v10, v10, v11
	v_or3_b32 v2, v2, 0, 0
	v_or3_b32 v3, v10, v14, v3
	v_lshl_add_u64 v[10:11], v[8:9], 0, 8
.LBB0_11:                               ;   in Loop: Header=BB0_3 Depth=1
	s_or_b64 exec, exec, s[0:1]
	v_cmp_gt_u32_e32 vcc, 8, v7
                                        ; implicit-def: $vgpr14_vgpr15
                                        ; implicit-def: $sgpr10
	s_and_saveexec_b64 s[0:1], vcc
	s_xor_b64 s[0:1], exec, s[0:1]
	s_cbranch_execz .LBB0_17
; %bb.12:                               ;   in Loop: Header=BB0_3 Depth=1
	v_cmp_ne_u32_e32 vcc, 0, v7
	v_mov_b64_e32 v[14:15], 0
	s_and_saveexec_b64 s[10:11], vcc
	s_cbranch_execz .LBB0_16
; %bb.13:                               ;   in Loop: Header=BB0_3 Depth=1
	s_mov_b64 s[12:13], 0
	v_mov_b64_e32 v[14:15], 0
	s_mov_b64 s[14:15], 0
	s_mov_b64 s[16:17], 0
.LBB0_14:                               ;   Parent Loop BB0_3 Depth=1
                                        ; =>  This Inner Loop Header: Depth=2
	v_lshl_add_u64 v[16:17], v[10:11], 0, s[16:17]
	flat_load_ubyte v16, v[16:17]
	s_add_u32 s16, s16, 1
	v_mov_b32_e32 v17, s18
	s_addc_u32 s17, s17, 0
	v_cmp_eq_u32_e32 vcc, s16, v7
	s_waitcnt vmcnt(0) lgkmcnt(0)
	v_and_b32_e32 v16, 0xffff, v16
	v_lshlrev_b64 v[16:17], s14, v[16:17]
	s_add_u32 s14, s14, 8
	s_addc_u32 s15, s15, 0
	v_or_b32_e32 v15, v17, v15
	s_or_b64 s[12:13], vcc, s[12:13]
	v_or_b32_e32 v14, v16, v14
	s_andn2_b64 exec, exec, s[12:13]
	s_cbranch_execnz .LBB0_14
; %bb.15:                               ;   in Loop: Header=BB0_3 Depth=1
	s_or_b64 exec, exec, s[12:13]
.LBB0_16:                               ;   in Loop: Header=BB0_3 Depth=1
	s_or_b64 exec, exec, s[10:11]
	s_mov_b32 s10, 0
                                        ; implicit-def: $vgpr7
.LBB0_17:                               ;   in Loop: Header=BB0_3 Depth=1
	s_or_saveexec_b64 s[0:1], s[0:1]
	v_mov_b32_e32 v18, s10
	s_xor_b64 exec, exec, s[0:1]
	s_cbranch_execz .LBB0_19
; %bb.18:                               ;   in Loop: Header=BB0_3 Depth=1
	flat_load_dwordx2 v[14:15], v[10:11]
	v_add_u32_e32 v18, -8, v7
	v_lshl_add_u64 v[10:11], v[10:11], 0, 8
	s_waitcnt vmcnt(0) lgkmcnt(0)
	v_and_b32_e32 v7, 0xff, v15
	v_and_b32_e32 v16, 0xff00, v15
	;; [unrolled: 1-line block ×4, first 2 shown]
	v_or_b32_e32 v7, v7, v16
	v_or3_b32 v14, v14, 0, 0
	v_or3_b32 v15, v7, v17, v15
.LBB0_19:                               ;   in Loop: Header=BB0_3 Depth=1
	s_or_b64 exec, exec, s[0:1]
	v_cmp_gt_u32_e32 vcc, 8, v18
                                        ; implicit-def: $sgpr10
	s_and_saveexec_b64 s[0:1], vcc
	s_xor_b64 s[0:1], exec, s[0:1]
	s_cbranch_execz .LBB0_25
; %bb.20:                               ;   in Loop: Header=BB0_3 Depth=1
	v_cmp_ne_u32_e32 vcc, 0, v18
	v_mov_b64_e32 v[16:17], 0
	s_and_saveexec_b64 s[10:11], vcc
	s_cbranch_execz .LBB0_24
; %bb.21:                               ;   in Loop: Header=BB0_3 Depth=1
	s_mov_b64 s[12:13], 0
	v_mov_b64_e32 v[16:17], 0
	s_mov_b64 s[14:15], 0
	s_mov_b64 s[16:17], 0
.LBB0_22:                               ;   Parent Loop BB0_3 Depth=1
                                        ; =>  This Inner Loop Header: Depth=2
	v_lshl_add_u64 v[20:21], v[10:11], 0, s[16:17]
	flat_load_ubyte v7, v[20:21]
	s_add_u32 s16, s16, 1
	v_mov_b32_e32 v21, s18
	s_addc_u32 s17, s17, 0
	v_cmp_eq_u32_e32 vcc, s16, v18
	s_waitcnt vmcnt(0) lgkmcnt(0)
	v_and_b32_e32 v20, 0xffff, v7
	v_lshlrev_b64 v[20:21], s14, v[20:21]
	s_add_u32 s14, s14, 8
	s_addc_u32 s15, s15, 0
	v_or_b32_e32 v17, v21, v17
	s_or_b64 s[12:13], vcc, s[12:13]
	v_or_b32_e32 v16, v20, v16
	s_andn2_b64 exec, exec, s[12:13]
	s_cbranch_execnz .LBB0_22
; %bb.23:                               ;   in Loop: Header=BB0_3 Depth=1
	s_or_b64 exec, exec, s[12:13]
.LBB0_24:                               ;   in Loop: Header=BB0_3 Depth=1
	s_or_b64 exec, exec, s[10:11]
	s_mov_b32 s10, 0
                                        ; implicit-def: $vgpr18
.LBB0_25:                               ;   in Loop: Header=BB0_3 Depth=1
	s_or_saveexec_b64 s[0:1], s[0:1]
	v_mov_b32_e32 v7, s10
	s_xor_b64 exec, exec, s[0:1]
	s_cbranch_execz .LBB0_27
; %bb.26:                               ;   in Loop: Header=BB0_3 Depth=1
	flat_load_dwordx2 v[16:17], v[10:11]
	v_add_u32_e32 v7, -8, v18
	v_lshl_add_u64 v[10:11], v[10:11], 0, 8
	s_waitcnt vmcnt(0) lgkmcnt(0)
	v_and_b32_e32 v18, 0xff, v17
	v_and_b32_e32 v19, 0xff00, v17
	;; [unrolled: 1-line block ×4, first 2 shown]
	v_or_b32_e32 v18, v18, v19
	v_or3_b32 v16, v16, 0, 0
	v_or3_b32 v17, v18, v20, v17
.LBB0_27:                               ;   in Loop: Header=BB0_3 Depth=1
	s_or_b64 exec, exec, s[0:1]
	v_cmp_gt_u32_e32 vcc, 8, v7
                                        ; implicit-def: $vgpr18_vgpr19
                                        ; implicit-def: $sgpr10
	s_and_saveexec_b64 s[0:1], vcc
	s_xor_b64 s[0:1], exec, s[0:1]
	s_cbranch_execz .LBB0_33
; %bb.28:                               ;   in Loop: Header=BB0_3 Depth=1
	v_cmp_ne_u32_e32 vcc, 0, v7
	v_mov_b64_e32 v[18:19], 0
	s_and_saveexec_b64 s[10:11], vcc
	s_cbranch_execz .LBB0_32
; %bb.29:                               ;   in Loop: Header=BB0_3 Depth=1
	s_mov_b64 s[12:13], 0
	v_mov_b64_e32 v[18:19], 0
	s_mov_b64 s[14:15], 0
	s_mov_b64 s[16:17], 0
.LBB0_30:                               ;   Parent Loop BB0_3 Depth=1
                                        ; =>  This Inner Loop Header: Depth=2
	v_lshl_add_u64 v[20:21], v[10:11], 0, s[16:17]
	flat_load_ubyte v20, v[20:21]
	s_add_u32 s16, s16, 1
	v_mov_b32_e32 v21, s18
	s_addc_u32 s17, s17, 0
	v_cmp_eq_u32_e32 vcc, s16, v7
	s_waitcnt vmcnt(0) lgkmcnt(0)
	v_and_b32_e32 v20, 0xffff, v20
	v_lshlrev_b64 v[20:21], s14, v[20:21]
	s_add_u32 s14, s14, 8
	s_addc_u32 s15, s15, 0
	v_or_b32_e32 v19, v21, v19
	s_or_b64 s[12:13], vcc, s[12:13]
	v_or_b32_e32 v18, v20, v18
	s_andn2_b64 exec, exec, s[12:13]
	s_cbranch_execnz .LBB0_30
; %bb.31:                               ;   in Loop: Header=BB0_3 Depth=1
	s_or_b64 exec, exec, s[12:13]
.LBB0_32:                               ;   in Loop: Header=BB0_3 Depth=1
	s_or_b64 exec, exec, s[10:11]
	s_mov_b32 s10, 0
                                        ; implicit-def: $vgpr7
.LBB0_33:                               ;   in Loop: Header=BB0_3 Depth=1
	s_or_saveexec_b64 s[0:1], s[0:1]
	v_mov_b32_e32 v22, s10
	s_xor_b64 exec, exec, s[0:1]
	s_cbranch_execz .LBB0_35
; %bb.34:                               ;   in Loop: Header=BB0_3 Depth=1
	flat_load_dwordx2 v[18:19], v[10:11]
	v_add_u32_e32 v22, -8, v7
	v_lshl_add_u64 v[10:11], v[10:11], 0, 8
	s_waitcnt vmcnt(0) lgkmcnt(0)
	v_and_b32_e32 v7, 0xff, v19
	v_and_b32_e32 v20, 0xff00, v19
	;; [unrolled: 1-line block ×4, first 2 shown]
	v_or_b32_e32 v7, v7, v20
	v_or3_b32 v18, v18, 0, 0
	v_or3_b32 v19, v7, v21, v19
.LBB0_35:                               ;   in Loop: Header=BB0_3 Depth=1
	s_or_b64 exec, exec, s[0:1]
	v_cmp_gt_u32_e32 vcc, 8, v22
                                        ; implicit-def: $sgpr10
	s_and_saveexec_b64 s[0:1], vcc
	s_xor_b64 s[0:1], exec, s[0:1]
	s_cbranch_execz .LBB0_41
; %bb.36:                               ;   in Loop: Header=BB0_3 Depth=1
	v_cmp_ne_u32_e32 vcc, 0, v22
	v_mov_b64_e32 v[20:21], 0
	s_and_saveexec_b64 s[10:11], vcc
	s_cbranch_execz .LBB0_40
; %bb.37:                               ;   in Loop: Header=BB0_3 Depth=1
	s_mov_b64 s[12:13], 0
	v_mov_b64_e32 v[20:21], 0
	s_mov_b64 s[14:15], 0
	s_mov_b64 s[16:17], 0
.LBB0_38:                               ;   Parent Loop BB0_3 Depth=1
                                        ; =>  This Inner Loop Header: Depth=2
	v_lshl_add_u64 v[24:25], v[10:11], 0, s[16:17]
	flat_load_ubyte v7, v[24:25]
	s_add_u32 s16, s16, 1
	v_mov_b32_e32 v25, s18
	s_addc_u32 s17, s17, 0
	v_cmp_eq_u32_e32 vcc, s16, v22
	s_waitcnt vmcnt(0) lgkmcnt(0)
	v_and_b32_e32 v24, 0xffff, v7
	v_lshlrev_b64 v[24:25], s14, v[24:25]
	s_add_u32 s14, s14, 8
	s_addc_u32 s15, s15, 0
	v_or_b32_e32 v21, v25, v21
	s_or_b64 s[12:13], vcc, s[12:13]
	v_or_b32_e32 v20, v24, v20
	s_andn2_b64 exec, exec, s[12:13]
	s_cbranch_execnz .LBB0_38
; %bb.39:                               ;   in Loop: Header=BB0_3 Depth=1
	s_or_b64 exec, exec, s[12:13]
.LBB0_40:                               ;   in Loop: Header=BB0_3 Depth=1
	s_or_b64 exec, exec, s[10:11]
	s_mov_b32 s10, 0
                                        ; implicit-def: $vgpr22
.LBB0_41:                               ;   in Loop: Header=BB0_3 Depth=1
	s_or_saveexec_b64 s[0:1], s[0:1]
	v_mov_b32_e32 v7, s10
	s_xor_b64 exec, exec, s[0:1]
	s_cbranch_execz .LBB0_43
; %bb.42:                               ;   in Loop: Header=BB0_3 Depth=1
	flat_load_dwordx2 v[20:21], v[10:11]
	v_add_u32_e32 v7, -8, v22
	v_lshl_add_u64 v[10:11], v[10:11], 0, 8
	s_waitcnt vmcnt(0) lgkmcnt(0)
	v_and_b32_e32 v22, 0xff, v21
	v_and_b32_e32 v23, 0xff00, v21
	;; [unrolled: 1-line block ×4, first 2 shown]
	v_or_b32_e32 v22, v22, v23
	v_or3_b32 v20, v20, 0, 0
	v_or3_b32 v21, v22, v24, v21
.LBB0_43:                               ;   in Loop: Header=BB0_3 Depth=1
	s_or_b64 exec, exec, s[0:1]
	v_cmp_gt_u32_e32 vcc, 8, v7
                                        ; implicit-def: $vgpr22_vgpr23
                                        ; implicit-def: $sgpr10
	s_and_saveexec_b64 s[0:1], vcc
	s_xor_b64 s[0:1], exec, s[0:1]
	s_cbranch_execz .LBB0_49
; %bb.44:                               ;   in Loop: Header=BB0_3 Depth=1
	v_cmp_ne_u32_e32 vcc, 0, v7
	v_mov_b64_e32 v[22:23], 0
	s_and_saveexec_b64 s[10:11], vcc
	s_cbranch_execz .LBB0_48
; %bb.45:                               ;   in Loop: Header=BB0_3 Depth=1
	s_mov_b64 s[12:13], 0
	v_mov_b64_e32 v[22:23], 0
	s_mov_b64 s[14:15], 0
	s_mov_b64 s[16:17], 0
.LBB0_46:                               ;   Parent Loop BB0_3 Depth=1
                                        ; =>  This Inner Loop Header: Depth=2
	v_lshl_add_u64 v[24:25], v[10:11], 0, s[16:17]
	flat_load_ubyte v24, v[24:25]
	s_add_u32 s16, s16, 1
	v_mov_b32_e32 v25, s18
	s_addc_u32 s17, s17, 0
	v_cmp_eq_u32_e32 vcc, s16, v7
	s_waitcnt vmcnt(0) lgkmcnt(0)
	v_and_b32_e32 v24, 0xffff, v24
	v_lshlrev_b64 v[24:25], s14, v[24:25]
	s_add_u32 s14, s14, 8
	s_addc_u32 s15, s15, 0
	v_or_b32_e32 v23, v25, v23
	s_or_b64 s[12:13], vcc, s[12:13]
	v_or_b32_e32 v22, v24, v22
	s_andn2_b64 exec, exec, s[12:13]
	s_cbranch_execnz .LBB0_46
; %bb.47:                               ;   in Loop: Header=BB0_3 Depth=1
	s_or_b64 exec, exec, s[12:13]
.LBB0_48:                               ;   in Loop: Header=BB0_3 Depth=1
	s_or_b64 exec, exec, s[10:11]
	s_mov_b32 s10, 0
                                        ; implicit-def: $vgpr7
.LBB0_49:                               ;   in Loop: Header=BB0_3 Depth=1
	s_or_saveexec_b64 s[0:1], s[0:1]
	v_mov_b32_e32 v26, s10
	s_xor_b64 exec, exec, s[0:1]
	s_cbranch_execz .LBB0_51
; %bb.50:                               ;   in Loop: Header=BB0_3 Depth=1
	flat_load_dwordx2 v[22:23], v[10:11]
	v_add_u32_e32 v26, -8, v7
	v_lshl_add_u64 v[10:11], v[10:11], 0, 8
	s_waitcnt vmcnt(0) lgkmcnt(0)
	v_and_b32_e32 v7, 0xff, v23
	v_and_b32_e32 v24, 0xff00, v23
	;; [unrolled: 1-line block ×4, first 2 shown]
	v_or_b32_e32 v7, v7, v24
	v_or3_b32 v22, v22, 0, 0
	v_or3_b32 v23, v7, v25, v23
.LBB0_51:                               ;   in Loop: Header=BB0_3 Depth=1
	s_or_b64 exec, exec, s[0:1]
	v_cmp_gt_u32_e32 vcc, 8, v26
	s_and_saveexec_b64 s[0:1], vcc
	s_xor_b64 s[0:1], exec, s[0:1]
	s_cbranch_execz .LBB0_57
; %bb.52:                               ;   in Loop: Header=BB0_3 Depth=1
	v_cmp_ne_u32_e32 vcc, 0, v26
	v_mov_b64_e32 v[24:25], 0
	s_and_saveexec_b64 s[10:11], vcc
	s_cbranch_execz .LBB0_56
; %bb.53:                               ;   in Loop: Header=BB0_3 Depth=1
	s_mov_b64 s[12:13], 0
	v_mov_b64_e32 v[24:25], 0
	s_mov_b64 s[14:15], 0
.LBB0_54:                               ;   Parent Loop BB0_3 Depth=1
                                        ; =>  This Inner Loop Header: Depth=2
	flat_load_ubyte v7, v[10:11]
	v_mov_b32_e32 v29, s18
	v_add_u32_e32 v26, -1, v26
	v_cmp_eq_u32_e32 vcc, 0, v26
	v_lshl_add_u64 v[10:11], v[10:11], 0, 1
	s_waitcnt vmcnt(0) lgkmcnt(0)
	v_and_b32_e32 v28, 0xffff, v7
	v_lshlrev_b64 v[28:29], s14, v[28:29]
	s_add_u32 s14, s14, 8
	s_addc_u32 s15, s15, 0
	v_or_b32_e32 v25, v29, v25
	s_or_b64 s[12:13], vcc, s[12:13]
	v_or_b32_e32 v24, v28, v24
	s_andn2_b64 exec, exec, s[12:13]
	s_cbranch_execnz .LBB0_54
; %bb.55:                               ;   in Loop: Header=BB0_3 Depth=1
	s_or_b64 exec, exec, s[12:13]
.LBB0_56:                               ;   in Loop: Header=BB0_3 Depth=1
	s_or_b64 exec, exec, s[10:11]
                                        ; implicit-def: $vgpr10_vgpr11
.LBB0_57:                               ;   in Loop: Header=BB0_3 Depth=1
	s_andn2_saveexec_b64 s[0:1], s[0:1]
	s_cbranch_execz .LBB0_59
; %bb.58:                               ;   in Loop: Header=BB0_3 Depth=1
	flat_load_dwordx2 v[10:11], v[10:11]
	s_waitcnt vmcnt(0) lgkmcnt(0)
	v_and_b32_e32 v7, 0xff, v11
	v_and_b32_e32 v24, 0xff00, v11
	v_and_b32_e32 v25, 0xff0000, v11
	v_and_b32_e32 v11, 0xff000000, v11
	v_or_b32_e32 v7, v7, v24
	v_or3_b32 v25, v7, v25, v11
	v_or3_b32 v24, v10, 0, 0
.LBB0_59:                               ;   in Loop: Header=BB0_3 Depth=1
	s_or_b64 exec, exec, s[0:1]
	v_readfirstlane_b32 s0, v32
	v_mov_b64_e32 v[10:11], 0
	s_nop 0
	v_cmp_eq_u32_e64 s[0:1], s0, v32
	s_and_saveexec_b64 s[10:11], s[0:1]
	s_cbranch_execz .LBB0_65
; %bb.60:                               ;   in Loop: Header=BB0_3 Depth=1
	s_waitcnt lgkmcnt(0)
	global_load_dwordx2 v[28:29], v31, s[6:7] offset:24 sc0 sc1
	s_waitcnt vmcnt(0)
	buffer_inv sc0 sc1
	global_load_dwordx2 v[10:11], v31, s[6:7] offset:40
	global_load_dwordx2 v[26:27], v31, s[6:7]
	s_waitcnt vmcnt(1)
	v_and_b32_e32 v7, v10, v28
	v_and_b32_e32 v10, v11, v29
	v_mul_lo_u32 v10, v10, 24
	v_mul_hi_u32 v11, v7, 24
	v_add_u32_e32 v11, v11, v10
	v_mul_lo_u32 v10, v7, 24
	s_waitcnt vmcnt(0)
	v_lshl_add_u64 v[10:11], v[26:27], 0, v[10:11]
	global_load_dwordx2 v[26:27], v[10:11], off sc0 sc1
	s_waitcnt vmcnt(0)
	global_atomic_cmpswap_x2 v[10:11], v31, v[26:29], s[6:7] offset:24 sc0 sc1
	s_waitcnt vmcnt(0)
	buffer_inv sc0 sc1
	v_cmp_ne_u64_e32 vcc, v[10:11], v[28:29]
	s_and_saveexec_b64 s[12:13], vcc
	s_cbranch_execz .LBB0_64
; %bb.61:                               ;   in Loop: Header=BB0_3 Depth=1
	s_mov_b64 s[14:15], 0
.LBB0_62:                               ;   Parent Loop BB0_3 Depth=1
                                        ; =>  This Inner Loop Header: Depth=2
	s_sleep 1
	global_load_dwordx2 v[26:27], v31, s[6:7] offset:40
	global_load_dwordx2 v[36:37], v31, s[6:7]
	v_mov_b64_e32 v[28:29], v[10:11]
	s_waitcnt vmcnt(1)
	v_and_b32_e32 v10, v26, v28
	s_waitcnt vmcnt(0)
	v_mad_u64_u32 v[10:11], s[16:17], v10, 24, v[36:37]
	v_and_b32_e32 v7, v27, v29
	v_mov_b32_e32 v26, v11
	v_mad_u64_u32 v[26:27], s[16:17], v7, 24, v[26:27]
	v_mov_b32_e32 v11, v26
	global_load_dwordx2 v[26:27], v[10:11], off sc0 sc1
	s_waitcnt vmcnt(0)
	global_atomic_cmpswap_x2 v[10:11], v31, v[26:29], s[6:7] offset:24 sc0 sc1
	s_waitcnt vmcnt(0)
	buffer_inv sc0 sc1
	v_cmp_eq_u64_e32 vcc, v[10:11], v[28:29]
	s_or_b64 s[14:15], vcc, s[14:15]
	s_andn2_b64 exec, exec, s[14:15]
	s_cbranch_execnz .LBB0_62
; %bb.63:                               ;   in Loop: Header=BB0_3 Depth=1
	s_or_b64 exec, exec, s[14:15]
.LBB0_64:                               ;   in Loop: Header=BB0_3 Depth=1
	s_or_b64 exec, exec, s[12:13]
.LBB0_65:                               ;   in Loop: Header=BB0_3 Depth=1
	s_or_b64 exec, exec, s[10:11]
	s_waitcnt lgkmcnt(0)
	global_load_dwordx2 v[36:37], v31, s[6:7] offset:40
	global_load_dwordx4 v[26:29], v31, s[6:7]
	v_readfirstlane_b32 s10, v10
	v_readfirstlane_b32 s11, v11
	s_mov_b64 s[12:13], exec
	s_waitcnt vmcnt(1)
	v_readfirstlane_b32 s14, v36
	v_readfirstlane_b32 s15, v37
	s_and_b64 s[14:15], s[10:11], s[14:15]
	s_mul_i32 s16, s15, 24
	s_mul_hi_u32 s17, s14, 24
	s_add_i32 s17, s17, s16
	s_mul_i32 s16, s14, 24
	s_waitcnt vmcnt(0)
	v_lshl_add_u64 v[36:37], v[26:27], 0, s[16:17]
	s_and_saveexec_b64 s[16:17], s[0:1]
	s_cbranch_execz .LBB0_67
; %bb.66:                               ;   in Loop: Header=BB0_3 Depth=1
	v_mov_b64_e32 v[10:11], s[12:13]
	global_store_dwordx4 v[36:37], v[10:13], off offset:8
.LBB0_67:                               ;   in Loop: Header=BB0_3 Depth=1
	s_or_b64 exec, exec, s[16:17]
	s_lshl_b64 s[12:13], s[14:15], 12
	v_or_b32_e32 v7, 0, v1
	v_cmp_lt_u64_e32 vcc, 56, v[4:5]
	v_lshl_add_u64 v[10:11], v[28:29], 0, s[12:13]
	v_or_b32_e32 v28, v0, v6
	v_cndmask_b32_e32 v1, v7, v1, vcc
	v_lshl_add_u32 v7, v34, 2, 28
	v_cndmask_b32_e32 v0, v28, v0, vcc
	v_and_b32_e32 v7, 0x1e0, v7
	v_and_or_b32 v0, v0, s19, v7
	v_lshlrev_b32_e32 v30, 6, v32
	v_readfirstlane_b32 s12, v10
	v_readfirstlane_b32 s13, v11
	s_nop 4
	global_store_dwordx4 v30, v[0:3], s[12:13]
	global_store_dwordx4 v30, v[14:17], s[12:13] offset:16
	global_store_dwordx4 v30, v[18:21], s[12:13] offset:32
	;; [unrolled: 1-line block ×3, first 2 shown]
	s_and_saveexec_b64 s[12:13], s[0:1]
	s_cbranch_execz .LBB0_75
; %bb.68:                               ;   in Loop: Header=BB0_3 Depth=1
	global_load_dwordx2 v[18:19], v31, s[6:7] offset:32 sc0 sc1
	global_load_dwordx2 v[0:1], v31, s[6:7] offset:40
	v_mov_b32_e32 v16, s10
	v_mov_b32_e32 v17, s11
	s_waitcnt vmcnt(0)
	v_readfirstlane_b32 s14, v0
	v_readfirstlane_b32 s15, v1
	s_and_b64 s[14:15], s[14:15], s[10:11]
	s_mul_i32 s15, s15, 24
	s_mul_hi_u32 s16, s14, 24
	s_mul_i32 s14, s14, 24
	s_add_i32 s15, s16, s15
	v_lshl_add_u64 v[14:15], v[26:27], 0, s[14:15]
	global_store_dwordx2 v[14:15], v[18:19], off
	buffer_wbl2 sc0 sc1
	s_waitcnt vmcnt(0)
	global_atomic_cmpswap_x2 v[2:3], v31, v[16:19], s[6:7] offset:32 sc0 sc1
	s_waitcnt vmcnt(0)
	v_cmp_ne_u64_e32 vcc, v[2:3], v[18:19]
	s_and_saveexec_b64 s[14:15], vcc
	s_cbranch_execz .LBB0_71
; %bb.69:                               ;   in Loop: Header=BB0_3 Depth=1
	s_mov_b64 s[16:17], 0
.LBB0_70:                               ;   Parent Loop BB0_3 Depth=1
                                        ; =>  This Inner Loop Header: Depth=2
	s_sleep 1
	global_store_dwordx2 v[14:15], v[2:3], off
	v_mov_b32_e32 v0, s10
	v_mov_b32_e32 v1, s11
	buffer_wbl2 sc0 sc1
	s_waitcnt vmcnt(0)
	global_atomic_cmpswap_x2 v[0:1], v31, v[0:3], s[6:7] offset:32 sc0 sc1
	s_waitcnt vmcnt(0)
	v_cmp_eq_u64_e32 vcc, v[0:1], v[2:3]
	s_or_b64 s[16:17], vcc, s[16:17]
	v_mov_b64_e32 v[2:3], v[0:1]
	s_andn2_b64 exec, exec, s[16:17]
	s_cbranch_execnz .LBB0_70
.LBB0_71:                               ;   in Loop: Header=BB0_3 Depth=1
	s_or_b64 exec, exec, s[14:15]
	global_load_dwordx2 v[0:1], v31, s[6:7] offset:16
	s_mov_b64 s[16:17], exec
	v_mbcnt_lo_u32_b32 v2, s16, 0
	v_mbcnt_hi_u32_b32 v2, s17, v2
	v_cmp_eq_u32_e32 vcc, 0, v2
	s_and_saveexec_b64 s[14:15], vcc
	s_cbranch_execz .LBB0_73
; %bb.72:                               ;   in Loop: Header=BB0_3 Depth=1
	s_bcnt1_i32_b64 s16, s[16:17]
	v_mov_b32_e32 v2, s16
	v_mov_b32_e32 v3, v31
	buffer_wbl2 sc0 sc1
	s_waitcnt vmcnt(0)
	global_atomic_add_x2 v[0:1], v[2:3], off offset:8 sc1
.LBB0_73:                               ;   in Loop: Header=BB0_3 Depth=1
	s_or_b64 exec, exec, s[14:15]
	s_waitcnt vmcnt(0)
	global_load_dwordx2 v[2:3], v[0:1], off offset:16
	s_waitcnt vmcnt(0)
	v_cmp_eq_u64_e32 vcc, 0, v[2:3]
	s_cbranch_vccnz .LBB0_75
; %bb.74:                               ;   in Loop: Header=BB0_3 Depth=1
	global_load_dword v0, v[0:1], off offset:24
	v_mov_b32_e32 v1, v31
	buffer_wbl2 sc0 sc1
	s_waitcnt vmcnt(0)
	global_store_dwordx2 v[2:3], v[0:1], off sc0 sc1
	v_and_b32_e32 v0, 0xffffff, v0
	s_nop 0
	v_readfirstlane_b32 m0, v0
	s_sendmsg sendmsg(MSG_INTERRUPT)
.LBB0_75:                               ;   in Loop: Header=BB0_3 Depth=1
	s_or_b64 exec, exec, s[12:13]
	v_lshl_add_u64 v[0:1], v[10:11], 0, v[30:31]
	s_branch .LBB0_79
.LBB0_76:                               ;   in Loop: Header=BB0_79 Depth=2
	s_or_b64 exec, exec, s[12:13]
	v_readfirstlane_b32 s12, v2
	s_cmp_eq_u32 s12, 0
	s_cbranch_scc1 .LBB0_78
; %bb.77:                               ;   in Loop: Header=BB0_79 Depth=2
	s_sleep 1
	s_cbranch_execnz .LBB0_79
	s_branch .LBB0_81
.LBB0_78:                               ;   in Loop: Header=BB0_3 Depth=1
	s_branch .LBB0_81
.LBB0_79:                               ;   Parent Loop BB0_3 Depth=1
                                        ; =>  This Inner Loop Header: Depth=2
	v_mov_b32_e32 v2, 1
	s_and_saveexec_b64 s[12:13], s[0:1]
	s_cbranch_execz .LBB0_76
; %bb.80:                               ;   in Loop: Header=BB0_79 Depth=2
	global_load_dword v2, v[36:37], off offset:20 sc0 sc1
	s_waitcnt vmcnt(0)
	buffer_inv sc0 sc1
	v_and_b32_e32 v2, 1, v2
	s_branch .LBB0_76
.LBB0_81:                               ;   in Loop: Header=BB0_3 Depth=1
	global_load_dwordx4 v[0:3], v[0:1], off
	s_and_saveexec_b64 s[12:13], s[0:1]
	s_cbranch_execz .LBB0_2
; %bb.82:                               ;   in Loop: Header=BB0_3 Depth=1
	global_load_dwordx2 v[2:3], v31, s[6:7] offset:40
	global_load_dwordx2 v[10:11], v31, s[6:7] offset:24 sc0 sc1
	global_load_dwordx2 v[18:19], v31, s[6:7]
	s_waitcnt vmcnt(2)
	v_lshl_add_u64 v[14:15], v[2:3], 0, 1
	v_lshl_add_u64 v[20:21], v[14:15], 0, s[10:11]
	v_cmp_eq_u64_e32 vcc, 0, v[20:21]
	s_waitcnt vmcnt(1)
	v_mov_b32_e32 v16, v10
	v_mov_b32_e32 v17, v11
	v_cndmask_b32_e32 v15, v21, v15, vcc
	v_cndmask_b32_e32 v14, v20, v14, vcc
	v_and_b32_e32 v3, v15, v3
	v_and_b32_e32 v2, v14, v2
	v_mul_lo_u32 v3, v3, 24
	v_mul_hi_u32 v7, v2, 24
	v_mul_lo_u32 v2, v2, 24
	v_add_u32_e32 v3, v7, v3
	s_waitcnt vmcnt(0)
	v_lshl_add_u64 v[2:3], v[18:19], 0, v[2:3]
	global_store_dwordx2 v[2:3], v[10:11], off
	buffer_wbl2 sc0 sc1
	s_waitcnt vmcnt(0)
	global_atomic_cmpswap_x2 v[16:17], v31, v[14:17], s[6:7] offset:24 sc0 sc1
	s_waitcnt vmcnt(0)
	v_cmp_ne_u64_e32 vcc, v[16:17], v[10:11]
	s_and_b64 exec, exec, vcc
	s_cbranch_execz .LBB0_2
; %bb.83:                               ;   in Loop: Header=BB0_3 Depth=1
	s_mov_b64 s[0:1], 0
.LBB0_84:                               ;   Parent Loop BB0_3 Depth=1
                                        ; =>  This Inner Loop Header: Depth=2
	s_sleep 1
	global_store_dwordx2 v[2:3], v[16:17], off
	buffer_wbl2 sc0 sc1
	s_waitcnt vmcnt(0)
	global_atomic_cmpswap_x2 v[10:11], v31, v[14:17], s[6:7] offset:24 sc0 sc1
	s_waitcnt vmcnt(0)
	v_cmp_eq_u64_e32 vcc, v[10:11], v[16:17]
	s_or_b64 s[0:1], vcc, s[0:1]
	v_mov_b64_e32 v[16:17], v[10:11]
	s_andn2_b64 exec, exec, s[0:1]
	s_cbranch_execnz .LBB0_84
	s_branch .LBB0_2
.LBB0_85:
	s_or_b64 exec, exec, s[2:3]
                                        ; implicit-def: $vgpr0
                                        ; implicit-def: $vgpr1
                                        ; implicit-def: $vgpr2
.LBB0_86:
	s_andn2_saveexec_b64 s[2:3], s[4:5]
	s_cbranch_execz .LBB0_109
; %bb.87:
	s_load_dwordx2 s[4:5], s[8:9], 0x50
	s_waitcnt vmcnt(0)
	v_mbcnt_hi_u32_b32 v3, -1, v2
	v_mov_b64_e32 v[8:9], 0
	v_readfirstlane_b32 s0, v3
	s_nop 1
	v_cmp_eq_u32_e64 s[0:1], s0, v3
	s_and_saveexec_b64 s[6:7], s[0:1]
	s_cbranch_execz .LBB0_93
; %bb.88:
	v_mov_b32_e32 v2, 0
	s_waitcnt lgkmcnt(0)
	global_load_dwordx2 v[6:7], v2, s[4:5] offset:24 sc0 sc1
	s_waitcnt vmcnt(0)
	buffer_inv sc0 sc1
	global_load_dwordx2 v[4:5], v2, s[4:5] offset:40
	global_load_dwordx2 v[8:9], v2, s[4:5]
	s_waitcnt vmcnt(1)
	v_and_b32_e32 v4, v4, v6
	v_and_b32_e32 v5, v5, v7
	v_mul_lo_u32 v5, v5, 24
	v_mul_hi_u32 v10, v4, 24
	v_add_u32_e32 v5, v10, v5
	v_mul_lo_u32 v4, v4, 24
	s_waitcnt vmcnt(0)
	v_lshl_add_u64 v[4:5], v[8:9], 0, v[4:5]
	global_load_dwordx2 v[4:5], v[4:5], off sc0 sc1
	s_waitcnt vmcnt(0)
	global_atomic_cmpswap_x2 v[8:9], v2, v[4:7], s[4:5] offset:24 sc0 sc1
	s_waitcnt vmcnt(0)
	buffer_inv sc0 sc1
	v_cmp_ne_u64_e32 vcc, v[8:9], v[6:7]
	s_and_saveexec_b64 s[8:9], vcc
	s_cbranch_execz .LBB0_92
; %bb.89:
	s_mov_b64 s[10:11], 0
.LBB0_90:                               ; =>This Inner Loop Header: Depth=1
	s_sleep 1
	global_load_dwordx2 v[4:5], v2, s[4:5] offset:40
	global_load_dwordx2 v[10:11], v2, s[4:5]
	v_mov_b64_e32 v[6:7], v[8:9]
	s_waitcnt vmcnt(1)
	v_and_b32_e32 v4, v4, v6
	v_and_b32_e32 v9, v5, v7
	s_waitcnt vmcnt(0)
	v_mad_u64_u32 v[4:5], s[12:13], v4, 24, v[10:11]
	v_mov_b32_e32 v8, v5
	v_mad_u64_u32 v[8:9], s[12:13], v9, 24, v[8:9]
	v_mov_b32_e32 v5, v8
	global_load_dwordx2 v[4:5], v[4:5], off sc0 sc1
	s_waitcnt vmcnt(0)
	global_atomic_cmpswap_x2 v[8:9], v2, v[4:7], s[4:5] offset:24 sc0 sc1
	s_waitcnt vmcnt(0)
	buffer_inv sc0 sc1
	v_cmp_eq_u64_e32 vcc, v[8:9], v[6:7]
	s_or_b64 s[10:11], vcc, s[10:11]
	s_andn2_b64 exec, exec, s[10:11]
	s_cbranch_execnz .LBB0_90
; %bb.91:
	s_or_b64 exec, exec, s[10:11]
.LBB0_92:
	s_or_b64 exec, exec, s[8:9]
.LBB0_93:
	s_or_b64 exec, exec, s[6:7]
	v_mov_b32_e32 v2, 0
	s_waitcnt lgkmcnt(0)
	global_load_dwordx2 v[10:11], v2, s[4:5] offset:40
	global_load_dwordx4 v[4:7], v2, s[4:5]
	v_readfirstlane_b32 s6, v8
	v_readfirstlane_b32 s7, v9
	s_mov_b64 s[8:9], exec
	s_waitcnt vmcnt(1)
	v_readfirstlane_b32 s10, v10
	v_readfirstlane_b32 s11, v11
	s_and_b64 s[10:11], s[6:7], s[10:11]
	s_mul_i32 s12, s11, 24
	s_mul_hi_u32 s13, s10, 24
	s_add_i32 s13, s13, s12
	s_mul_i32 s12, s10, 24
	s_waitcnt vmcnt(0)
	v_lshl_add_u64 v[8:9], v[4:5], 0, s[12:13]
	s_and_saveexec_b64 s[12:13], s[0:1]
	s_cbranch_execz .LBB0_95
; %bb.94:
	v_mov_b64_e32 v[10:11], s[8:9]
	v_mov_b32_e32 v12, 2
	v_mov_b32_e32 v13, 1
	global_store_dwordx4 v[8:9], v[10:13], off offset:8
.LBB0_95:
	s_or_b64 exec, exec, s[12:13]
	s_lshl_b64 s[8:9], s[10:11], 12
	v_lshl_add_u64 v[6:7], v[6:7], 0, s[8:9]
	s_movk_i32 s8, 0xff1f
	v_and_or_b32 v0, v0, s8, 32
	s_mov_b32 s8, 0
	v_lshlrev_b32_e32 v10, 6, v3
	v_mov_b32_e32 v3, v2
	v_readfirstlane_b32 s12, v6
	v_readfirstlane_b32 s13, v7
	s_mov_b32 s9, s8
	s_mov_b32 s10, s8
	s_mov_b32 s11, s8
	s_nop 1
	global_store_dwordx4 v10, v[0:3], s[12:13]
	s_nop 1
	v_mov_b64_e32 v[0:1], s[8:9]
	v_mov_b64_e32 v[2:3], s[10:11]
	global_store_dwordx4 v10, v[0:3], s[12:13] offset:16
	global_store_dwordx4 v10, v[0:3], s[12:13] offset:32
	;; [unrolled: 1-line block ×3, first 2 shown]
	s_and_saveexec_b64 s[8:9], s[0:1]
	s_cbranch_execz .LBB0_103
; %bb.96:
	v_mov_b32_e32 v6, 0
	global_load_dwordx2 v[12:13], v6, s[4:5] offset:32 sc0 sc1
	global_load_dwordx2 v[0:1], v6, s[4:5] offset:40
	v_mov_b32_e32 v10, s6
	v_mov_b32_e32 v11, s7
	s_waitcnt vmcnt(0)
	v_and_b32_e32 v0, s6, v0
	v_and_b32_e32 v1, s7, v1
	v_mul_lo_u32 v1, v1, 24
	v_mul_hi_u32 v2, v0, 24
	v_mul_lo_u32 v0, v0, 24
	v_add_u32_e32 v1, v2, v1
	v_lshl_add_u64 v[4:5], v[4:5], 0, v[0:1]
	global_store_dwordx2 v[4:5], v[12:13], off
	buffer_wbl2 sc0 sc1
	s_waitcnt vmcnt(0)
	global_atomic_cmpswap_x2 v[2:3], v6, v[10:13], s[4:5] offset:32 sc0 sc1
	s_waitcnt vmcnt(0)
	v_cmp_ne_u64_e32 vcc, v[2:3], v[12:13]
	s_and_saveexec_b64 s[10:11], vcc
	s_cbranch_execz .LBB0_99
; %bb.97:
	s_mov_b64 s[12:13], 0
.LBB0_98:                               ; =>This Inner Loop Header: Depth=1
	s_sleep 1
	global_store_dwordx2 v[4:5], v[2:3], off
	v_mov_b32_e32 v0, s6
	v_mov_b32_e32 v1, s7
	buffer_wbl2 sc0 sc1
	s_waitcnt vmcnt(0)
	global_atomic_cmpswap_x2 v[0:1], v6, v[0:3], s[4:5] offset:32 sc0 sc1
	s_waitcnt vmcnt(0)
	v_cmp_eq_u64_e32 vcc, v[0:1], v[2:3]
	s_or_b64 s[12:13], vcc, s[12:13]
	v_mov_b64_e32 v[2:3], v[0:1]
	s_andn2_b64 exec, exec, s[12:13]
	s_cbranch_execnz .LBB0_98
.LBB0_99:
	s_or_b64 exec, exec, s[10:11]
	v_mov_b32_e32 v3, 0
	global_load_dwordx2 v[0:1], v3, s[4:5] offset:16
	s_mov_b64 s[10:11], exec
	v_mbcnt_lo_u32_b32 v2, s10, 0
	v_mbcnt_hi_u32_b32 v2, s11, v2
	v_cmp_eq_u32_e32 vcc, 0, v2
	s_and_saveexec_b64 s[12:13], vcc
	s_cbranch_execz .LBB0_101
; %bb.100:
	s_bcnt1_i32_b64 s10, s[10:11]
	v_mov_b32_e32 v2, s10
	buffer_wbl2 sc0 sc1
	s_waitcnt vmcnt(0)
	global_atomic_add_x2 v[0:1], v[2:3], off offset:8 sc1
.LBB0_101:
	s_or_b64 exec, exec, s[12:13]
	s_waitcnt vmcnt(0)
	global_load_dwordx2 v[2:3], v[0:1], off offset:16
	s_waitcnt vmcnt(0)
	v_cmp_eq_u64_e32 vcc, 0, v[2:3]
	s_cbranch_vccnz .LBB0_103
; %bb.102:
	global_load_dword v0, v[0:1], off offset:24
	v_mov_b32_e32 v1, 0
	buffer_wbl2 sc0 sc1
	s_waitcnt vmcnt(0)
	global_store_dwordx2 v[2:3], v[0:1], off sc0 sc1
	v_and_b32_e32 v0, 0xffffff, v0
	s_nop 0
	v_readfirstlane_b32 m0, v0
	s_sendmsg sendmsg(MSG_INTERRUPT)
.LBB0_103:
	s_or_b64 exec, exec, s[8:9]
	s_branch .LBB0_107
.LBB0_104:                              ;   in Loop: Header=BB0_107 Depth=1
	s_or_b64 exec, exec, s[8:9]
	v_readfirstlane_b32 s8, v0
	s_cmp_eq_u32 s8, 0
	s_cbranch_scc1 .LBB0_106
; %bb.105:                              ;   in Loop: Header=BB0_107 Depth=1
	s_sleep 1
	s_cbranch_execnz .LBB0_107
	s_branch .LBB0_110
.LBB0_106:
	s_branch .LBB0_110
.LBB0_107:                              ; =>This Inner Loop Header: Depth=1
	v_mov_b32_e32 v0, 1
	s_and_saveexec_b64 s[8:9], s[0:1]
	s_cbranch_execz .LBB0_104
; %bb.108:                              ;   in Loop: Header=BB0_107 Depth=1
	global_load_dword v0, v[8:9], off offset:20 sc0 sc1
	s_waitcnt vmcnt(0)
	buffer_inv sc0 sc1
	v_and_b32_e32 v0, 1, v0
	s_branch .LBB0_104
.LBB0_109:
	s_or_b64 exec, exec, s[2:3]
	s_waitcnt vmcnt(0) lgkmcnt(0)
	s_setpc_b64 s[30:31]
.LBB0_110:
	s_and_saveexec_b64 s[8:9], s[0:1]
	s_cbranch_execz .LBB0_113
; %bb.111:
	v_mov_b32_e32 v6, 0
	global_load_dwordx2 v[4:5], v6, s[4:5] offset:40
	global_load_dwordx2 v[8:9], v6, s[4:5] offset:24 sc0 sc1
	global_load_dwordx2 v[10:11], v6, s[4:5]
	s_mov_b64 s[0:1], 0
	s_waitcnt vmcnt(2)
	v_lshl_add_u64 v[0:1], v[4:5], 0, 1
	v_lshl_add_u64 v[12:13], v[0:1], 0, s[6:7]
	v_cmp_eq_u64_e32 vcc, 0, v[12:13]
	s_waitcnt vmcnt(1)
	v_mov_b32_e32 v2, v8
	v_cndmask_b32_e32 v1, v13, v1, vcc
	v_cndmask_b32_e32 v0, v12, v0, vcc
	v_and_b32_e32 v3, v1, v5
	v_and_b32_e32 v4, v0, v4
	v_mul_lo_u32 v3, v3, 24
	v_mul_hi_u32 v5, v4, 24
	v_mul_lo_u32 v4, v4, 24
	v_add_u32_e32 v5, v5, v3
	s_waitcnt vmcnt(0)
	v_lshl_add_u64 v[4:5], v[10:11], 0, v[4:5]
	global_store_dwordx2 v[4:5], v[8:9], off
	v_mov_b32_e32 v3, v9
	buffer_wbl2 sc0 sc1
	s_waitcnt vmcnt(0)
	global_atomic_cmpswap_x2 v[2:3], v6, v[0:3], s[4:5] offset:24 sc0 sc1
	s_waitcnt vmcnt(0)
	v_cmp_ne_u64_e32 vcc, v[2:3], v[8:9]
	s_and_b64 exec, exec, vcc
	s_cbranch_execz .LBB0_113
.LBB0_112:                              ; =>This Inner Loop Header: Depth=1
	s_sleep 1
	global_store_dwordx2 v[4:5], v[2:3], off
	buffer_wbl2 sc0 sc1
	s_waitcnt vmcnt(0)
	global_atomic_cmpswap_x2 v[8:9], v6, v[0:3], s[4:5] offset:24 sc0 sc1
	s_waitcnt vmcnt(0)
	v_cmp_eq_u64_e32 vcc, v[8:9], v[2:3]
	s_or_b64 s[0:1], vcc, s[0:1]
	v_mov_b64_e32 v[2:3], v[8:9]
	s_andn2_b64 exec, exec, s[0:1]
	s_cbranch_execnz .LBB0_112
.LBB0_113:
	s_or_b64 exec, exec, s[8:9]
	s_or_b64 exec, exec, s[2:3]
	s_waitcnt vmcnt(0) lgkmcnt(0)
	s_setpc_b64 s[30:31]
.Lfunc_end0:
	.size	__ockl_fprintf_append_string_n, .Lfunc_end0-__ockl_fprintf_append_string_n
                                        ; -- End function
	.section	.AMDGPU.csdata,"",@progbits
; Function info:
; codeLenInByte = 4188
; NumSgprs: 38
; NumVgprs: 38
; NumAgprs: 0
; TotalNumVgprs: 38
; ScratchSize: 0
; MemoryBound: 0
	.text
	.p2align	2                               ; -- Begin function __assert_fail
	.type	__assert_fail,@function
__assert_fail:                          ; @__assert_fail
; %bb.0:
	s_waitcnt vmcnt(0) expcnt(0) lgkmcnt(0)
	s_mov_b32 s20, s33
	s_mov_b32 s33, s32
	s_xor_saveexec_b64 s[0:1], -1
	scratch_store_dword off, v39, s33 offset:48 ; 4-byte Folded Spill
	s_mov_b64 exec, s[0:1]
	v_writelane_b32 v39, s30, 0
	s_add_i32 s32, s32, 64
	s_nop 0
	v_writelane_b32 v39, s31, 1
	s_getpc_b64 s[0:1]
	s_add_u32 s0, s0, __const.__assert_fail.fmt@rel32@lo+4
	s_addc_u32 s1, s1, __const.__assert_fail.fmt@rel32@hi+12
	s_load_dwordx4 s[0:3], s[0:1], 0x0
	s_getpc_b64 s[4:5]
	s_add_u32 s4, s4, __const.__assert_fail.fmt@rel32@lo+20
	s_addc_u32 s5, s5, __const.__assert_fail.fmt@rel32@hi+28
	s_load_dwordx4 s[4:7], s[4:5], 0x0
	v_mov_b32_e32 v4, v0
	v_mov_b32_e32 v0, 0xa2e
	;; [unrolled: 1-line block ×3, first 2 shown]
	scratch_store_short off, v0, s33 offset:44
	s_waitcnt lgkmcnt(0)
	v_mov_b64_e32 v[0:1], s[0:1]
	v_mov_b64_e32 v[2:3], s[2:3]
	scratch_store_dwordx4 off, v[0:3], s33
	s_load_dwordx2 s[2:3], s[8:9], 0x50
	v_mov_b32_e32 v8, 0
	v_mov_b64_e32 v[0:1], s[4:5]
	v_mov_b64_e32 v[2:3], s[6:7]
	scratch_store_dwordx4 off, v[0:3], s33 offset:16
	v_mov_b64_e32 v[6:7], 0
	scratch_store_byte off, v8, s33 offset:46
	v_mov_b32_e32 v0, 0x73256020
	v_mov_b32_e32 v1, 0x61662027
	;; [unrolled: 1-line block ×3, first 2 shown]
	scratch_store_dwordx3 off, v[0:2], s33 offset:32
	s_nop 1
	v_mbcnt_lo_u32_b32 v0, -1, 0
	v_mbcnt_hi_u32_b32 v38, -1, v0
	s_nop 0
	v_readfirstlane_b32 s0, v38
	s_nop 1
	v_cmp_eq_u32_e64 s[0:1], s0, v38
	s_and_saveexec_b64 s[4:5], s[0:1]
	s_cbranch_execz .LBB1_6
; %bb.1:
	s_waitcnt lgkmcnt(0)
	global_load_dwordx2 v[2:3], v8, s[2:3] offset:24 sc0 sc1
	s_waitcnt vmcnt(0)
	buffer_inv sc0 sc1
	global_load_dwordx2 v[0:1], v8, s[2:3] offset:40
	global_load_dwordx2 v[6:7], v8, s[2:3]
	s_waitcnt vmcnt(1)
	v_and_b32_e32 v0, v0, v2
	v_and_b32_e32 v1, v1, v3
	v_mul_lo_u32 v1, v1, 24
	v_mul_hi_u32 v9, v0, 24
	v_add_u32_e32 v1, v9, v1
	v_mul_lo_u32 v0, v0, 24
	s_waitcnt vmcnt(0)
	v_lshl_add_u64 v[0:1], v[6:7], 0, v[0:1]
	global_load_dwordx2 v[0:1], v[0:1], off sc0 sc1
	s_waitcnt vmcnt(0)
	global_atomic_cmpswap_x2 v[6:7], v8, v[0:3], s[2:3] offset:24 sc0 sc1
	s_waitcnt vmcnt(0)
	buffer_inv sc0 sc1
	v_cmp_ne_u64_e32 vcc, v[6:7], v[2:3]
	s_and_saveexec_b64 s[6:7], vcc
	s_cbranch_execz .LBB1_5
; %bb.2:
	s_mov_b64 s[10:11], 0
.LBB1_3:                                ; =>This Inner Loop Header: Depth=1
	s_sleep 1
	global_load_dwordx2 v[0:1], v8, s[2:3] offset:40
	global_load_dwordx2 v[10:11], v8, s[2:3]
	v_mov_b64_e32 v[2:3], v[6:7]
	s_waitcnt vmcnt(1)
	v_and_b32_e32 v0, v0, v2
	v_and_b32_e32 v7, v1, v3
	s_waitcnt vmcnt(0)
	v_mad_u64_u32 v[0:1], s[12:13], v0, 24, v[10:11]
	v_mov_b32_e32 v6, v1
	v_mad_u64_u32 v[6:7], s[12:13], v7, 24, v[6:7]
	v_mov_b32_e32 v1, v6
	global_load_dwordx2 v[0:1], v[0:1], off sc0 sc1
	s_waitcnt vmcnt(0)
	global_atomic_cmpswap_x2 v[6:7], v8, v[0:3], s[2:3] offset:24 sc0 sc1
	s_waitcnt vmcnt(0)
	buffer_inv sc0 sc1
	v_cmp_eq_u64_e32 vcc, v[6:7], v[2:3]
	s_or_b64 s[10:11], vcc, s[10:11]
	s_andn2_b64 exec, exec, s[10:11]
	s_cbranch_execnz .LBB1_3
; %bb.4:
	s_or_b64 exec, exec, s[10:11]
.LBB1_5:
	s_or_b64 exec, exec, s[6:7]
.LBB1_6:
	s_or_b64 exec, exec, s[4:5]
	s_waitcnt lgkmcnt(0)
	global_load_dwordx2 v[10:11], v8, s[2:3] offset:40
	global_load_dwordx4 v[0:3], v8, s[2:3]
	v_readfirstlane_b32 s4, v6
	v_readfirstlane_b32 s5, v7
	s_mov_b64 s[6:7], exec
	s_waitcnt vmcnt(1)
	v_readfirstlane_b32 s10, v10
	v_readfirstlane_b32 s11, v11
	s_and_b64 s[10:11], s[4:5], s[10:11]
	s_mul_i32 s12, s11, 24
	s_mul_hi_u32 s13, s10, 24
	s_add_i32 s13, s13, s12
	s_mul_i32 s12, s10, 24
	s_waitcnt vmcnt(0)
	v_lshl_add_u64 v[6:7], v[0:1], 0, s[12:13]
	s_and_saveexec_b64 s[12:13], s[0:1]
	s_cbranch_execz .LBB1_8
; %bb.7:
	v_mov_b64_e32 v[8:9], s[6:7]
	v_mov_b32_e32 v10, 2
	v_mov_b32_e32 v11, 1
	global_store_dwordx4 v[6:7], v[8:11], off offset:8
.LBB1_8:
	s_or_b64 exec, exec, s[12:13]
	s_lshl_b64 s[6:7], s[10:11], 12
	v_lshl_add_u64 v[8:9], v[2:3], 0, s[6:7]
	s_mov_b32 s12, 0
	v_mov_b32_e32 v33, 0
	v_lshlrev_b32_e32 v32, 6, v38
	v_mov_b32_e32 v10, 33
	v_mov_b32_e32 v12, 1
	;; [unrolled: 1-line block ×4, first 2 shown]
	v_readfirstlane_b32 s6, v8
	v_readfirstlane_b32 s7, v9
	s_mov_b32 s13, s12
	s_mov_b32 s14, s12
	;; [unrolled: 1-line block ×3, first 2 shown]
	s_nop 1
	global_store_dwordx4 v32, v[10:13], s[6:7]
	s_nop 1
	v_mov_b64_e32 v[10:11], s[12:13]
	v_mov_b64_e32 v[12:13], s[14:15]
	global_store_dwordx4 v32, v[10:13], s[6:7] offset:16
	global_store_dwordx4 v32, v[10:13], s[6:7] offset:32
	;; [unrolled: 1-line block ×3, first 2 shown]
	s_and_saveexec_b64 s[6:7], s[0:1]
	s_cbranch_execz .LBB1_16
; %bb.9:
	global_load_dwordx2 v[14:15], v33, s[2:3] offset:32 sc0 sc1
	global_load_dwordx2 v[2:3], v33, s[2:3] offset:40
	v_mov_b32_e32 v12, s4
	v_mov_b32_e32 v13, s5
	s_waitcnt vmcnt(0)
	v_and_b32_e32 v2, s4, v2
	v_and_b32_e32 v3, s5, v3
	v_mul_lo_u32 v3, v3, 24
	v_mul_hi_u32 v10, v2, 24
	v_mul_lo_u32 v2, v2, 24
	v_add_u32_e32 v3, v10, v3
	v_lshl_add_u64 v[10:11], v[0:1], 0, v[2:3]
	global_store_dwordx2 v[10:11], v[14:15], off
	buffer_wbl2 sc0 sc1
	s_waitcnt vmcnt(0)
	global_atomic_cmpswap_x2 v[2:3], v33, v[12:15], s[2:3] offset:32 sc0 sc1
	s_waitcnt vmcnt(0)
	v_cmp_ne_u64_e32 vcc, v[2:3], v[14:15]
	s_and_saveexec_b64 s[10:11], vcc
	s_cbranch_execz .LBB1_12
; %bb.10:
	s_mov_b64 s[12:13], 0
.LBB1_11:                               ; =>This Inner Loop Header: Depth=1
	s_sleep 1
	global_store_dwordx2 v[10:11], v[2:3], off
	v_mov_b32_e32 v0, s4
	v_mov_b32_e32 v1, s5
	buffer_wbl2 sc0 sc1
	s_waitcnt vmcnt(0)
	global_atomic_cmpswap_x2 v[0:1], v33, v[0:3], s[2:3] offset:32 sc0 sc1
	s_waitcnt vmcnt(0)
	v_cmp_eq_u64_e32 vcc, v[0:1], v[2:3]
	s_or_b64 s[12:13], vcc, s[12:13]
	v_mov_b64_e32 v[2:3], v[0:1]
	s_andn2_b64 exec, exec, s[12:13]
	s_cbranch_execnz .LBB1_11
.LBB1_12:
	s_or_b64 exec, exec, s[10:11]
	v_mov_b32_e32 v3, 0
	global_load_dwordx2 v[0:1], v3, s[2:3] offset:16
	s_mov_b64 s[10:11], exec
	v_mbcnt_lo_u32_b32 v2, s10, 0
	v_mbcnt_hi_u32_b32 v2, s11, v2
	v_cmp_eq_u32_e32 vcc, 0, v2
	s_and_saveexec_b64 s[12:13], vcc
	s_cbranch_execz .LBB1_14
; %bb.13:
	s_bcnt1_i32_b64 s10, s[10:11]
	v_mov_b32_e32 v2, s10
	buffer_wbl2 sc0 sc1
	s_waitcnt vmcnt(0)
	global_atomic_add_x2 v[0:1], v[2:3], off offset:8 sc1
.LBB1_14:
	s_or_b64 exec, exec, s[12:13]
	s_waitcnt vmcnt(0)
	global_load_dwordx2 v[2:3], v[0:1], off offset:16
	s_waitcnt vmcnt(0)
	v_cmp_eq_u64_e32 vcc, 0, v[2:3]
	s_cbranch_vccnz .LBB1_16
; %bb.15:
	global_load_dword v0, v[0:1], off offset:24
	v_mov_b32_e32 v1, 0
	buffer_wbl2 sc0 sc1
	s_waitcnt vmcnt(0)
	global_store_dwordx2 v[2:3], v[0:1], off sc0 sc1
	v_and_b32_e32 v0, 0xffffff, v0
	s_nop 0
	v_readfirstlane_b32 m0, v0
	s_sendmsg sendmsg(MSG_INTERRUPT)
.LBB1_16:
	s_or_b64 exec, exec, s[6:7]
	v_lshl_add_u64 v[0:1], v[8:9], 0, v[32:33]
	s_branch .LBB1_20
.LBB1_17:                               ;   in Loop: Header=BB1_20 Depth=1
	s_or_b64 exec, exec, s[6:7]
	v_readfirstlane_b32 s6, v2
	s_cmp_eq_u32 s6, 0
	s_cbranch_scc1 .LBB1_19
; %bb.18:                               ;   in Loop: Header=BB1_20 Depth=1
	s_sleep 1
	s_cbranch_execnz .LBB1_20
	s_branch .LBB1_22
.LBB1_19:
	s_branch .LBB1_22
.LBB1_20:                               ; =>This Inner Loop Header: Depth=1
	v_mov_b32_e32 v2, 1
	s_and_saveexec_b64 s[6:7], s[0:1]
	s_cbranch_execz .LBB1_17
; %bb.21:                               ;   in Loop: Header=BB1_20 Depth=1
	global_load_dword v2, v[6:7], off offset:20 sc0 sc1
	s_waitcnt vmcnt(0)
	buffer_inv sc0 sc1
	v_and_b32_e32 v2, 1, v2
	s_branch .LBB1_17
.LBB1_22:
	global_load_dwordx2 v[6:7], v[0:1], off
	s_and_saveexec_b64 s[6:7], s[0:1]
	s_cbranch_execz .LBB1_25
; %bb.23:
	v_mov_b32_e32 v10, 0
	global_load_dwordx2 v[8:9], v10, s[2:3] offset:40
	global_load_dwordx2 v[12:13], v10, s[2:3] offset:24 sc0 sc1
	global_load_dwordx2 v[14:15], v10, s[2:3]
	s_mov_b64 s[0:1], 0
	s_waitcnt vmcnt(2)
	v_lshl_add_u64 v[0:1], v[8:9], 0, 1
	v_lshl_add_u64 v[16:17], v[0:1], 0, s[4:5]
	v_cmp_eq_u64_e32 vcc, 0, v[16:17]
	s_waitcnt vmcnt(1)
	v_mov_b32_e32 v2, v12
	v_cndmask_b32_e32 v1, v17, v1, vcc
	v_cndmask_b32_e32 v0, v16, v0, vcc
	v_and_b32_e32 v3, v1, v9
	v_and_b32_e32 v8, v0, v8
	v_mul_lo_u32 v3, v3, 24
	v_mul_hi_u32 v9, v8, 24
	v_mul_lo_u32 v8, v8, 24
	v_add_u32_e32 v9, v9, v3
	s_waitcnt vmcnt(0)
	v_lshl_add_u64 v[8:9], v[14:15], 0, v[8:9]
	global_store_dwordx2 v[8:9], v[12:13], off
	v_mov_b32_e32 v3, v13
	buffer_wbl2 sc0 sc1
	s_waitcnt vmcnt(0)
	global_atomic_cmpswap_x2 v[2:3], v10, v[0:3], s[2:3] offset:24 sc0 sc1
	s_waitcnt vmcnt(0)
	v_cmp_ne_u64_e32 vcc, v[2:3], v[12:13]
	s_and_b64 exec, exec, vcc
	s_cbranch_execz .LBB1_25
.LBB1_24:                               ; =>This Inner Loop Header: Depth=1
	s_sleep 1
	global_store_dwordx2 v[8:9], v[2:3], off
	buffer_wbl2 sc0 sc1
	s_waitcnt vmcnt(0)
	global_atomic_cmpswap_x2 v[12:13], v10, v[0:3], s[2:3] offset:24 sc0 sc1
	s_waitcnt vmcnt(0)
	v_cmp_eq_u64_e32 vcc, v[12:13], v[2:3]
	s_or_b64 s[0:1], vcc, s[0:1]
	v_mov_b64_e32 v[2:3], v[12:13]
	s_andn2_b64 exec, exec, s[0:1]
	s_cbranch_execnz .LBB1_24
.LBB1_25:
	s_or_b64 exec, exec, s[6:7]
	v_mov_b32_e32 v1, s33
	s_mov_b64 s[0:1], 0
.LBB1_26:                               ; =>This Inner Loop Header: Depth=1
	scratch_load_ubyte v2, v1, off
	v_add_u32_e32 v0, 1, v1
	v_mov_b32_e32 v1, v0
	s_waitcnt vmcnt(0)
	v_cmp_eq_u16_e32 vcc, 0, v2
	s_or_b64 s[0:1], vcc, s[0:1]
	s_andn2_b64 exec, exec, s[0:1]
	s_cbranch_execnz .LBB1_26
; %bb.27:
	s_or_b64 exec, exec, s[0:1]
	v_mov_b32_e32 v31, s33
	v_cmp_ne_u32_e32 vcc, -1, v31
	s_cbranch_vccz .LBB1_112
; %bb.28:
	v_subrev_u32_e32 v28, s33, v0
	v_ashrrev_i32_e32 v29, 31, v28
	v_and_b32_e32 v30, 2, v6
	v_mov_b32_e32 v33, 0
	v_and_b32_e32 v0, -3, v6
	v_mov_b32_e32 v1, v7
	s_mov_b64 s[4:5], 0
	s_mov_b32 s16, 0
	s_movk_i32 s17, 0xff1f
	v_mov_b32_e32 v10, 2
	v_mov_b32_e32 v11, 1
	s_branch .LBB1_30
.LBB1_29:                               ;   in Loop: Header=BB1_30 Depth=1
	s_or_b64 exec, exec, s[10:11]
	v_sub_co_u32_e32 v28, vcc, v28, v34
	v_add_u32_e32 v31, v31, v34
	s_nop 0
	v_subb_co_u32_e32 v29, vcc, v29, v35, vcc
	v_cmp_eq_u64_e32 vcc, 0, v[28:29]
	s_or_b64 s[4:5], vcc, s[4:5]
	s_andn2_b64 exec, exec, s[4:5]
	s_cbranch_execz .LBB1_113
.LBB1_30:                               ; =>This Loop Header: Depth=1
                                        ;     Child Loop BB1_33 Depth 2
                                        ;     Child Loop BB1_41 Depth 2
	;; [unrolled: 1-line block ×11, first 2 shown]
	v_cmp_gt_u64_e32 vcc, 56, v[28:29]
                                        ; implicit-def: $vgpr2_vgpr3
                                        ; implicit-def: $sgpr6
	s_nop 1
	v_cndmask_b32_e32 v35, 0, v29, vcc
	v_cndmask_b32_e32 v34, 56, v28, vcc
	v_cmp_gt_u64_e32 vcc, 8, v[28:29]
	s_and_saveexec_b64 s[0:1], vcc
	s_xor_b64 s[0:1], exec, s[0:1]
	s_cbranch_execz .LBB1_36
; %bb.31:                               ;   in Loop: Header=BB1_30 Depth=1
	s_mov_b64 s[10:11], 0
	v_cmp_ne_u64_e32 vcc, 0, v[28:29]
	s_waitcnt vmcnt(0)
	v_mov_b64_e32 v[2:3], 0
	s_and_saveexec_b64 s[6:7], vcc
	s_cbranch_execz .LBB1_35
; %bb.32:                               ;   in Loop: Header=BB1_30 Depth=1
	v_lshlrev_b64 v[8:9], 3, v[34:35]
	v_mov_b64_e32 v[2:3], 0
	s_mov_b64 s[12:13], 0
	v_mov_b32_e32 v9, v31
.LBB1_33:                               ;   Parent Loop BB1_30 Depth=1
                                        ; =>  This Inner Loop Header: Depth=2
	scratch_load_ubyte v12, v9, off
	v_mov_b32_e32 v13, s16
	v_add_u32_e32 v9, 1, v9
	s_waitcnt vmcnt(0)
	v_and_b32_e32 v12, 0xffff, v12
	v_lshlrev_b64 v[12:13], s12, v[12:13]
	s_add_u32 s12, s12, 8
	s_addc_u32 s13, s13, 0
	v_cmp_eq_u32_e32 vcc, s12, v8
	v_or_b32_e32 v3, v13, v3
	s_or_b64 s[10:11], vcc, s[10:11]
	v_or_b32_e32 v2, v12, v2
	s_andn2_b64 exec, exec, s[10:11]
	s_cbranch_execnz .LBB1_33
; %bb.34:                               ;   in Loop: Header=BB1_30 Depth=1
	s_or_b64 exec, exec, s[10:11]
.LBB1_35:                               ;   in Loop: Header=BB1_30 Depth=1
	s_or_b64 exec, exec, s[6:7]
	s_mov_b32 s6, 0
.LBB1_36:                               ;   in Loop: Header=BB1_30 Depth=1
	s_or_saveexec_b64 s[0:1], s[0:1]
	v_mov_b32_e32 v9, s6
	v_mov_b32_e32 v8, v31
	s_xor_b64 exec, exec, s[0:1]
	s_cbranch_execz .LBB1_38
; %bb.37:                               ;   in Loop: Header=BB1_30 Depth=1
	scratch_load_dwordx2 v[2:3], v31, off
	v_add_u32_e32 v9, -8, v34
	s_waitcnt vmcnt(0)
	v_and_b32_e32 v8, 0xff, v3
	v_and_b32_e32 v12, 0xff00, v3
	v_and_b32_e32 v13, 0xff0000, v3
	v_and_b32_e32 v3, 0xff000000, v3
	v_or_b32_e32 v8, v8, v12
	v_or3_b32 v2, v2, 0, 0
	v_or3_b32 v3, v8, v13, v3
	v_add_u32_e32 v8, 8, v31
.LBB1_38:                               ;   in Loop: Header=BB1_30 Depth=1
	s_or_b64 exec, exec, s[0:1]
	v_cmp_gt_u32_e32 vcc, 8, v9
                                        ; implicit-def: $vgpr12_vgpr13
                                        ; implicit-def: $sgpr6
	s_and_saveexec_b64 s[0:1], vcc
	s_xor_b64 s[0:1], exec, s[0:1]
	s_cbranch_execz .LBB1_44
; %bb.39:                               ;   in Loop: Header=BB1_30 Depth=1
	v_cmp_ne_u32_e32 vcc, 0, v9
	v_mov_b64_e32 v[12:13], 0
	s_and_saveexec_b64 s[6:7], vcc
	s_cbranch_execz .LBB1_43
; %bb.40:                               ;   in Loop: Header=BB1_30 Depth=1
	s_mov_b32 s14, 0
	s_mov_b64 s[10:11], 0
	v_mov_b64_e32 v[12:13], 0
	s_mov_b64 s[12:13], 0
.LBB1_41:                               ;   Parent Loop BB1_30 Depth=1
                                        ; =>  This Inner Loop Header: Depth=2
	v_add_u32_e32 v14, s14, v8
	scratch_load_ubyte v14, v14, off
	v_mov_b32_e32 v15, s16
	s_add_i32 s14, s14, 1
	v_cmp_eq_u32_e32 vcc, s14, v9
	s_waitcnt vmcnt(0)
	v_and_b32_e32 v14, 0xffff, v14
	v_lshlrev_b64 v[14:15], s12, v[14:15]
	s_add_u32 s12, s12, 8
	s_addc_u32 s13, s13, 0
	v_or_b32_e32 v13, v15, v13
	s_or_b64 s[10:11], vcc, s[10:11]
	v_or_b32_e32 v12, v14, v12
	s_andn2_b64 exec, exec, s[10:11]
	s_cbranch_execnz .LBB1_41
; %bb.42:                               ;   in Loop: Header=BB1_30 Depth=1
	s_or_b64 exec, exec, s[10:11]
.LBB1_43:                               ;   in Loop: Header=BB1_30 Depth=1
	s_or_b64 exec, exec, s[6:7]
	s_mov_b32 s6, 0
                                        ; implicit-def: $vgpr9
.LBB1_44:                               ;   in Loop: Header=BB1_30 Depth=1
	s_or_saveexec_b64 s[0:1], s[0:1]
	v_mov_b32_e32 v16, s6
	s_xor_b64 exec, exec, s[0:1]
	s_cbranch_execz .LBB1_46
; %bb.45:                               ;   in Loop: Header=BB1_30 Depth=1
	scratch_load_dwordx2 v[12:13], v8, off
	v_add_u32_e32 v16, -8, v9
	v_add_u32_e32 v8, 8, v8
	s_waitcnt vmcnt(0)
	v_and_b32_e32 v9, 0xff, v13
	v_and_b32_e32 v14, 0xff00, v13
	;; [unrolled: 1-line block ×4, first 2 shown]
	v_or_b32_e32 v9, v9, v14
	v_or3_b32 v12, v12, 0, 0
	v_or3_b32 v13, v9, v15, v13
.LBB1_46:                               ;   in Loop: Header=BB1_30 Depth=1
	s_or_b64 exec, exec, s[0:1]
	v_cmp_gt_u32_e32 vcc, 8, v16
                                        ; implicit-def: $sgpr6
	s_and_saveexec_b64 s[0:1], vcc
	s_xor_b64 s[0:1], exec, s[0:1]
	s_cbranch_execz .LBB1_52
; %bb.47:                               ;   in Loop: Header=BB1_30 Depth=1
	v_cmp_ne_u32_e32 vcc, 0, v16
	v_mov_b64_e32 v[14:15], 0
	s_and_saveexec_b64 s[6:7], vcc
	s_cbranch_execz .LBB1_51
; %bb.48:                               ;   in Loop: Header=BB1_30 Depth=1
	s_mov_b32 s14, 0
	s_mov_b64 s[10:11], 0
	v_mov_b64_e32 v[14:15], 0
	s_mov_b64 s[12:13], 0
.LBB1_49:                               ;   Parent Loop BB1_30 Depth=1
                                        ; =>  This Inner Loop Header: Depth=2
	v_add_u32_e32 v9, s14, v8
	scratch_load_ubyte v9, v9, off
	v_mov_b32_e32 v19, s16
	s_add_i32 s14, s14, 1
	v_cmp_eq_u32_e32 vcc, s14, v16
	s_waitcnt vmcnt(0)
	v_and_b32_e32 v18, 0xffff, v9
	v_lshlrev_b64 v[18:19], s12, v[18:19]
	s_add_u32 s12, s12, 8
	s_addc_u32 s13, s13, 0
	v_or_b32_e32 v15, v19, v15
	s_or_b64 s[10:11], vcc, s[10:11]
	v_or_b32_e32 v14, v18, v14
	s_andn2_b64 exec, exec, s[10:11]
	s_cbranch_execnz .LBB1_49
; %bb.50:                               ;   in Loop: Header=BB1_30 Depth=1
	s_or_b64 exec, exec, s[10:11]
.LBB1_51:                               ;   in Loop: Header=BB1_30 Depth=1
	s_or_b64 exec, exec, s[6:7]
	s_mov_b32 s6, 0
                                        ; implicit-def: $vgpr16
.LBB1_52:                               ;   in Loop: Header=BB1_30 Depth=1
	s_or_saveexec_b64 s[0:1], s[0:1]
	v_mov_b32_e32 v9, s6
	s_xor_b64 exec, exec, s[0:1]
	s_cbranch_execz .LBB1_54
; %bb.53:                               ;   in Loop: Header=BB1_30 Depth=1
	scratch_load_dwordx2 v[14:15], v8, off
	v_add_u32_e32 v9, -8, v16
	v_add_u32_e32 v8, 8, v8
	s_waitcnt vmcnt(0)
	v_and_b32_e32 v16, 0xff, v15
	v_and_b32_e32 v17, 0xff00, v15
	;; [unrolled: 1-line block ×4, first 2 shown]
	v_or_b32_e32 v16, v16, v17
	v_or3_b32 v14, v14, 0, 0
	v_or3_b32 v15, v16, v18, v15
.LBB1_54:                               ;   in Loop: Header=BB1_30 Depth=1
	s_or_b64 exec, exec, s[0:1]
	v_cmp_gt_u32_e32 vcc, 8, v9
                                        ; implicit-def: $vgpr16_vgpr17
                                        ; implicit-def: $sgpr6
	s_and_saveexec_b64 s[0:1], vcc
	s_xor_b64 s[0:1], exec, s[0:1]
	s_cbranch_execz .LBB1_60
; %bb.55:                               ;   in Loop: Header=BB1_30 Depth=1
	v_cmp_ne_u32_e32 vcc, 0, v9
	v_mov_b64_e32 v[16:17], 0
	s_and_saveexec_b64 s[6:7], vcc
	s_cbranch_execz .LBB1_59
; %bb.56:                               ;   in Loop: Header=BB1_30 Depth=1
	s_mov_b32 s14, 0
	s_mov_b64 s[10:11], 0
	v_mov_b64_e32 v[16:17], 0
	s_mov_b64 s[12:13], 0
.LBB1_57:                               ;   Parent Loop BB1_30 Depth=1
                                        ; =>  This Inner Loop Header: Depth=2
	v_add_u32_e32 v18, s14, v8
	scratch_load_ubyte v18, v18, off
	v_mov_b32_e32 v19, s16
	s_add_i32 s14, s14, 1
	v_cmp_eq_u32_e32 vcc, s14, v9
	s_waitcnt vmcnt(0)
	v_and_b32_e32 v18, 0xffff, v18
	v_lshlrev_b64 v[18:19], s12, v[18:19]
	s_add_u32 s12, s12, 8
	s_addc_u32 s13, s13, 0
	v_or_b32_e32 v17, v19, v17
	s_or_b64 s[10:11], vcc, s[10:11]
	v_or_b32_e32 v16, v18, v16
	s_andn2_b64 exec, exec, s[10:11]
	s_cbranch_execnz .LBB1_57
; %bb.58:                               ;   in Loop: Header=BB1_30 Depth=1
	s_or_b64 exec, exec, s[10:11]
.LBB1_59:                               ;   in Loop: Header=BB1_30 Depth=1
	s_or_b64 exec, exec, s[6:7]
	s_mov_b32 s6, 0
                                        ; implicit-def: $vgpr9
.LBB1_60:                               ;   in Loop: Header=BB1_30 Depth=1
	s_or_saveexec_b64 s[0:1], s[0:1]
	v_mov_b32_e32 v20, s6
	s_xor_b64 exec, exec, s[0:1]
	s_cbranch_execz .LBB1_62
; %bb.61:                               ;   in Loop: Header=BB1_30 Depth=1
	scratch_load_dwordx2 v[16:17], v8, off
	v_add_u32_e32 v20, -8, v9
	v_add_u32_e32 v8, 8, v8
	s_waitcnt vmcnt(0)
	v_and_b32_e32 v9, 0xff, v17
	v_and_b32_e32 v18, 0xff00, v17
	;; [unrolled: 1-line block ×4, first 2 shown]
	v_or_b32_e32 v9, v9, v18
	v_or3_b32 v16, v16, 0, 0
	v_or3_b32 v17, v9, v19, v17
.LBB1_62:                               ;   in Loop: Header=BB1_30 Depth=1
	s_or_b64 exec, exec, s[0:1]
	v_cmp_gt_u32_e32 vcc, 8, v20
                                        ; implicit-def: $sgpr6
	s_and_saveexec_b64 s[0:1], vcc
	s_xor_b64 s[0:1], exec, s[0:1]
	s_cbranch_execz .LBB1_68
; %bb.63:                               ;   in Loop: Header=BB1_30 Depth=1
	v_cmp_ne_u32_e32 vcc, 0, v20
	v_mov_b64_e32 v[18:19], 0
	s_and_saveexec_b64 s[6:7], vcc
	s_cbranch_execz .LBB1_67
; %bb.64:                               ;   in Loop: Header=BB1_30 Depth=1
	s_mov_b32 s14, 0
	s_mov_b64 s[10:11], 0
	v_mov_b64_e32 v[18:19], 0
	s_mov_b64 s[12:13], 0
.LBB1_65:                               ;   Parent Loop BB1_30 Depth=1
                                        ; =>  This Inner Loop Header: Depth=2
	v_add_u32_e32 v9, s14, v8
	scratch_load_ubyte v9, v9, off
	v_mov_b32_e32 v23, s16
	s_add_i32 s14, s14, 1
	v_cmp_eq_u32_e32 vcc, s14, v20
	s_waitcnt vmcnt(0)
	v_and_b32_e32 v22, 0xffff, v9
	v_lshlrev_b64 v[22:23], s12, v[22:23]
	s_add_u32 s12, s12, 8
	s_addc_u32 s13, s13, 0
	v_or_b32_e32 v19, v23, v19
	s_or_b64 s[10:11], vcc, s[10:11]
	v_or_b32_e32 v18, v22, v18
	s_andn2_b64 exec, exec, s[10:11]
	s_cbranch_execnz .LBB1_65
; %bb.66:                               ;   in Loop: Header=BB1_30 Depth=1
	s_or_b64 exec, exec, s[10:11]
.LBB1_67:                               ;   in Loop: Header=BB1_30 Depth=1
	s_or_b64 exec, exec, s[6:7]
	s_mov_b32 s6, 0
                                        ; implicit-def: $vgpr20
.LBB1_68:                               ;   in Loop: Header=BB1_30 Depth=1
	s_or_saveexec_b64 s[0:1], s[0:1]
	v_mov_b32_e32 v9, s6
	s_xor_b64 exec, exec, s[0:1]
	s_cbranch_execz .LBB1_70
; %bb.69:                               ;   in Loop: Header=BB1_30 Depth=1
	scratch_load_dwordx2 v[18:19], v8, off
	v_add_u32_e32 v9, -8, v20
	v_add_u32_e32 v8, 8, v8
	s_waitcnt vmcnt(0)
	v_and_b32_e32 v20, 0xff, v19
	v_and_b32_e32 v21, 0xff00, v19
	v_and_b32_e32 v22, 0xff0000, v19
	v_and_b32_e32 v19, 0xff000000, v19
	v_or_b32_e32 v20, v20, v21
	v_or3_b32 v18, v18, 0, 0
	v_or3_b32 v19, v20, v22, v19
.LBB1_70:                               ;   in Loop: Header=BB1_30 Depth=1
	s_or_b64 exec, exec, s[0:1]
	v_cmp_gt_u32_e32 vcc, 8, v9
                                        ; implicit-def: $vgpr20_vgpr21
                                        ; implicit-def: $sgpr6
	s_and_saveexec_b64 s[0:1], vcc
	s_xor_b64 s[0:1], exec, s[0:1]
	s_cbranch_execz .LBB1_76
; %bb.71:                               ;   in Loop: Header=BB1_30 Depth=1
	v_cmp_ne_u32_e32 vcc, 0, v9
	v_mov_b64_e32 v[20:21], 0
	s_and_saveexec_b64 s[6:7], vcc
	s_cbranch_execz .LBB1_75
; %bb.72:                               ;   in Loop: Header=BB1_30 Depth=1
	s_mov_b32 s14, 0
	s_mov_b64 s[10:11], 0
	v_mov_b64_e32 v[20:21], 0
	s_mov_b64 s[12:13], 0
.LBB1_73:                               ;   Parent Loop BB1_30 Depth=1
                                        ; =>  This Inner Loop Header: Depth=2
	v_add_u32_e32 v22, s14, v8
	scratch_load_ubyte v22, v22, off
	v_mov_b32_e32 v23, s16
	s_add_i32 s14, s14, 1
	v_cmp_eq_u32_e32 vcc, s14, v9
	s_waitcnt vmcnt(0)
	v_and_b32_e32 v22, 0xffff, v22
	v_lshlrev_b64 v[22:23], s12, v[22:23]
	s_add_u32 s12, s12, 8
	s_addc_u32 s13, s13, 0
	v_or_b32_e32 v21, v23, v21
	s_or_b64 s[10:11], vcc, s[10:11]
	v_or_b32_e32 v20, v22, v20
	s_andn2_b64 exec, exec, s[10:11]
	s_cbranch_execnz .LBB1_73
; %bb.74:                               ;   in Loop: Header=BB1_30 Depth=1
	s_or_b64 exec, exec, s[10:11]
.LBB1_75:                               ;   in Loop: Header=BB1_30 Depth=1
	s_or_b64 exec, exec, s[6:7]
	s_mov_b32 s6, 0
                                        ; implicit-def: $vgpr9
.LBB1_76:                               ;   in Loop: Header=BB1_30 Depth=1
	s_or_saveexec_b64 s[0:1], s[0:1]
	v_mov_b32_e32 v24, s6
	s_xor_b64 exec, exec, s[0:1]
	s_cbranch_execz .LBB1_78
; %bb.77:                               ;   in Loop: Header=BB1_30 Depth=1
	scratch_load_dwordx2 v[20:21], v8, off
	v_add_u32_e32 v24, -8, v9
	v_add_u32_e32 v8, 8, v8
	s_waitcnt vmcnt(0)
	v_and_b32_e32 v9, 0xff, v21
	v_and_b32_e32 v22, 0xff00, v21
	;; [unrolled: 1-line block ×4, first 2 shown]
	v_or_b32_e32 v9, v9, v22
	v_or3_b32 v20, v20, 0, 0
	v_or3_b32 v21, v9, v23, v21
.LBB1_78:                               ;   in Loop: Header=BB1_30 Depth=1
	s_or_b64 exec, exec, s[0:1]
	v_cmp_gt_u32_e32 vcc, 8, v24
	s_and_saveexec_b64 s[0:1], vcc
	s_xor_b64 s[0:1], exec, s[0:1]
	s_cbranch_execz .LBB1_84
; %bb.79:                               ;   in Loop: Header=BB1_30 Depth=1
	v_cmp_ne_u32_e32 vcc, 0, v24
	v_mov_b64_e32 v[22:23], 0
	s_and_saveexec_b64 s[6:7], vcc
	s_cbranch_execz .LBB1_83
; %bb.80:                               ;   in Loop: Header=BB1_30 Depth=1
	s_mov_b64 s[10:11], 0
	v_mov_b64_e32 v[22:23], 0
	s_mov_b64 s[12:13], 0
.LBB1_81:                               ;   Parent Loop BB1_30 Depth=1
                                        ; =>  This Inner Loop Header: Depth=2
	scratch_load_ubyte v9, v8, off
	v_mov_b32_e32 v27, s16
	v_add_u32_e32 v24, -1, v24
	v_cmp_eq_u32_e32 vcc, 0, v24
	v_add_u32_e32 v8, 1, v8
	s_waitcnt vmcnt(0)
	v_and_b32_e32 v26, 0xffff, v9
	v_lshlrev_b64 v[26:27], s12, v[26:27]
	s_add_u32 s12, s12, 8
	s_addc_u32 s13, s13, 0
	v_or_b32_e32 v23, v27, v23
	s_or_b64 s[10:11], vcc, s[10:11]
	v_or_b32_e32 v22, v26, v22
	s_andn2_b64 exec, exec, s[10:11]
	s_cbranch_execnz .LBB1_81
; %bb.82:                               ;   in Loop: Header=BB1_30 Depth=1
	s_or_b64 exec, exec, s[10:11]
.LBB1_83:                               ;   in Loop: Header=BB1_30 Depth=1
	s_or_b64 exec, exec, s[6:7]
                                        ; implicit-def: $vgpr8
.LBB1_84:                               ;   in Loop: Header=BB1_30 Depth=1
	s_andn2_saveexec_b64 s[0:1], s[0:1]
	s_cbranch_execz .LBB1_86
; %bb.85:                               ;   in Loop: Header=BB1_30 Depth=1
	scratch_load_dwordx2 v[8:9], v8, off
	s_waitcnt vmcnt(0)
	v_and_b32_e32 v22, 0xff, v9
	v_and_b32_e32 v23, 0xff00, v9
	;; [unrolled: 1-line block ×4, first 2 shown]
	v_or_b32_e32 v22, v22, v23
	v_or3_b32 v23, v22, v24, v9
	v_or3_b32 v22, v8, 0, 0
.LBB1_86:                               ;   in Loop: Header=BB1_30 Depth=1
	s_or_b64 exec, exec, s[0:1]
	v_readfirstlane_b32 s0, v38
	v_mov_b64_e32 v[8:9], 0
	s_nop 0
	v_cmp_eq_u32_e64 s[0:1], s0, v38
	s_and_saveexec_b64 s[6:7], s[0:1]
	s_cbranch_execz .LBB1_92
; %bb.87:                               ;   in Loop: Header=BB1_30 Depth=1
	global_load_dwordx2 v[26:27], v33, s[2:3] offset:24 sc0 sc1
	s_waitcnt vmcnt(0)
	buffer_inv sc0 sc1
	global_load_dwordx2 v[8:9], v33, s[2:3] offset:40
	global_load_dwordx2 v[24:25], v33, s[2:3]
	s_waitcnt vmcnt(1)
	v_and_b32_e32 v8, v8, v26
	v_and_b32_e32 v9, v9, v27
	v_mul_lo_u32 v9, v9, 24
	v_mul_hi_u32 v36, v8, 24
	v_add_u32_e32 v9, v36, v9
	v_mul_lo_u32 v8, v8, 24
	s_waitcnt vmcnt(0)
	v_lshl_add_u64 v[8:9], v[24:25], 0, v[8:9]
	global_load_dwordx2 v[24:25], v[8:9], off sc0 sc1
	s_waitcnt vmcnt(0)
	global_atomic_cmpswap_x2 v[8:9], v33, v[24:27], s[2:3] offset:24 sc0 sc1
	s_waitcnt vmcnt(0)
	buffer_inv sc0 sc1
	v_cmp_ne_u64_e32 vcc, v[8:9], v[26:27]
	s_and_saveexec_b64 s[10:11], vcc
	s_cbranch_execz .LBB1_91
; %bb.88:                               ;   in Loop: Header=BB1_30 Depth=1
	s_mov_b64 s[12:13], 0
.LBB1_89:                               ;   Parent Loop BB1_30 Depth=1
                                        ; =>  This Inner Loop Header: Depth=2
	s_sleep 1
	global_load_dwordx2 v[24:25], v33, s[2:3] offset:40
	global_load_dwordx2 v[36:37], v33, s[2:3]
	v_mov_b64_e32 v[26:27], v[8:9]
	s_waitcnt vmcnt(1)
	v_and_b32_e32 v8, v24, v26
	s_waitcnt vmcnt(0)
	v_mad_u64_u32 v[8:9], s[14:15], v8, 24, v[36:37]
	v_and_b32_e32 v25, v25, v27
	v_mov_b32_e32 v24, v9
	v_mad_u64_u32 v[24:25], s[14:15], v25, 24, v[24:25]
	v_mov_b32_e32 v9, v24
	global_load_dwordx2 v[24:25], v[8:9], off sc0 sc1
	s_waitcnt vmcnt(0)
	global_atomic_cmpswap_x2 v[8:9], v33, v[24:27], s[2:3] offset:24 sc0 sc1
	s_waitcnt vmcnt(0)
	buffer_inv sc0 sc1
	v_cmp_eq_u64_e32 vcc, v[8:9], v[26:27]
	s_or_b64 s[12:13], vcc, s[12:13]
	s_andn2_b64 exec, exec, s[12:13]
	s_cbranch_execnz .LBB1_89
; %bb.90:                               ;   in Loop: Header=BB1_30 Depth=1
	s_or_b64 exec, exec, s[12:13]
.LBB1_91:                               ;   in Loop: Header=BB1_30 Depth=1
	s_or_b64 exec, exec, s[10:11]
.LBB1_92:                               ;   in Loop: Header=BB1_30 Depth=1
	s_or_b64 exec, exec, s[6:7]
	global_load_dwordx2 v[36:37], v33, s[2:3] offset:40
	global_load_dwordx4 v[24:27], v33, s[2:3]
	v_readfirstlane_b32 s6, v8
	v_readfirstlane_b32 s7, v9
	s_mov_b64 s[10:11], exec
	s_waitcnt vmcnt(1)
	v_readfirstlane_b32 s12, v36
	v_readfirstlane_b32 s13, v37
	s_and_b64 s[12:13], s[6:7], s[12:13]
	s_mul_i32 s14, s13, 24
	s_mul_hi_u32 s15, s12, 24
	s_add_i32 s15, s15, s14
	s_mul_i32 s14, s12, 24
	s_waitcnt vmcnt(0)
	v_lshl_add_u64 v[36:37], v[24:25], 0, s[14:15]
	s_and_saveexec_b64 s[14:15], s[0:1]
	s_cbranch_execz .LBB1_94
; %bb.93:                               ;   in Loop: Header=BB1_30 Depth=1
	v_mov_b64_e32 v[8:9], s[10:11]
	global_store_dwordx4 v[36:37], v[8:11], off offset:8
.LBB1_94:                               ;   in Loop: Header=BB1_30 Depth=1
	s_or_b64 exec, exec, s[14:15]
	s_lshl_b64 s[10:11], s[12:13], 12
	v_lshl_add_u64 v[8:9], v[26:27], 0, s[10:11]
	v_or_b32_e32 v26, 0, v1
	v_cmp_lt_u64_e32 vcc, 56, v[28:29]
	v_or_b32_e32 v27, v0, v30
	v_readfirstlane_b32 s10, v8
	v_cndmask_b32_e32 v1, v26, v1, vcc
	v_lshl_add_u32 v26, v34, 2, 28
	v_cndmask_b32_e32 v0, v27, v0, vcc
	v_and_b32_e32 v26, 0x1e0, v26
	v_and_or_b32 v0, v0, s17, v26
	v_readfirstlane_b32 s11, v9
	s_nop 4
	global_store_dwordx4 v32, v[0:3], s[10:11]
	global_store_dwordx4 v32, v[12:15], s[10:11] offset:16
	global_store_dwordx4 v32, v[16:19], s[10:11] offset:32
	;; [unrolled: 1-line block ×3, first 2 shown]
	s_and_saveexec_b64 s[10:11], s[0:1]
	s_cbranch_execz .LBB1_102
; %bb.95:                               ;   in Loop: Header=BB1_30 Depth=1
	global_load_dwordx2 v[16:17], v33, s[2:3] offset:32 sc0 sc1
	global_load_dwordx2 v[0:1], v33, s[2:3] offset:40
	v_mov_b32_e32 v14, s6
	v_mov_b32_e32 v15, s7
	s_waitcnt vmcnt(0)
	v_readfirstlane_b32 s12, v0
	v_readfirstlane_b32 s13, v1
	s_and_b64 s[12:13], s[12:13], s[6:7]
	s_mul_i32 s13, s13, 24
	s_mul_hi_u32 s14, s12, 24
	s_mul_i32 s12, s12, 24
	s_add_i32 s13, s14, s13
	v_lshl_add_u64 v[12:13], v[24:25], 0, s[12:13]
	global_store_dwordx2 v[12:13], v[16:17], off
	buffer_wbl2 sc0 sc1
	s_waitcnt vmcnt(0)
	global_atomic_cmpswap_x2 v[2:3], v33, v[14:17], s[2:3] offset:32 sc0 sc1
	s_waitcnt vmcnt(0)
	v_cmp_ne_u64_e32 vcc, v[2:3], v[16:17]
	s_and_saveexec_b64 s[12:13], vcc
	s_cbranch_execz .LBB1_98
; %bb.96:                               ;   in Loop: Header=BB1_30 Depth=1
	s_mov_b64 s[14:15], 0
.LBB1_97:                               ;   Parent Loop BB1_30 Depth=1
                                        ; =>  This Inner Loop Header: Depth=2
	s_sleep 1
	global_store_dwordx2 v[12:13], v[2:3], off
	v_mov_b32_e32 v0, s6
	v_mov_b32_e32 v1, s7
	buffer_wbl2 sc0 sc1
	s_waitcnt vmcnt(0)
	global_atomic_cmpswap_x2 v[0:1], v33, v[0:3], s[2:3] offset:32 sc0 sc1
	s_waitcnt vmcnt(0)
	v_cmp_eq_u64_e32 vcc, v[0:1], v[2:3]
	s_or_b64 s[14:15], vcc, s[14:15]
	v_mov_b64_e32 v[2:3], v[0:1]
	s_andn2_b64 exec, exec, s[14:15]
	s_cbranch_execnz .LBB1_97
.LBB1_98:                               ;   in Loop: Header=BB1_30 Depth=1
	s_or_b64 exec, exec, s[12:13]
	global_load_dwordx2 v[0:1], v33, s[2:3] offset:16
	s_mov_b64 s[14:15], exec
	v_mbcnt_lo_u32_b32 v2, s14, 0
	v_mbcnt_hi_u32_b32 v2, s15, v2
	v_cmp_eq_u32_e32 vcc, 0, v2
	s_and_saveexec_b64 s[12:13], vcc
	s_cbranch_execz .LBB1_100
; %bb.99:                               ;   in Loop: Header=BB1_30 Depth=1
	s_bcnt1_i32_b64 s14, s[14:15]
	v_mov_b32_e32 v2, s14
	v_mov_b32_e32 v3, v33
	buffer_wbl2 sc0 sc1
	s_waitcnt vmcnt(0)
	global_atomic_add_x2 v[0:1], v[2:3], off offset:8 sc1
.LBB1_100:                              ;   in Loop: Header=BB1_30 Depth=1
	s_or_b64 exec, exec, s[12:13]
	s_waitcnt vmcnt(0)
	global_load_dwordx2 v[2:3], v[0:1], off offset:16
	s_waitcnt vmcnt(0)
	v_cmp_eq_u64_e32 vcc, 0, v[2:3]
	s_cbranch_vccnz .LBB1_102
; %bb.101:                              ;   in Loop: Header=BB1_30 Depth=1
	global_load_dword v0, v[0:1], off offset:24
	v_mov_b32_e32 v1, v33
	buffer_wbl2 sc0 sc1
	s_waitcnt vmcnt(0)
	global_store_dwordx2 v[2:3], v[0:1], off sc0 sc1
	v_and_b32_e32 v0, 0xffffff, v0
	s_nop 0
	v_readfirstlane_b32 m0, v0
	s_sendmsg sendmsg(MSG_INTERRUPT)
.LBB1_102:                              ;   in Loop: Header=BB1_30 Depth=1
	s_or_b64 exec, exec, s[10:11]
	v_lshl_add_u64 v[0:1], v[8:9], 0, v[32:33]
	s_branch .LBB1_106
.LBB1_103:                              ;   in Loop: Header=BB1_106 Depth=2
	s_or_b64 exec, exec, s[10:11]
	v_readfirstlane_b32 s10, v2
	s_cmp_eq_u32 s10, 0
	s_cbranch_scc1 .LBB1_105
; %bb.104:                              ;   in Loop: Header=BB1_106 Depth=2
	s_sleep 1
	s_cbranch_execnz .LBB1_106
	s_branch .LBB1_108
.LBB1_105:                              ;   in Loop: Header=BB1_30 Depth=1
	s_branch .LBB1_108
.LBB1_106:                              ;   Parent Loop BB1_30 Depth=1
                                        ; =>  This Inner Loop Header: Depth=2
	v_mov_b32_e32 v2, 1
	s_and_saveexec_b64 s[10:11], s[0:1]
	s_cbranch_execz .LBB1_103
; %bb.107:                              ;   in Loop: Header=BB1_106 Depth=2
	global_load_dword v2, v[36:37], off offset:20 sc0 sc1
	s_waitcnt vmcnt(0)
	buffer_inv sc0 sc1
	v_and_b32_e32 v2, 1, v2
	s_branch .LBB1_103
.LBB1_108:                              ;   in Loop: Header=BB1_30 Depth=1
	global_load_dwordx4 v[0:3], v[0:1], off
	s_and_saveexec_b64 s[10:11], s[0:1]
	s_cbranch_execz .LBB1_29
; %bb.109:                              ;   in Loop: Header=BB1_30 Depth=1
	global_load_dwordx2 v[2:3], v33, s[2:3] offset:40
	global_load_dwordx2 v[8:9], v33, s[2:3] offset:24 sc0 sc1
	global_load_dwordx2 v[16:17], v33, s[2:3]
	s_waitcnt vmcnt(2)
	v_lshl_add_u64 v[12:13], v[2:3], 0, 1
	v_lshl_add_u64 v[18:19], v[12:13], 0, s[6:7]
	v_cmp_eq_u64_e32 vcc, 0, v[18:19]
	s_waitcnt vmcnt(1)
	v_mov_b32_e32 v14, v8
	v_cndmask_b32_e32 v13, v19, v13, vcc
	v_cndmask_b32_e32 v12, v18, v12, vcc
	v_and_b32_e32 v3, v13, v3
	v_and_b32_e32 v2, v12, v2
	v_mul_lo_u32 v3, v3, 24
	v_mul_hi_u32 v15, v2, 24
	v_mul_lo_u32 v2, v2, 24
	v_add_u32_e32 v3, v15, v3
	s_waitcnt vmcnt(0)
	v_lshl_add_u64 v[2:3], v[16:17], 0, v[2:3]
	global_store_dwordx2 v[2:3], v[8:9], off
	v_mov_b32_e32 v15, v9
	buffer_wbl2 sc0 sc1
	s_waitcnt vmcnt(0)
	global_atomic_cmpswap_x2 v[14:15], v33, v[12:15], s[2:3] offset:24 sc0 sc1
	s_waitcnt vmcnt(0)
	v_cmp_ne_u64_e32 vcc, v[14:15], v[8:9]
	s_and_b64 exec, exec, vcc
	s_cbranch_execz .LBB1_29
; %bb.110:                              ;   in Loop: Header=BB1_30 Depth=1
	s_mov_b64 s[0:1], 0
.LBB1_111:                              ;   Parent Loop BB1_30 Depth=1
                                        ; =>  This Inner Loop Header: Depth=2
	s_sleep 1
	global_store_dwordx2 v[2:3], v[14:15], off
	buffer_wbl2 sc0 sc1
	s_waitcnt vmcnt(0)
	global_atomic_cmpswap_x2 v[8:9], v33, v[12:15], s[2:3] offset:24 sc0 sc1
	s_waitcnt vmcnt(0)
	v_cmp_eq_u64_e32 vcc, v[8:9], v[14:15]
	s_or_b64 s[0:1], vcc, s[0:1]
	v_mov_b64_e32 v[14:15], v[8:9]
	s_andn2_b64 exec, exec, s[0:1]
	s_cbranch_execnz .LBB1_111
	s_branch .LBB1_29
.LBB1_112:
                                        ; implicit-def: $vgpr0_vgpr1
	s_cbranch_execnz .LBB1_114
	s_branch .LBB1_140
.LBB1_113:
	s_or_b64 exec, exec, s[4:5]
	s_branch .LBB1_140
.LBB1_114:
	v_readfirstlane_b32 s0, v38
	v_mov_b64_e32 v[8:9], 0
	s_nop 0
	v_cmp_eq_u32_e64 s[0:1], s0, v38
	s_and_saveexec_b64 s[4:5], s[0:1]
	s_cbranch_execz .LBB1_120
; %bb.115:
	s_waitcnt vmcnt(0)
	v_mov_b32_e32 v0, 0
	global_load_dwordx2 v[10:11], v0, s[2:3] offset:24 sc0 sc1
	s_waitcnt vmcnt(0)
	buffer_inv sc0 sc1
	global_load_dwordx2 v[2:3], v0, s[2:3] offset:40
	global_load_dwordx2 v[8:9], v0, s[2:3]
	s_waitcnt vmcnt(1)
	v_and_b32_e32 v1, v2, v10
	v_and_b32_e32 v2, v3, v11
	v_mul_lo_u32 v2, v2, 24
	v_mul_hi_u32 v3, v1, 24
	v_add_u32_e32 v3, v3, v2
	v_mul_lo_u32 v2, v1, 24
	s_waitcnt vmcnt(0)
	v_lshl_add_u64 v[2:3], v[8:9], 0, v[2:3]
	global_load_dwordx2 v[8:9], v[2:3], off sc0 sc1
	s_waitcnt vmcnt(0)
	global_atomic_cmpswap_x2 v[8:9], v0, v[8:11], s[2:3] offset:24 sc0 sc1
	s_waitcnt vmcnt(0)
	buffer_inv sc0 sc1
	v_cmp_ne_u64_e32 vcc, v[8:9], v[10:11]
	s_and_saveexec_b64 s[6:7], vcc
	s_cbranch_execz .LBB1_119
; %bb.116:
	s_mov_b64 s[10:11], 0
.LBB1_117:                              ; =>This Inner Loop Header: Depth=1
	s_sleep 1
	global_load_dwordx2 v[2:3], v0, s[2:3] offset:40
	global_load_dwordx2 v[12:13], v0, s[2:3]
	v_mov_b64_e32 v[10:11], v[8:9]
	s_waitcnt vmcnt(1)
	v_and_b32_e32 v2, v2, v10
	v_and_b32_e32 v1, v3, v11
	s_waitcnt vmcnt(0)
	v_mad_u64_u32 v[2:3], s[12:13], v2, 24, v[12:13]
	v_mov_b32_e32 v8, v3
	v_mad_u64_u32 v[8:9], s[12:13], v1, 24, v[8:9]
	v_mov_b32_e32 v3, v8
	global_load_dwordx2 v[8:9], v[2:3], off sc0 sc1
	s_waitcnt vmcnt(0)
	global_atomic_cmpswap_x2 v[8:9], v0, v[8:11], s[2:3] offset:24 sc0 sc1
	s_waitcnt vmcnt(0)
	buffer_inv sc0 sc1
	v_cmp_eq_u64_e32 vcc, v[8:9], v[10:11]
	s_or_b64 s[10:11], vcc, s[10:11]
	s_andn2_b64 exec, exec, s[10:11]
	s_cbranch_execnz .LBB1_117
; %bb.118:
	s_or_b64 exec, exec, s[10:11]
.LBB1_119:
	s_or_b64 exec, exec, s[6:7]
.LBB1_120:
	s_or_b64 exec, exec, s[4:5]
	v_mov_b32_e32 v33, 0
	global_load_dwordx2 v[10:11], v33, s[2:3] offset:40
	global_load_dwordx4 v[0:3], v33, s[2:3]
	v_readfirstlane_b32 s4, v8
	v_readfirstlane_b32 s5, v9
	s_mov_b64 s[6:7], exec
	s_waitcnt vmcnt(1)
	v_readfirstlane_b32 s10, v10
	v_readfirstlane_b32 s11, v11
	s_and_b64 s[10:11], s[4:5], s[10:11]
	s_mul_i32 s12, s11, 24
	s_mul_hi_u32 s13, s10, 24
	s_add_i32 s13, s13, s12
	s_mul_i32 s12, s10, 24
	s_waitcnt vmcnt(0)
	v_lshl_add_u64 v[10:11], v[0:1], 0, s[12:13]
	s_and_saveexec_b64 s[12:13], s[0:1]
	s_cbranch_execz .LBB1_122
; %bb.121:
	v_mov_b64_e32 v[12:13], s[6:7]
	v_mov_b32_e32 v14, 2
	v_mov_b32_e32 v15, 1
	global_store_dwordx4 v[10:11], v[12:15], off offset:8
.LBB1_122:
	s_or_b64 exec, exec, s[12:13]
	s_lshl_b64 s[6:7], s[10:11], 12
	v_lshl_add_u64 v[12:13], v[2:3], 0, s[6:7]
	s_movk_i32 s6, 0xff1f
	s_mov_b32 s12, 0
	v_and_or_b32 v6, v6, s6, 32
	v_mov_b32_e32 v8, v33
	v_mov_b32_e32 v9, v33
	v_readfirstlane_b32 s6, v12
	v_readfirstlane_b32 s7, v13
	s_mov_b32 s13, s12
	s_mov_b32 s14, s12
	;; [unrolled: 1-line block ×3, first 2 shown]
	s_nop 1
	global_store_dwordx4 v32, v[6:9], s[6:7]
	s_nop 1
	v_mov_b64_e32 v[6:7], s[12:13]
	v_mov_b64_e32 v[8:9], s[14:15]
	global_store_dwordx4 v32, v[6:9], s[6:7] offset:16
	global_store_dwordx4 v32, v[6:9], s[6:7] offset:32
	;; [unrolled: 1-line block ×3, first 2 shown]
	s_and_saveexec_b64 s[6:7], s[0:1]
	s_cbranch_execz .LBB1_130
; %bb.123:
	v_mov_b32_e32 v8, 0
	global_load_dwordx2 v[16:17], v8, s[2:3] offset:32 sc0 sc1
	global_load_dwordx2 v[2:3], v8, s[2:3] offset:40
	v_mov_b32_e32 v14, s4
	v_mov_b32_e32 v15, s5
	s_waitcnt vmcnt(0)
	v_readfirstlane_b32 s10, v2
	v_readfirstlane_b32 s11, v3
	s_and_b64 s[10:11], s[10:11], s[4:5]
	s_mul_i32 s11, s11, 24
	s_mul_hi_u32 s12, s10, 24
	s_mul_i32 s10, s10, 24
	s_add_i32 s11, s12, s11
	v_lshl_add_u64 v[6:7], v[0:1], 0, s[10:11]
	global_store_dwordx2 v[6:7], v[16:17], off
	buffer_wbl2 sc0 sc1
	s_waitcnt vmcnt(0)
	global_atomic_cmpswap_x2 v[2:3], v8, v[14:17], s[2:3] offset:32 sc0 sc1
	s_waitcnt vmcnt(0)
	v_cmp_ne_u64_e32 vcc, v[2:3], v[16:17]
	s_and_saveexec_b64 s[10:11], vcc
	s_cbranch_execz .LBB1_126
; %bb.124:
	s_mov_b64 s[12:13], 0
.LBB1_125:                              ; =>This Inner Loop Header: Depth=1
	s_sleep 1
	global_store_dwordx2 v[6:7], v[2:3], off
	v_mov_b32_e32 v0, s4
	v_mov_b32_e32 v1, s5
	buffer_wbl2 sc0 sc1
	s_waitcnt vmcnt(0)
	global_atomic_cmpswap_x2 v[0:1], v8, v[0:3], s[2:3] offset:32 sc0 sc1
	s_waitcnt vmcnt(0)
	v_cmp_eq_u64_e32 vcc, v[0:1], v[2:3]
	s_or_b64 s[12:13], vcc, s[12:13]
	v_mov_b64_e32 v[2:3], v[0:1]
	s_andn2_b64 exec, exec, s[12:13]
	s_cbranch_execnz .LBB1_125
.LBB1_126:
	s_or_b64 exec, exec, s[10:11]
	v_mov_b32_e32 v3, 0
	global_load_dwordx2 v[0:1], v3, s[2:3] offset:16
	s_mov_b64 s[10:11], exec
	v_mbcnt_lo_u32_b32 v2, s10, 0
	v_mbcnt_hi_u32_b32 v2, s11, v2
	v_cmp_eq_u32_e32 vcc, 0, v2
	s_and_saveexec_b64 s[12:13], vcc
	s_cbranch_execz .LBB1_128
; %bb.127:
	s_bcnt1_i32_b64 s10, s[10:11]
	v_mov_b32_e32 v2, s10
	buffer_wbl2 sc0 sc1
	s_waitcnt vmcnt(0)
	global_atomic_add_x2 v[0:1], v[2:3], off offset:8 sc1
.LBB1_128:
	s_or_b64 exec, exec, s[12:13]
	s_waitcnt vmcnt(0)
	global_load_dwordx2 v[2:3], v[0:1], off offset:16
	s_waitcnt vmcnt(0)
	v_cmp_eq_u64_e32 vcc, 0, v[2:3]
	s_cbranch_vccnz .LBB1_130
; %bb.129:
	global_load_dword v0, v[0:1], off offset:24
	v_mov_b32_e32 v1, 0
	buffer_wbl2 sc0 sc1
	s_waitcnt vmcnt(0)
	global_store_dwordx2 v[2:3], v[0:1], off sc0 sc1
	v_and_b32_e32 v0, 0xffffff, v0
	s_nop 0
	v_readfirstlane_b32 m0, v0
	s_sendmsg sendmsg(MSG_INTERRUPT)
.LBB1_130:
	s_or_b64 exec, exec, s[6:7]
	v_lshl_add_u64 v[0:1], v[12:13], 0, v[32:33]
	s_branch .LBB1_134
.LBB1_131:                              ;   in Loop: Header=BB1_134 Depth=1
	s_or_b64 exec, exec, s[6:7]
	v_readfirstlane_b32 s6, v2
	s_cmp_eq_u32 s6, 0
	s_cbranch_scc1 .LBB1_133
; %bb.132:                              ;   in Loop: Header=BB1_134 Depth=1
	s_sleep 1
	s_cbranch_execnz .LBB1_134
	s_branch .LBB1_136
.LBB1_133:
	s_branch .LBB1_136
.LBB1_134:                              ; =>This Inner Loop Header: Depth=1
	v_mov_b32_e32 v2, 1
	s_and_saveexec_b64 s[6:7], s[0:1]
	s_cbranch_execz .LBB1_131
; %bb.135:                              ;   in Loop: Header=BB1_134 Depth=1
	global_load_dword v2, v[10:11], off offset:20 sc0 sc1
	s_waitcnt vmcnt(0)
	buffer_inv sc0 sc1
	v_and_b32_e32 v2, 1, v2
	s_branch .LBB1_131
.LBB1_136:
	global_load_dwordx2 v[0:1], v[0:1], off
	s_and_saveexec_b64 s[6:7], s[0:1]
	s_cbranch_execz .LBB1_139
; %bb.137:
	v_mov_b32_e32 v10, 0
	global_load_dwordx2 v[2:3], v10, s[2:3] offset:40
	global_load_dwordx2 v[12:13], v10, s[2:3] offset:24 sc0 sc1
	global_load_dwordx2 v[14:15], v10, s[2:3]
	s_mov_b64 s[0:1], 0
	s_waitcnt vmcnt(2)
	v_lshl_add_u64 v[6:7], v[2:3], 0, 1
	v_lshl_add_u64 v[16:17], v[6:7], 0, s[4:5]
	v_cmp_eq_u64_e32 vcc, 0, v[16:17]
	s_waitcnt vmcnt(1)
	v_mov_b32_e32 v8, v12
	v_cndmask_b32_e32 v7, v17, v7, vcc
	v_cndmask_b32_e32 v6, v16, v6, vcc
	v_and_b32_e32 v3, v7, v3
	v_and_b32_e32 v2, v6, v2
	v_mul_lo_u32 v3, v3, 24
	v_mul_hi_u32 v9, v2, 24
	v_mul_lo_u32 v2, v2, 24
	v_add_u32_e32 v3, v9, v3
	s_waitcnt vmcnt(0)
	v_lshl_add_u64 v[2:3], v[14:15], 0, v[2:3]
	global_store_dwordx2 v[2:3], v[12:13], off
	v_mov_b32_e32 v9, v13
	buffer_wbl2 sc0 sc1
	s_waitcnt vmcnt(0)
	global_atomic_cmpswap_x2 v[8:9], v10, v[6:9], s[2:3] offset:24 sc0 sc1
	s_waitcnt vmcnt(0)
	v_cmp_ne_u64_e32 vcc, v[8:9], v[12:13]
	s_and_b64 exec, exec, vcc
	s_cbranch_execz .LBB1_139
.LBB1_138:                              ; =>This Inner Loop Header: Depth=1
	s_sleep 1
	global_store_dwordx2 v[2:3], v[8:9], off
	buffer_wbl2 sc0 sc1
	s_waitcnt vmcnt(0)
	global_atomic_cmpswap_x2 v[12:13], v10, v[6:9], s[2:3] offset:24 sc0 sc1
	s_waitcnt vmcnt(0)
	v_cmp_eq_u64_e32 vcc, v[12:13], v[8:9]
	s_or_b64 s[0:1], vcc, s[0:1]
	v_mov_b64_e32 v[8:9], v[12:13]
	s_andn2_b64 exec, exec, s[0:1]
	s_cbranch_execnz .LBB1_138
.LBB1_139:
	s_or_b64 exec, exec, s[6:7]
.LBB1_140:
	s_getpc_b64 s[4:5]
	s_add_u32 s4, s4, .str.2@rel32@lo+4
	s_addc_u32 s5, s5, .str.2@rel32@hi+12
	s_cmp_lg_u64 s[4:5], 0
	s_cbranch_scc0 .LBB1_224
; %bb.141:
	s_getpc_b64 s[0:1]
	s_add_u32 s0, s0, .str.2@rel32@lo+80
	s_addc_u32 s1, s1, .str.2@rel32@hi+88
	s_sub_i32 s6, s0, s4
	s_ashr_i32 s7, s6, 31
	s_waitcnt vmcnt(0)
	v_and_b32_e32 v2, 2, v0
	v_mov_b32_e32 v35, 0
	v_and_b32_e32 v6, -3, v0
	v_mov_b32_e32 v7, v1
	v_mov_b32_e32 v10, 2
	v_mov_b32_e32 v11, 1
	s_branch .LBB1_143
.LBB1_142:                              ;   in Loop: Header=BB1_143 Depth=1
	s_or_b64 exec, exec, s[14:15]
	s_sub_u32 s6, s6, s10
	s_subb_u32 s7, s7, s11
	s_add_u32 s4, s4, s10
	s_addc_u32 s5, s5, s11
	s_cmp_lg_u64 s[6:7], 0
	s_cbranch_scc0 .LBB1_225
.LBB1_143:                              ; =>This Loop Header: Depth=1
                                        ;     Child Loop BB1_146 Depth 2
                                        ;     Child Loop BB1_153 Depth 2
	;; [unrolled: 1-line block ×11, first 2 shown]
	v_cmp_lt_u64_e64 s[0:1], s[6:7], 56
	s_and_b64 s[0:1], s[0:1], exec
	v_cmp_gt_u64_e64 s[0:1], s[6:7], 7
	s_cselect_b32 s11, s7, 0
	s_cselect_b32 s10, s6, 56
	s_and_b64 vcc, exec, s[0:1]
	s_cbranch_vccnz .LBB1_148
; %bb.144:                              ;   in Loop: Header=BB1_143 Depth=1
	s_mov_b64 s[0:1], 0
	s_cmp_eq_u64 s[6:7], 0
	v_mov_b64_e32 v[14:15], 0
	s_cbranch_scc1 .LBB1_147
; %bb.145:                              ;   in Loop: Header=BB1_143 Depth=1
	s_lshl_b64 s[12:13], s[10:11], 3
	s_mov_b64 s[14:15], 0
	v_mov_b64_e32 v[14:15], 0
	s_mov_b64 s[16:17], s[4:5]
.LBB1_146:                              ;   Parent Loop BB1_143 Depth=1
                                        ; =>  This Inner Loop Header: Depth=2
	global_load_ubyte v3, v35, s[16:17]
	s_waitcnt vmcnt(0)
	v_and_b32_e32 v34, 0xffff, v3
	v_lshlrev_b64 v[8:9], s14, v[34:35]
	s_add_u32 s14, s14, 8
	s_addc_u32 s15, s15, 0
	s_add_u32 s16, s16, 1
	s_addc_u32 s17, s17, 0
	v_or_b32_e32 v14, v8, v14
	s_cmp_lg_u32 s12, s14
	v_or_b32_e32 v15, v9, v15
	s_cbranch_scc1 .LBB1_146
.LBB1_147:                              ;   in Loop: Header=BB1_143 Depth=1
	s_mov_b32 s16, 0
	s_andn2_b64 vcc, exec, s[0:1]
	s_mov_b64 s[0:1], s[4:5]
	s_cbranch_vccz .LBB1_149
	s_branch .LBB1_150
.LBB1_148:                              ;   in Loop: Header=BB1_143 Depth=1
                                        ; implicit-def: $vgpr14_vgpr15
                                        ; implicit-def: $sgpr16
	s_mov_b64 s[0:1], s[4:5]
.LBB1_149:                              ;   in Loop: Header=BB1_143 Depth=1
	global_load_dwordx2 v[14:15], v35, s[4:5]
	s_add_i32 s16, s10, -8
	s_add_u32 s0, s4, 8
	s_addc_u32 s1, s5, 0
.LBB1_150:                              ;   in Loop: Header=BB1_143 Depth=1
	s_cmp_gt_u32 s16, 7
	s_cbranch_scc1 .LBB1_154
; %bb.151:                              ;   in Loop: Header=BB1_143 Depth=1
	s_cmp_eq_u32 s16, 0
	s_cbranch_scc1 .LBB1_155
; %bb.152:                              ;   in Loop: Header=BB1_143 Depth=1
	s_mov_b64 s[12:13], 0
	v_mov_b64_e32 v[16:17], 0
	s_mov_b64 s[14:15], 0
.LBB1_153:                              ;   Parent Loop BB1_143 Depth=1
                                        ; =>  This Inner Loop Header: Depth=2
	s_add_u32 s18, s0, s14
	s_addc_u32 s19, s1, s15
	global_load_ubyte v3, v35, s[18:19]
	s_add_u32 s14, s14, 1
	s_addc_u32 s15, s15, 0
	s_waitcnt vmcnt(0)
	v_and_b32_e32 v34, 0xffff, v3
	v_lshlrev_b64 v[8:9], s12, v[34:35]
	s_add_u32 s12, s12, 8
	s_addc_u32 s13, s13, 0
	v_or_b32_e32 v16, v8, v16
	s_cmp_lg_u32 s16, s14
	v_or_b32_e32 v17, v9, v17
	s_cbranch_scc1 .LBB1_153
	s_branch .LBB1_156
.LBB1_154:                              ;   in Loop: Header=BB1_143 Depth=1
                                        ; implicit-def: $vgpr16_vgpr17
                                        ; implicit-def: $sgpr17
	s_branch .LBB1_157
.LBB1_155:                              ;   in Loop: Header=BB1_143 Depth=1
	v_mov_b64_e32 v[16:17], 0
.LBB1_156:                              ;   in Loop: Header=BB1_143 Depth=1
	s_mov_b32 s17, 0
	s_cbranch_execnz .LBB1_158
.LBB1_157:                              ;   in Loop: Header=BB1_143 Depth=1
	global_load_dwordx2 v[16:17], v35, s[0:1]
	s_add_i32 s17, s16, -8
	s_add_u32 s0, s0, 8
	s_addc_u32 s1, s1, 0
.LBB1_158:                              ;   in Loop: Header=BB1_143 Depth=1
	s_cmp_gt_u32 s17, 7
	s_cbranch_scc1 .LBB1_162
; %bb.159:                              ;   in Loop: Header=BB1_143 Depth=1
	s_cmp_eq_u32 s17, 0
	s_cbranch_scc1 .LBB1_163
; %bb.160:                              ;   in Loop: Header=BB1_143 Depth=1
	s_mov_b64 s[12:13], 0
	v_mov_b64_e32 v[18:19], 0
	s_mov_b64 s[14:15], 0
.LBB1_161:                              ;   Parent Loop BB1_143 Depth=1
                                        ; =>  This Inner Loop Header: Depth=2
	s_add_u32 s18, s0, s14
	s_addc_u32 s19, s1, s15
	global_load_ubyte v3, v35, s[18:19]
	s_add_u32 s14, s14, 1
	s_addc_u32 s15, s15, 0
	s_waitcnt vmcnt(0)
	v_and_b32_e32 v34, 0xffff, v3
	v_lshlrev_b64 v[8:9], s12, v[34:35]
	s_add_u32 s12, s12, 8
	s_addc_u32 s13, s13, 0
	v_or_b32_e32 v18, v8, v18
	s_cmp_lg_u32 s17, s14
	v_or_b32_e32 v19, v9, v19
	s_cbranch_scc1 .LBB1_161
	s_branch .LBB1_164
.LBB1_162:                              ;   in Loop: Header=BB1_143 Depth=1
                                        ; implicit-def: $sgpr16
	s_branch .LBB1_165
.LBB1_163:                              ;   in Loop: Header=BB1_143 Depth=1
	v_mov_b64_e32 v[18:19], 0
.LBB1_164:                              ;   in Loop: Header=BB1_143 Depth=1
	s_mov_b32 s16, 0
	s_cbranch_execnz .LBB1_166
.LBB1_165:                              ;   in Loop: Header=BB1_143 Depth=1
	global_load_dwordx2 v[18:19], v35, s[0:1]
	s_add_i32 s16, s17, -8
	s_add_u32 s0, s0, 8
	s_addc_u32 s1, s1, 0
.LBB1_166:                              ;   in Loop: Header=BB1_143 Depth=1
	s_cmp_gt_u32 s16, 7
	s_cbranch_scc1 .LBB1_170
; %bb.167:                              ;   in Loop: Header=BB1_143 Depth=1
	s_cmp_eq_u32 s16, 0
	s_cbranch_scc1 .LBB1_171
; %bb.168:                              ;   in Loop: Header=BB1_143 Depth=1
	s_mov_b64 s[12:13], 0
	v_mov_b64_e32 v[20:21], 0
	s_mov_b64 s[14:15], 0
.LBB1_169:                              ;   Parent Loop BB1_143 Depth=1
                                        ; =>  This Inner Loop Header: Depth=2
	s_add_u32 s18, s0, s14
	s_addc_u32 s19, s1, s15
	global_load_ubyte v3, v35, s[18:19]
	s_add_u32 s14, s14, 1
	s_addc_u32 s15, s15, 0
	s_waitcnt vmcnt(0)
	v_and_b32_e32 v34, 0xffff, v3
	v_lshlrev_b64 v[8:9], s12, v[34:35]
	s_add_u32 s12, s12, 8
	s_addc_u32 s13, s13, 0
	v_or_b32_e32 v20, v8, v20
	s_cmp_lg_u32 s16, s14
	v_or_b32_e32 v21, v9, v21
	s_cbranch_scc1 .LBB1_169
	s_branch .LBB1_172
.LBB1_170:                              ;   in Loop: Header=BB1_143 Depth=1
                                        ; implicit-def: $vgpr20_vgpr21
                                        ; implicit-def: $sgpr17
	s_branch .LBB1_173
.LBB1_171:                              ;   in Loop: Header=BB1_143 Depth=1
	v_mov_b64_e32 v[20:21], 0
.LBB1_172:                              ;   in Loop: Header=BB1_143 Depth=1
	s_mov_b32 s17, 0
	s_cbranch_execnz .LBB1_174
.LBB1_173:                              ;   in Loop: Header=BB1_143 Depth=1
	global_load_dwordx2 v[20:21], v35, s[0:1]
	s_add_i32 s17, s16, -8
	s_add_u32 s0, s0, 8
	s_addc_u32 s1, s1, 0
.LBB1_174:                              ;   in Loop: Header=BB1_143 Depth=1
	s_cmp_gt_u32 s17, 7
	s_cbranch_scc1 .LBB1_178
; %bb.175:                              ;   in Loop: Header=BB1_143 Depth=1
	s_cmp_eq_u32 s17, 0
	s_cbranch_scc1 .LBB1_179
; %bb.176:                              ;   in Loop: Header=BB1_143 Depth=1
	s_mov_b64 s[12:13], 0
	v_mov_b64_e32 v[22:23], 0
	s_mov_b64 s[14:15], 0
.LBB1_177:                              ;   Parent Loop BB1_143 Depth=1
                                        ; =>  This Inner Loop Header: Depth=2
	s_add_u32 s18, s0, s14
	s_addc_u32 s19, s1, s15
	global_load_ubyte v3, v35, s[18:19]
	s_add_u32 s14, s14, 1
	s_addc_u32 s15, s15, 0
	s_waitcnt vmcnt(0)
	v_and_b32_e32 v34, 0xffff, v3
	v_lshlrev_b64 v[8:9], s12, v[34:35]
	s_add_u32 s12, s12, 8
	s_addc_u32 s13, s13, 0
	v_or_b32_e32 v22, v8, v22
	s_cmp_lg_u32 s17, s14
	v_or_b32_e32 v23, v9, v23
	s_cbranch_scc1 .LBB1_177
	s_branch .LBB1_180
.LBB1_178:                              ;   in Loop: Header=BB1_143 Depth=1
                                        ; implicit-def: $sgpr16
	s_branch .LBB1_181
.LBB1_179:                              ;   in Loop: Header=BB1_143 Depth=1
	v_mov_b64_e32 v[22:23], 0
.LBB1_180:                              ;   in Loop: Header=BB1_143 Depth=1
	s_mov_b32 s16, 0
	s_cbranch_execnz .LBB1_182
.LBB1_181:                              ;   in Loop: Header=BB1_143 Depth=1
	global_load_dwordx2 v[22:23], v35, s[0:1]
	s_add_i32 s16, s17, -8
	s_add_u32 s0, s0, 8
	s_addc_u32 s1, s1, 0
.LBB1_182:                              ;   in Loop: Header=BB1_143 Depth=1
	s_cmp_gt_u32 s16, 7
	s_cbranch_scc1 .LBB1_186
; %bb.183:                              ;   in Loop: Header=BB1_143 Depth=1
	s_cmp_eq_u32 s16, 0
	s_cbranch_scc1 .LBB1_187
; %bb.184:                              ;   in Loop: Header=BB1_143 Depth=1
	s_mov_b64 s[12:13], 0
	v_mov_b64_e32 v[24:25], 0
	s_mov_b64 s[14:15], 0
.LBB1_185:                              ;   Parent Loop BB1_143 Depth=1
                                        ; =>  This Inner Loop Header: Depth=2
	s_add_u32 s18, s0, s14
	s_addc_u32 s19, s1, s15
	global_load_ubyte v3, v35, s[18:19]
	s_add_u32 s14, s14, 1
	s_addc_u32 s15, s15, 0
	s_waitcnt vmcnt(0)
	v_and_b32_e32 v34, 0xffff, v3
	v_lshlrev_b64 v[8:9], s12, v[34:35]
	s_add_u32 s12, s12, 8
	s_addc_u32 s13, s13, 0
	v_or_b32_e32 v24, v8, v24
	s_cmp_lg_u32 s16, s14
	v_or_b32_e32 v25, v9, v25
	s_cbranch_scc1 .LBB1_185
	s_branch .LBB1_188
.LBB1_186:                              ;   in Loop: Header=BB1_143 Depth=1
                                        ; implicit-def: $vgpr24_vgpr25
                                        ; implicit-def: $sgpr17
	s_branch .LBB1_189
.LBB1_187:                              ;   in Loop: Header=BB1_143 Depth=1
	v_mov_b64_e32 v[24:25], 0
.LBB1_188:                              ;   in Loop: Header=BB1_143 Depth=1
	s_mov_b32 s17, 0
	s_cbranch_execnz .LBB1_190
.LBB1_189:                              ;   in Loop: Header=BB1_143 Depth=1
	global_load_dwordx2 v[24:25], v35, s[0:1]
	s_add_i32 s17, s16, -8
	s_add_u32 s0, s0, 8
	s_addc_u32 s1, s1, 0
.LBB1_190:                              ;   in Loop: Header=BB1_143 Depth=1
	s_cmp_gt_u32 s17, 7
	s_cbranch_scc1 .LBB1_194
; %bb.191:                              ;   in Loop: Header=BB1_143 Depth=1
	s_cmp_eq_u32 s17, 0
	s_cbranch_scc1 .LBB1_195
; %bb.192:                              ;   in Loop: Header=BB1_143 Depth=1
	s_mov_b64 s[12:13], 0
	v_mov_b64_e32 v[26:27], 0
	s_mov_b64 s[14:15], s[0:1]
.LBB1_193:                              ;   Parent Loop BB1_143 Depth=1
                                        ; =>  This Inner Loop Header: Depth=2
	global_load_ubyte v3, v35, s[14:15]
	s_add_i32 s17, s17, -1
	s_waitcnt vmcnt(0)
	v_and_b32_e32 v34, 0xffff, v3
	v_lshlrev_b64 v[8:9], s12, v[34:35]
	s_add_u32 s12, s12, 8
	s_addc_u32 s13, s13, 0
	s_add_u32 s14, s14, 1
	s_addc_u32 s15, s15, 0
	v_or_b32_e32 v26, v8, v26
	s_cmp_lg_u32 s17, 0
	v_or_b32_e32 v27, v9, v27
	s_cbranch_scc1 .LBB1_193
	s_branch .LBB1_196
.LBB1_194:                              ;   in Loop: Header=BB1_143 Depth=1
	s_branch .LBB1_197
.LBB1_195:                              ;   in Loop: Header=BB1_143 Depth=1
	v_mov_b64_e32 v[26:27], 0
.LBB1_196:                              ;   in Loop: Header=BB1_143 Depth=1
	s_cbranch_execnz .LBB1_198
.LBB1_197:                              ;   in Loop: Header=BB1_143 Depth=1
	global_load_dwordx2 v[26:27], v35, s[0:1]
.LBB1_198:                              ;   in Loop: Header=BB1_143 Depth=1
	v_readfirstlane_b32 s0, v38
	s_waitcnt vmcnt(0)
	v_mov_b64_e32 v[8:9], 0
	v_cmp_eq_u32_e64 s[0:1], s0, v38
	s_and_saveexec_b64 s[12:13], s[0:1]
	s_cbranch_execz .LBB1_204
; %bb.199:                              ;   in Loop: Header=BB1_143 Depth=1
	global_load_dwordx2 v[30:31], v35, s[2:3] offset:24 sc0 sc1
	s_waitcnt vmcnt(0)
	buffer_inv sc0 sc1
	global_load_dwordx2 v[8:9], v35, s[2:3] offset:40
	global_load_dwordx2 v[12:13], v35, s[2:3]
	s_waitcnt vmcnt(1)
	v_and_b32_e32 v3, v8, v30
	v_and_b32_e32 v8, v9, v31
	v_mul_lo_u32 v8, v8, 24
	v_mul_hi_u32 v9, v3, 24
	v_add_u32_e32 v9, v9, v8
	v_mul_lo_u32 v8, v3, 24
	s_waitcnt vmcnt(0)
	v_lshl_add_u64 v[8:9], v[12:13], 0, v[8:9]
	global_load_dwordx2 v[28:29], v[8:9], off sc0 sc1
	s_waitcnt vmcnt(0)
	global_atomic_cmpswap_x2 v[8:9], v35, v[28:31], s[2:3] offset:24 sc0 sc1
	s_waitcnt vmcnt(0)
	buffer_inv sc0 sc1
	v_cmp_ne_u64_e32 vcc, v[8:9], v[30:31]
	s_and_saveexec_b64 s[14:15], vcc
	s_cbranch_execz .LBB1_203
; %bb.200:                              ;   in Loop: Header=BB1_143 Depth=1
	s_mov_b64 s[16:17], 0
.LBB1_201:                              ;   Parent Loop BB1_143 Depth=1
                                        ; =>  This Inner Loop Header: Depth=2
	s_sleep 1
	global_load_dwordx2 v[12:13], v35, s[2:3] offset:40
	global_load_dwordx2 v[28:29], v35, s[2:3]
	v_mov_b64_e32 v[30:31], v[8:9]
	s_waitcnt vmcnt(1)
	v_and_b32_e32 v8, v12, v30
	s_waitcnt vmcnt(0)
	v_mad_u64_u32 v[8:9], s[18:19], v8, 24, v[28:29]
	v_and_b32_e32 v3, v13, v31
	v_mov_b32_e32 v12, v9
	v_mad_u64_u32 v[12:13], s[18:19], v3, 24, v[12:13]
	v_mov_b32_e32 v9, v12
	global_load_dwordx2 v[28:29], v[8:9], off sc0 sc1
	s_waitcnt vmcnt(0)
	global_atomic_cmpswap_x2 v[8:9], v35, v[28:31], s[2:3] offset:24 sc0 sc1
	s_waitcnt vmcnt(0)
	buffer_inv sc0 sc1
	v_cmp_eq_u64_e32 vcc, v[8:9], v[30:31]
	s_or_b64 s[16:17], vcc, s[16:17]
	s_andn2_b64 exec, exec, s[16:17]
	s_cbranch_execnz .LBB1_201
; %bb.202:                              ;   in Loop: Header=BB1_143 Depth=1
	s_or_b64 exec, exec, s[16:17]
.LBB1_203:                              ;   in Loop: Header=BB1_143 Depth=1
	s_or_b64 exec, exec, s[14:15]
.LBB1_204:                              ;   in Loop: Header=BB1_143 Depth=1
	s_or_b64 exec, exec, s[12:13]
	global_load_dwordx2 v[12:13], v35, s[2:3] offset:40
	global_load_dwordx4 v[28:31], v35, s[2:3]
	v_readfirstlane_b32 s12, v8
	v_readfirstlane_b32 s13, v9
	s_mov_b64 s[14:15], exec
	s_waitcnt vmcnt(1)
	v_readfirstlane_b32 s16, v12
	v_readfirstlane_b32 s17, v13
	s_and_b64 s[16:17], s[12:13], s[16:17]
	s_mul_i32 s18, s17, 24
	s_mul_hi_u32 s19, s16, 24
	s_add_i32 s19, s19, s18
	s_mul_i32 s18, s16, 24
	s_waitcnt vmcnt(0)
	v_lshl_add_u64 v[36:37], v[28:29], 0, s[18:19]
	s_and_saveexec_b64 s[18:19], s[0:1]
	s_cbranch_execz .LBB1_206
; %bb.205:                              ;   in Loop: Header=BB1_143 Depth=1
	v_mov_b64_e32 v[8:9], s[14:15]
	global_store_dwordx4 v[36:37], v[8:11], off offset:8
.LBB1_206:                              ;   in Loop: Header=BB1_143 Depth=1
	s_or_b64 exec, exec, s[18:19]
	s_lshl_b64 s[14:15], s[16:17], 12
	v_lshl_add_u64 v[30:31], v[30:31], 0, s[14:15]
	v_or_b32_e32 v3, 0, v7
	v_or_b32_e32 v8, v6, v2
	v_cmp_gt_u64_e64 vcc, s[6:7], 56
	s_lshl_b32 s14, s10, 2
	s_add_i32 s14, s14, 28
	v_cndmask_b32_e32 v13, v3, v7, vcc
	v_cndmask_b32_e32 v3, v8, v6, vcc
	s_and_b32 s14, s14, 0x1e0
	v_and_b32_e32 v3, 0xffffff1f, v3
	v_or_b32_e32 v12, s14, v3
	v_readfirstlane_b32 s14, v30
	v_readfirstlane_b32 s15, v31
	s_nop 4
	global_store_dwordx4 v32, v[12:15], s[14:15]
	global_store_dwordx4 v32, v[16:19], s[14:15] offset:16
	global_store_dwordx4 v32, v[20:23], s[14:15] offset:32
	;; [unrolled: 1-line block ×3, first 2 shown]
	s_and_saveexec_b64 s[14:15], s[0:1]
	s_cbranch_execz .LBB1_214
; %bb.207:                              ;   in Loop: Header=BB1_143 Depth=1
	global_load_dwordx2 v[16:17], v35, s[2:3] offset:32 sc0 sc1
	global_load_dwordx2 v[6:7], v35, s[2:3] offset:40
	v_mov_b32_e32 v14, s12
	v_mov_b32_e32 v15, s13
	s_waitcnt vmcnt(0)
	v_readfirstlane_b32 s16, v6
	v_readfirstlane_b32 s17, v7
	s_and_b64 s[16:17], s[16:17], s[12:13]
	s_mul_i32 s17, s17, 24
	s_mul_hi_u32 s18, s16, 24
	s_mul_i32 s16, s16, 24
	s_add_i32 s17, s18, s17
	v_lshl_add_u64 v[12:13], v[28:29], 0, s[16:17]
	global_store_dwordx2 v[12:13], v[16:17], off
	buffer_wbl2 sc0 sc1
	s_waitcnt vmcnt(0)
	global_atomic_cmpswap_x2 v[8:9], v35, v[14:17], s[2:3] offset:32 sc0 sc1
	s_waitcnt vmcnt(0)
	v_cmp_ne_u64_e32 vcc, v[8:9], v[16:17]
	s_and_saveexec_b64 s[16:17], vcc
	s_cbranch_execz .LBB1_210
; %bb.208:                              ;   in Loop: Header=BB1_143 Depth=1
	s_mov_b64 s[18:19], 0
.LBB1_209:                              ;   Parent Loop BB1_143 Depth=1
                                        ; =>  This Inner Loop Header: Depth=2
	s_sleep 1
	global_store_dwordx2 v[12:13], v[8:9], off
	v_mov_b32_e32 v6, s12
	v_mov_b32_e32 v7, s13
	buffer_wbl2 sc0 sc1
	s_waitcnt vmcnt(0)
	global_atomic_cmpswap_x2 v[6:7], v35, v[6:9], s[2:3] offset:32 sc0 sc1
	s_waitcnt vmcnt(0)
	v_cmp_eq_u64_e32 vcc, v[6:7], v[8:9]
	s_or_b64 s[18:19], vcc, s[18:19]
	v_mov_b64_e32 v[8:9], v[6:7]
	s_andn2_b64 exec, exec, s[18:19]
	s_cbranch_execnz .LBB1_209
.LBB1_210:                              ;   in Loop: Header=BB1_143 Depth=1
	s_or_b64 exec, exec, s[16:17]
	global_load_dwordx2 v[6:7], v35, s[2:3] offset:16
	s_mov_b64 s[18:19], exec
	v_mbcnt_lo_u32_b32 v3, s18, 0
	v_mbcnt_hi_u32_b32 v3, s19, v3
	v_cmp_eq_u32_e32 vcc, 0, v3
	s_and_saveexec_b64 s[16:17], vcc
	s_cbranch_execz .LBB1_212
; %bb.211:                              ;   in Loop: Header=BB1_143 Depth=1
	s_bcnt1_i32_b64 s18, s[18:19]
	v_mov_b32_e32 v34, s18
	buffer_wbl2 sc0 sc1
	s_waitcnt vmcnt(0)
	global_atomic_add_x2 v[6:7], v[34:35], off offset:8 sc1
.LBB1_212:                              ;   in Loop: Header=BB1_143 Depth=1
	s_or_b64 exec, exec, s[16:17]
	s_waitcnt vmcnt(0)
	global_load_dwordx2 v[8:9], v[6:7], off offset:16
	s_waitcnt vmcnt(0)
	v_cmp_eq_u64_e32 vcc, 0, v[8:9]
	s_cbranch_vccnz .LBB1_214
; %bb.213:                              ;   in Loop: Header=BB1_143 Depth=1
	global_load_dword v34, v[6:7], off offset:24
	s_waitcnt vmcnt(0)
	v_and_b32_e32 v3, 0xffffff, v34
	s_nop 0
	v_readfirstlane_b32 m0, v3
	buffer_wbl2 sc0 sc1
	global_store_dwordx2 v[8:9], v[34:35], off sc0 sc1
	s_sendmsg sendmsg(MSG_INTERRUPT)
.LBB1_214:                              ;   in Loop: Header=BB1_143 Depth=1
	s_or_b64 exec, exec, s[14:15]
	v_mov_b32_e32 v33, v35
	v_lshl_add_u64 v[6:7], v[30:31], 0, v[32:33]
	s_branch .LBB1_218
.LBB1_215:                              ;   in Loop: Header=BB1_218 Depth=2
	s_or_b64 exec, exec, s[14:15]
	v_readfirstlane_b32 s14, v3
	s_cmp_eq_u32 s14, 0
	s_cbranch_scc1 .LBB1_217
; %bb.216:                              ;   in Loop: Header=BB1_218 Depth=2
	s_sleep 1
	s_cbranch_execnz .LBB1_218
	s_branch .LBB1_220
.LBB1_217:                              ;   in Loop: Header=BB1_143 Depth=1
	s_branch .LBB1_220
.LBB1_218:                              ;   Parent Loop BB1_143 Depth=1
                                        ; =>  This Inner Loop Header: Depth=2
	v_mov_b32_e32 v3, 1
	s_and_saveexec_b64 s[14:15], s[0:1]
	s_cbranch_execz .LBB1_215
; %bb.219:                              ;   in Loop: Header=BB1_218 Depth=2
	global_load_dword v3, v[36:37], off offset:20 sc0 sc1
	s_waitcnt vmcnt(0)
	buffer_inv sc0 sc1
	v_and_b32_e32 v3, 1, v3
	s_branch .LBB1_215
.LBB1_220:                              ;   in Loop: Header=BB1_143 Depth=1
	global_load_dwordx4 v[6:9], v[6:7], off
	s_and_saveexec_b64 s[14:15], s[0:1]
	s_cbranch_execz .LBB1_142
; %bb.221:                              ;   in Loop: Header=BB1_143 Depth=1
	global_load_dwordx2 v[8:9], v35, s[2:3] offset:40
	global_load_dwordx2 v[16:17], v35, s[2:3] offset:24 sc0 sc1
	global_load_dwordx2 v[18:19], v35, s[2:3]
	s_waitcnt vmcnt(2)
	v_lshl_add_u64 v[12:13], v[8:9], 0, 1
	v_lshl_add_u64 v[20:21], v[12:13], 0, s[12:13]
	v_cmp_eq_u64_e32 vcc, 0, v[20:21]
	s_waitcnt vmcnt(1)
	v_mov_b32_e32 v14, v16
	v_mov_b32_e32 v15, v17
	v_cndmask_b32_e32 v13, v21, v13, vcc
	v_cndmask_b32_e32 v12, v20, v12, vcc
	v_and_b32_e32 v3, v13, v9
	v_and_b32_e32 v8, v12, v8
	v_mul_lo_u32 v3, v3, 24
	v_mul_hi_u32 v9, v8, 24
	v_mul_lo_u32 v8, v8, 24
	v_add_u32_e32 v9, v9, v3
	s_waitcnt vmcnt(0)
	v_lshl_add_u64 v[8:9], v[18:19], 0, v[8:9]
	global_store_dwordx2 v[8:9], v[16:17], off
	buffer_wbl2 sc0 sc1
	s_waitcnt vmcnt(0)
	global_atomic_cmpswap_x2 v[14:15], v35, v[12:15], s[2:3] offset:24 sc0 sc1
	s_waitcnt vmcnt(0)
	v_cmp_ne_u64_e32 vcc, v[14:15], v[16:17]
	s_and_b64 exec, exec, vcc
	s_cbranch_execz .LBB1_142
; %bb.222:                              ;   in Loop: Header=BB1_143 Depth=1
	s_mov_b64 s[0:1], 0
.LBB1_223:                              ;   Parent Loop BB1_143 Depth=1
                                        ; =>  This Inner Loop Header: Depth=2
	s_sleep 1
	global_store_dwordx2 v[8:9], v[14:15], off
	buffer_wbl2 sc0 sc1
	s_waitcnt vmcnt(0)
	global_atomic_cmpswap_x2 v[16:17], v35, v[12:15], s[2:3] offset:24 sc0 sc1
	s_waitcnt vmcnt(0)
	v_cmp_eq_u64_e32 vcc, v[16:17], v[14:15]
	s_or_b64 s[0:1], vcc, s[0:1]
	v_mov_b64_e32 v[14:15], v[16:17]
	s_andn2_b64 exec, exec, s[0:1]
	s_cbranch_execnz .LBB1_223
	s_branch .LBB1_142
.LBB1_224:
                                        ; implicit-def: $vgpr6_vgpr7
	s_cbranch_execnz .LBB1_226
	s_branch .LBB1_252
.LBB1_225:
	s_branch .LBB1_252
.LBB1_226:
	v_readfirstlane_b32 s0, v38
	s_waitcnt vmcnt(0)
	v_mov_b64_e32 v[2:3], 0
	v_cmp_eq_u32_e64 s[0:1], s0, v38
	s_and_saveexec_b64 s[4:5], s[0:1]
	s_cbranch_execz .LBB1_232
; %bb.227:
	v_mov_b32_e32 v6, 0
	global_load_dwordx2 v[10:11], v6, s[2:3] offset:24 sc0 sc1
	s_waitcnt vmcnt(0)
	buffer_inv sc0 sc1
	global_load_dwordx2 v[2:3], v6, s[2:3] offset:40
	global_load_dwordx2 v[8:9], v6, s[2:3]
	s_waitcnt vmcnt(1)
	v_and_b32_e32 v2, v2, v10
	v_and_b32_e32 v3, v3, v11
	v_mul_lo_u32 v3, v3, 24
	v_mul_hi_u32 v7, v2, 24
	v_add_u32_e32 v3, v7, v3
	v_mul_lo_u32 v2, v2, 24
	s_waitcnt vmcnt(0)
	v_lshl_add_u64 v[2:3], v[8:9], 0, v[2:3]
	global_load_dwordx2 v[8:9], v[2:3], off sc0 sc1
	s_waitcnt vmcnt(0)
	global_atomic_cmpswap_x2 v[2:3], v6, v[8:11], s[2:3] offset:24 sc0 sc1
	s_waitcnt vmcnt(0)
	buffer_inv sc0 sc1
	v_cmp_ne_u64_e32 vcc, v[2:3], v[10:11]
	s_and_saveexec_b64 s[6:7], vcc
	s_cbranch_execz .LBB1_231
; %bb.228:
	s_mov_b64 s[10:11], 0
.LBB1_229:                              ; =>This Inner Loop Header: Depth=1
	s_sleep 1
	global_load_dwordx2 v[8:9], v6, s[2:3] offset:40
	global_load_dwordx2 v[12:13], v6, s[2:3]
	v_mov_b64_e32 v[10:11], v[2:3]
	s_waitcnt vmcnt(1)
	v_and_b32_e32 v2, v8, v10
	s_waitcnt vmcnt(0)
	v_mad_u64_u32 v[2:3], s[12:13], v2, 24, v[12:13]
	v_and_b32_e32 v7, v9, v11
	v_mov_b32_e32 v8, v3
	v_mad_u64_u32 v[8:9], s[12:13], v7, 24, v[8:9]
	v_mov_b32_e32 v3, v8
	global_load_dwordx2 v[8:9], v[2:3], off sc0 sc1
	s_waitcnt vmcnt(0)
	global_atomic_cmpswap_x2 v[2:3], v6, v[8:11], s[2:3] offset:24 sc0 sc1
	s_waitcnt vmcnt(0)
	buffer_inv sc0 sc1
	v_cmp_eq_u64_e32 vcc, v[2:3], v[10:11]
	s_or_b64 s[10:11], vcc, s[10:11]
	s_andn2_b64 exec, exec, s[10:11]
	s_cbranch_execnz .LBB1_229
; %bb.230:
	s_or_b64 exec, exec, s[10:11]
.LBB1_231:
	s_or_b64 exec, exec, s[6:7]
.LBB1_232:
	s_or_b64 exec, exec, s[4:5]
	v_mov_b32_e32 v33, 0
	global_load_dwordx2 v[10:11], v33, s[2:3] offset:40
	global_load_dwordx4 v[6:9], v33, s[2:3]
	v_readfirstlane_b32 s4, v2
	v_readfirstlane_b32 s5, v3
	s_mov_b64 s[6:7], exec
	s_waitcnt vmcnt(1)
	v_readfirstlane_b32 s10, v10
	v_readfirstlane_b32 s11, v11
	s_and_b64 s[10:11], s[4:5], s[10:11]
	s_mul_i32 s12, s11, 24
	s_mul_hi_u32 s13, s10, 24
	s_add_i32 s13, s13, s12
	s_mul_i32 s12, s10, 24
	s_waitcnt vmcnt(0)
	v_lshl_add_u64 v[10:11], v[6:7], 0, s[12:13]
	s_and_saveexec_b64 s[12:13], s[0:1]
	s_cbranch_execz .LBB1_234
; %bb.233:
	v_mov_b64_e32 v[12:13], s[6:7]
	v_mov_b32_e32 v14, 2
	v_mov_b32_e32 v15, 1
	global_store_dwordx4 v[10:11], v[12:15], off offset:8
.LBB1_234:
	s_or_b64 exec, exec, s[12:13]
	s_lshl_b64 s[6:7], s[10:11], 12
	v_lshl_add_u64 v[8:9], v[8:9], 0, s[6:7]
	s_movk_i32 s6, 0xff1f
	s_mov_b32 s12, 0
	v_and_or_b32 v0, v0, s6, 32
	v_mov_b32_e32 v2, v33
	v_mov_b32_e32 v3, v33
	v_readfirstlane_b32 s6, v8
	v_readfirstlane_b32 s7, v9
	s_mov_b32 s13, s12
	s_mov_b32 s14, s12
	;; [unrolled: 1-line block ×3, first 2 shown]
	s_nop 1
	global_store_dwordx4 v32, v[0:3], s[6:7]
	s_nop 1
	v_mov_b64_e32 v[0:1], s[12:13]
	v_mov_b64_e32 v[2:3], s[14:15]
	global_store_dwordx4 v32, v[0:3], s[6:7] offset:16
	global_store_dwordx4 v32, v[0:3], s[6:7] offset:32
	;; [unrolled: 1-line block ×3, first 2 shown]
	s_and_saveexec_b64 s[6:7], s[0:1]
	s_cbranch_execz .LBB1_242
; %bb.235:
	v_mov_b32_e32 v12, 0
	global_load_dwordx2 v[16:17], v12, s[2:3] offset:32 sc0 sc1
	global_load_dwordx2 v[0:1], v12, s[2:3] offset:40
	v_mov_b32_e32 v14, s4
	v_mov_b32_e32 v15, s5
	s_waitcnt vmcnt(0)
	v_readfirstlane_b32 s10, v0
	v_readfirstlane_b32 s11, v1
	s_and_b64 s[10:11], s[10:11], s[4:5]
	s_mul_i32 s11, s11, 24
	s_mul_hi_u32 s12, s10, 24
	s_mul_i32 s10, s10, 24
	s_add_i32 s11, s12, s11
	v_lshl_add_u64 v[6:7], v[6:7], 0, s[10:11]
	global_store_dwordx2 v[6:7], v[16:17], off
	buffer_wbl2 sc0 sc1
	s_waitcnt vmcnt(0)
	global_atomic_cmpswap_x2 v[2:3], v12, v[14:17], s[2:3] offset:32 sc0 sc1
	s_waitcnt vmcnt(0)
	v_cmp_ne_u64_e32 vcc, v[2:3], v[16:17]
	s_and_saveexec_b64 s[10:11], vcc
	s_cbranch_execz .LBB1_238
; %bb.236:
	s_mov_b64 s[12:13], 0
.LBB1_237:                              ; =>This Inner Loop Header: Depth=1
	s_sleep 1
	global_store_dwordx2 v[6:7], v[2:3], off
	v_mov_b32_e32 v0, s4
	v_mov_b32_e32 v1, s5
	buffer_wbl2 sc0 sc1
	s_waitcnt vmcnt(0)
	global_atomic_cmpswap_x2 v[0:1], v12, v[0:3], s[2:3] offset:32 sc0 sc1
	s_waitcnt vmcnt(0)
	v_cmp_eq_u64_e32 vcc, v[0:1], v[2:3]
	s_or_b64 s[12:13], vcc, s[12:13]
	v_mov_b64_e32 v[2:3], v[0:1]
	s_andn2_b64 exec, exec, s[12:13]
	s_cbranch_execnz .LBB1_237
.LBB1_238:
	s_or_b64 exec, exec, s[10:11]
	v_mov_b32_e32 v3, 0
	global_load_dwordx2 v[0:1], v3, s[2:3] offset:16
	s_mov_b64 s[10:11], exec
	v_mbcnt_lo_u32_b32 v2, s10, 0
	v_mbcnt_hi_u32_b32 v2, s11, v2
	v_cmp_eq_u32_e32 vcc, 0, v2
	s_and_saveexec_b64 s[12:13], vcc
	s_cbranch_execz .LBB1_240
; %bb.239:
	s_bcnt1_i32_b64 s10, s[10:11]
	v_mov_b32_e32 v2, s10
	buffer_wbl2 sc0 sc1
	s_waitcnt vmcnt(0)
	global_atomic_add_x2 v[0:1], v[2:3], off offset:8 sc1
.LBB1_240:
	s_or_b64 exec, exec, s[12:13]
	s_waitcnt vmcnt(0)
	global_load_dwordx2 v[2:3], v[0:1], off offset:16
	s_waitcnt vmcnt(0)
	v_cmp_eq_u64_e32 vcc, 0, v[2:3]
	s_cbranch_vccnz .LBB1_242
; %bb.241:
	global_load_dword v0, v[0:1], off offset:24
	v_mov_b32_e32 v1, 0
	buffer_wbl2 sc0 sc1
	s_waitcnt vmcnt(0)
	global_store_dwordx2 v[2:3], v[0:1], off sc0 sc1
	v_and_b32_e32 v0, 0xffffff, v0
	s_nop 0
	v_readfirstlane_b32 m0, v0
	s_sendmsg sendmsg(MSG_INTERRUPT)
.LBB1_242:
	s_or_b64 exec, exec, s[6:7]
	v_lshl_add_u64 v[0:1], v[8:9], 0, v[32:33]
	s_branch .LBB1_246
.LBB1_243:                              ;   in Loop: Header=BB1_246 Depth=1
	s_or_b64 exec, exec, s[6:7]
	v_readfirstlane_b32 s6, v2
	s_cmp_eq_u32 s6, 0
	s_cbranch_scc1 .LBB1_245
; %bb.244:                              ;   in Loop: Header=BB1_246 Depth=1
	s_sleep 1
	s_cbranch_execnz .LBB1_246
	s_branch .LBB1_248
.LBB1_245:
	s_branch .LBB1_248
.LBB1_246:                              ; =>This Inner Loop Header: Depth=1
	v_mov_b32_e32 v2, 1
	s_and_saveexec_b64 s[6:7], s[0:1]
	s_cbranch_execz .LBB1_243
; %bb.247:                              ;   in Loop: Header=BB1_246 Depth=1
	global_load_dword v2, v[10:11], off offset:20 sc0 sc1
	s_waitcnt vmcnt(0)
	buffer_inv sc0 sc1
	v_and_b32_e32 v2, 1, v2
	s_branch .LBB1_243
.LBB1_248:
	global_load_dwordx2 v[6:7], v[0:1], off
	s_and_saveexec_b64 s[6:7], s[0:1]
	s_cbranch_execz .LBB1_251
; %bb.249:
	v_mov_b32_e32 v10, 0
	global_load_dwordx2 v[8:9], v10, s[2:3] offset:40
	global_load_dwordx2 v[12:13], v10, s[2:3] offset:24 sc0 sc1
	global_load_dwordx2 v[14:15], v10, s[2:3]
	s_mov_b64 s[0:1], 0
	s_waitcnt vmcnt(2)
	v_lshl_add_u64 v[0:1], v[8:9], 0, 1
	v_lshl_add_u64 v[16:17], v[0:1], 0, s[4:5]
	v_cmp_eq_u64_e32 vcc, 0, v[16:17]
	s_waitcnt vmcnt(1)
	v_mov_b32_e32 v2, v12
	v_cndmask_b32_e32 v1, v17, v1, vcc
	v_cndmask_b32_e32 v0, v16, v0, vcc
	v_and_b32_e32 v3, v1, v9
	v_and_b32_e32 v8, v0, v8
	v_mul_lo_u32 v3, v3, 24
	v_mul_hi_u32 v9, v8, 24
	v_mul_lo_u32 v8, v8, 24
	v_add_u32_e32 v9, v9, v3
	s_waitcnt vmcnt(0)
	v_lshl_add_u64 v[8:9], v[14:15], 0, v[8:9]
	global_store_dwordx2 v[8:9], v[12:13], off
	v_mov_b32_e32 v3, v13
	buffer_wbl2 sc0 sc1
	s_waitcnt vmcnt(0)
	global_atomic_cmpswap_x2 v[2:3], v10, v[0:3], s[2:3] offset:24 sc0 sc1
	s_waitcnt vmcnt(0)
	v_cmp_ne_u64_e32 vcc, v[2:3], v[12:13]
	s_and_b64 exec, exec, vcc
	s_cbranch_execz .LBB1_251
.LBB1_250:                              ; =>This Inner Loop Header: Depth=1
	s_sleep 1
	global_store_dwordx2 v[8:9], v[2:3], off
	buffer_wbl2 sc0 sc1
	s_waitcnt vmcnt(0)
	global_atomic_cmpswap_x2 v[12:13], v10, v[0:3], s[2:3] offset:24 sc0 sc1
	s_waitcnt vmcnt(0)
	v_cmp_eq_u64_e32 vcc, v[12:13], v[2:3]
	s_or_b64 s[0:1], vcc, s[0:1]
	v_mov_b64_e32 v[2:3], v[12:13]
	s_andn2_b64 exec, exec, s[0:1]
	s_cbranch_execnz .LBB1_250
.LBB1_251:
	s_or_b64 exec, exec, s[6:7]
.LBB1_252:
	v_readfirstlane_b32 s0, v38
	s_waitcnt vmcnt(0)
	v_mov_b64_e32 v[8:9], 0
	v_cmp_eq_u32_e64 s[0:1], s0, v38
	s_and_saveexec_b64 s[4:5], s[0:1]
	s_cbranch_execz .LBB1_258
; %bb.253:
	v_mov_b32_e32 v0, 0
	global_load_dwordx2 v[10:11], v0, s[2:3] offset:24 sc0 sc1
	s_waitcnt vmcnt(0)
	buffer_inv sc0 sc1
	global_load_dwordx2 v[2:3], v0, s[2:3] offset:40
	global_load_dwordx2 v[8:9], v0, s[2:3]
	s_waitcnt vmcnt(1)
	v_and_b32_e32 v1, v2, v10
	v_and_b32_e32 v2, v3, v11
	v_mul_lo_u32 v2, v2, 24
	v_mul_hi_u32 v3, v1, 24
	v_add_u32_e32 v3, v3, v2
	v_mul_lo_u32 v2, v1, 24
	s_waitcnt vmcnt(0)
	v_lshl_add_u64 v[2:3], v[8:9], 0, v[2:3]
	global_load_dwordx2 v[8:9], v[2:3], off sc0 sc1
	s_waitcnt vmcnt(0)
	global_atomic_cmpswap_x2 v[8:9], v0, v[8:11], s[2:3] offset:24 sc0 sc1
	s_waitcnt vmcnt(0)
	buffer_inv sc0 sc1
	v_cmp_ne_u64_e32 vcc, v[8:9], v[10:11]
	s_and_saveexec_b64 s[6:7], vcc
	s_cbranch_execz .LBB1_257
; %bb.254:
	s_mov_b64 s[10:11], 0
.LBB1_255:                              ; =>This Inner Loop Header: Depth=1
	s_sleep 1
	global_load_dwordx2 v[2:3], v0, s[2:3] offset:40
	global_load_dwordx2 v[12:13], v0, s[2:3]
	v_mov_b64_e32 v[10:11], v[8:9]
	s_waitcnt vmcnt(1)
	v_and_b32_e32 v2, v2, v10
	v_and_b32_e32 v1, v3, v11
	s_waitcnt vmcnt(0)
	v_mad_u64_u32 v[2:3], s[12:13], v2, 24, v[12:13]
	v_mov_b32_e32 v8, v3
	v_mad_u64_u32 v[8:9], s[12:13], v1, 24, v[8:9]
	v_mov_b32_e32 v3, v8
	global_load_dwordx2 v[8:9], v[2:3], off sc0 sc1
	s_waitcnt vmcnt(0)
	global_atomic_cmpswap_x2 v[8:9], v0, v[8:11], s[2:3] offset:24 sc0 sc1
	s_waitcnt vmcnt(0)
	buffer_inv sc0 sc1
	v_cmp_eq_u64_e32 vcc, v[8:9], v[10:11]
	s_or_b64 s[10:11], vcc, s[10:11]
	s_andn2_b64 exec, exec, s[10:11]
	s_cbranch_execnz .LBB1_255
; %bb.256:
	s_or_b64 exec, exec, s[10:11]
.LBB1_257:
	s_or_b64 exec, exec, s[6:7]
.LBB1_258:
	s_or_b64 exec, exec, s[4:5]
	v_mov_b32_e32 v33, 0
	global_load_dwordx2 v[10:11], v33, s[2:3] offset:40
	global_load_dwordx4 v[0:3], v33, s[2:3]
	v_readfirstlane_b32 s4, v8
	v_readfirstlane_b32 s5, v9
	s_mov_b64 s[6:7], exec
	s_waitcnt vmcnt(1)
	v_readfirstlane_b32 s10, v10
	v_readfirstlane_b32 s11, v11
	s_and_b64 s[10:11], s[4:5], s[10:11]
	s_mul_i32 s12, s11, 24
	s_mul_hi_u32 s13, s10, 24
	s_add_i32 s13, s13, s12
	s_mul_i32 s12, s10, 24
	s_waitcnt vmcnt(0)
	v_lshl_add_u64 v[10:11], v[0:1], 0, s[12:13]
	s_and_saveexec_b64 s[12:13], s[0:1]
	s_cbranch_execz .LBB1_260
; %bb.259:
	v_mov_b64_e32 v[12:13], s[6:7]
	v_mov_b32_e32 v14, 2
	v_mov_b32_e32 v15, 1
	global_store_dwordx4 v[10:11], v[12:15], off offset:8
.LBB1_260:
	s_or_b64 exec, exec, s[12:13]
	s_lshl_b64 s[6:7], s[10:11], 12
	v_lshl_add_u64 v[12:13], v[2:3], 0, s[6:7]
	s_movk_i32 s6, 0xff1f
	s_mov_b32 s12, 0
	v_and_or_b32 v6, v6, s6, 32
	v_mov_b32_e32 v8, 0x331
	v_mov_b32_e32 v9, v33
	v_readfirstlane_b32 s6, v12
	v_readfirstlane_b32 s7, v13
	s_mov_b32 s13, s12
	s_mov_b32 s14, s12
	;; [unrolled: 1-line block ×3, first 2 shown]
	s_nop 1
	global_store_dwordx4 v32, v[6:9], s[6:7]
	s_nop 1
	v_mov_b64_e32 v[6:7], s[12:13]
	v_mov_b64_e32 v[8:9], s[14:15]
	global_store_dwordx4 v32, v[6:9], s[6:7] offset:16
	global_store_dwordx4 v32, v[6:9], s[6:7] offset:32
	;; [unrolled: 1-line block ×3, first 2 shown]
	s_and_saveexec_b64 s[6:7], s[0:1]
	s_cbranch_execz .LBB1_268
; %bb.261:
	v_mov_b32_e32 v8, 0
	global_load_dwordx2 v[16:17], v8, s[2:3] offset:32 sc0 sc1
	global_load_dwordx2 v[2:3], v8, s[2:3] offset:40
	v_mov_b32_e32 v14, s4
	v_mov_b32_e32 v15, s5
	s_waitcnt vmcnt(0)
	v_readfirstlane_b32 s10, v2
	v_readfirstlane_b32 s11, v3
	s_and_b64 s[10:11], s[10:11], s[4:5]
	s_mul_i32 s11, s11, 24
	s_mul_hi_u32 s12, s10, 24
	s_mul_i32 s10, s10, 24
	s_add_i32 s11, s12, s11
	v_lshl_add_u64 v[6:7], v[0:1], 0, s[10:11]
	global_store_dwordx2 v[6:7], v[16:17], off
	buffer_wbl2 sc0 sc1
	s_waitcnt vmcnt(0)
	global_atomic_cmpswap_x2 v[2:3], v8, v[14:17], s[2:3] offset:32 sc0 sc1
	s_waitcnt vmcnt(0)
	v_cmp_ne_u64_e32 vcc, v[2:3], v[16:17]
	s_and_saveexec_b64 s[10:11], vcc
	s_cbranch_execz .LBB1_264
; %bb.262:
	s_mov_b64 s[12:13], 0
.LBB1_263:                              ; =>This Inner Loop Header: Depth=1
	s_sleep 1
	global_store_dwordx2 v[6:7], v[2:3], off
	v_mov_b32_e32 v0, s4
	v_mov_b32_e32 v1, s5
	buffer_wbl2 sc0 sc1
	s_waitcnt vmcnt(0)
	global_atomic_cmpswap_x2 v[0:1], v8, v[0:3], s[2:3] offset:32 sc0 sc1
	s_waitcnt vmcnt(0)
	v_cmp_eq_u64_e32 vcc, v[0:1], v[2:3]
	s_or_b64 s[12:13], vcc, s[12:13]
	v_mov_b64_e32 v[2:3], v[0:1]
	s_andn2_b64 exec, exec, s[12:13]
	s_cbranch_execnz .LBB1_263
.LBB1_264:
	s_or_b64 exec, exec, s[10:11]
	v_mov_b32_e32 v3, 0
	global_load_dwordx2 v[0:1], v3, s[2:3] offset:16
	s_mov_b64 s[10:11], exec
	v_mbcnt_lo_u32_b32 v2, s10, 0
	v_mbcnt_hi_u32_b32 v2, s11, v2
	v_cmp_eq_u32_e32 vcc, 0, v2
	s_and_saveexec_b64 s[12:13], vcc
	s_cbranch_execz .LBB1_266
; %bb.265:
	s_bcnt1_i32_b64 s10, s[10:11]
	v_mov_b32_e32 v2, s10
	buffer_wbl2 sc0 sc1
	s_waitcnt vmcnt(0)
	global_atomic_add_x2 v[0:1], v[2:3], off offset:8 sc1
.LBB1_266:
	s_or_b64 exec, exec, s[12:13]
	s_waitcnt vmcnt(0)
	global_load_dwordx2 v[2:3], v[0:1], off offset:16
	s_waitcnt vmcnt(0)
	v_cmp_eq_u64_e32 vcc, 0, v[2:3]
	s_cbranch_vccnz .LBB1_268
; %bb.267:
	global_load_dword v0, v[0:1], off offset:24
	v_mov_b32_e32 v1, 0
	buffer_wbl2 sc0 sc1
	s_waitcnt vmcnt(0)
	global_store_dwordx2 v[2:3], v[0:1], off sc0 sc1
	v_and_b32_e32 v0, 0xffffff, v0
	s_nop 0
	v_readfirstlane_b32 m0, v0
	s_sendmsg sendmsg(MSG_INTERRUPT)
.LBB1_268:
	s_or_b64 exec, exec, s[6:7]
	v_lshl_add_u64 v[0:1], v[12:13], 0, v[32:33]
	s_branch .LBB1_272
.LBB1_269:                              ;   in Loop: Header=BB1_272 Depth=1
	s_or_b64 exec, exec, s[6:7]
	v_readfirstlane_b32 s6, v2
	s_cmp_eq_u32 s6, 0
	s_cbranch_scc1 .LBB1_271
; %bb.270:                              ;   in Loop: Header=BB1_272 Depth=1
	s_sleep 1
	s_cbranch_execnz .LBB1_272
	s_branch .LBB1_274
.LBB1_271:
	s_branch .LBB1_274
.LBB1_272:                              ; =>This Inner Loop Header: Depth=1
	v_mov_b32_e32 v2, 1
	s_and_saveexec_b64 s[6:7], s[0:1]
	s_cbranch_execz .LBB1_269
; %bb.273:                              ;   in Loop: Header=BB1_272 Depth=1
	global_load_dword v2, v[10:11], off offset:20 sc0 sc1
	s_waitcnt vmcnt(0)
	buffer_inv sc0 sc1
	v_and_b32_e32 v2, 1, v2
	s_branch .LBB1_269
.LBB1_274:
	global_load_dwordx2 v[0:1], v[0:1], off
	s_and_saveexec_b64 s[6:7], s[0:1]
	s_cbranch_execz .LBB1_277
; %bb.275:
	v_mov_b32_e32 v10, 0
	global_load_dwordx2 v[2:3], v10, s[2:3] offset:40
	global_load_dwordx2 v[12:13], v10, s[2:3] offset:24 sc0 sc1
	global_load_dwordx2 v[14:15], v10, s[2:3]
	s_mov_b64 s[0:1], 0
	s_waitcnt vmcnt(2)
	v_lshl_add_u64 v[6:7], v[2:3], 0, 1
	v_lshl_add_u64 v[16:17], v[6:7], 0, s[4:5]
	v_cmp_eq_u64_e32 vcc, 0, v[16:17]
	s_waitcnt vmcnt(1)
	v_mov_b32_e32 v8, v12
	v_cndmask_b32_e32 v7, v17, v7, vcc
	v_cndmask_b32_e32 v6, v16, v6, vcc
	v_and_b32_e32 v3, v7, v3
	v_and_b32_e32 v2, v6, v2
	v_mul_lo_u32 v3, v3, 24
	v_mul_hi_u32 v9, v2, 24
	v_mul_lo_u32 v2, v2, 24
	v_add_u32_e32 v3, v9, v3
	s_waitcnt vmcnt(0)
	v_lshl_add_u64 v[2:3], v[14:15], 0, v[2:3]
	global_store_dwordx2 v[2:3], v[12:13], off
	v_mov_b32_e32 v9, v13
	buffer_wbl2 sc0 sc1
	s_waitcnt vmcnt(0)
	global_atomic_cmpswap_x2 v[8:9], v10, v[6:9], s[2:3] offset:24 sc0 sc1
	s_waitcnt vmcnt(0)
	v_cmp_ne_u64_e32 vcc, v[8:9], v[12:13]
	s_and_b64 exec, exec, vcc
	s_cbranch_execz .LBB1_277
.LBB1_276:                              ; =>This Inner Loop Header: Depth=1
	s_sleep 1
	global_store_dwordx2 v[2:3], v[8:9], off
	buffer_wbl2 sc0 sc1
	s_waitcnt vmcnt(0)
	global_atomic_cmpswap_x2 v[12:13], v10, v[6:9], s[2:3] offset:24 sc0 sc1
	s_waitcnt vmcnt(0)
	v_cmp_eq_u64_e32 vcc, v[12:13], v[8:9]
	s_or_b64 s[0:1], vcc, s[0:1]
	v_mov_b64_e32 v[8:9], v[12:13]
	s_andn2_b64 exec, exec, s[0:1]
	s_cbranch_execnz .LBB1_276
.LBB1_277:
	s_or_b64 exec, exec, s[6:7]
	s_mov_b64 s[0:1], 0
	v_mov_b64_e32 v[2:3], v[4:5]
.LBB1_278:                              ; =>This Inner Loop Header: Depth=1
	flat_load_ubyte v6, v[2:3]
	v_lshl_add_u64 v[2:3], v[2:3], 0, 1
	s_waitcnt vmcnt(0) lgkmcnt(0)
	v_cmp_eq_u16_e32 vcc, 0, v6
	s_or_b64 s[0:1], vcc, s[0:1]
	s_andn2_b64 exec, exec, s[0:1]
	s_cbranch_execnz .LBB1_278
; %bb.279:
	s_or_b64 exec, exec, s[0:1]
	s_mov_b64 s[4:5], 0
	v_cmp_ne_u64_e32 vcc, 0, v[4:5]
	s_and_saveexec_b64 s[0:1], vcc
	s_xor_b64 s[6:7], exec, s[0:1]
	s_cbranch_execz .LBB1_365
; %bb.280:
	v_sub_u32_e32 v26, v2, v4
	v_ashrrev_i32_e32 v27, 31, v26
	v_and_b32_e32 v28, 2, v0
	v_mov_b32_e32 v33, 0
	v_and_b32_e32 v0, -3, v0
	s_mov_b32 s18, 0
	s_movk_i32 s19, 0xff1f
	v_mov_b32_e32 v8, 2
	v_mov_b32_e32 v9, 1
	s_branch .LBB1_282
.LBB1_281:                              ;   in Loop: Header=BB1_282 Depth=1
	s_or_b64 exec, exec, s[12:13]
	v_sub_co_u32_e32 v26, vcc, v26, v30
	v_lshl_add_u64 v[4:5], v[4:5], 0, v[30:31]
	s_nop 0
	v_subb_co_u32_e32 v27, vcc, v27, v31, vcc
	v_cmp_eq_u64_e32 vcc, 0, v[26:27]
	s_or_b64 s[4:5], vcc, s[4:5]
	s_andn2_b64 exec, exec, s[4:5]
	s_cbranch_execz .LBB1_364
.LBB1_282:                              ; =>This Loop Header: Depth=1
                                        ;     Child Loop BB1_285 Depth 2
                                        ;     Child Loop BB1_293 Depth 2
	;; [unrolled: 1-line block ×11, first 2 shown]
	v_cmp_gt_u64_e32 vcc, 56, v[26:27]
                                        ; implicit-def: $vgpr2_vgpr3
                                        ; implicit-def: $sgpr10
	s_nop 1
	v_cndmask_b32_e32 v31, 0, v27, vcc
	v_cndmask_b32_e32 v30, 56, v26, vcc
	v_cmp_gt_u64_e32 vcc, 8, v[26:27]
	s_and_saveexec_b64 s[0:1], vcc
	s_xor_b64 s[0:1], exec, s[0:1]
	s_cbranch_execz .LBB1_288
; %bb.283:                              ;   in Loop: Header=BB1_282 Depth=1
	s_mov_b64 s[12:13], 0
	v_cmp_ne_u64_e32 vcc, 0, v[26:27]
	s_waitcnt vmcnt(0)
	v_mov_b64_e32 v[2:3], 0
	s_and_saveexec_b64 s[10:11], vcc
	s_cbranch_execz .LBB1_287
; %bb.284:                              ;   in Loop: Header=BB1_282 Depth=1
	v_lshlrev_b64 v[6:7], 3, v[30:31]
	v_mov_b64_e32 v[2:3], 0
	v_mov_b64_e32 v[10:11], v[4:5]
	s_mov_b64 s[14:15], 0
.LBB1_285:                              ;   Parent Loop BB1_282 Depth=1
                                        ; =>  This Inner Loop Header: Depth=2
	flat_load_ubyte v7, v[10:11]
	v_mov_b32_e32 v13, s18
	v_lshl_add_u64 v[10:11], v[10:11], 0, 1
	s_waitcnt vmcnt(0) lgkmcnt(0)
	v_and_b32_e32 v12, 0xffff, v7
	v_lshlrev_b64 v[12:13], s14, v[12:13]
	s_add_u32 s14, s14, 8
	s_addc_u32 s15, s15, 0
	v_cmp_eq_u32_e32 vcc, s14, v6
	v_or_b32_e32 v3, v13, v3
	s_or_b64 s[12:13], vcc, s[12:13]
	v_or_b32_e32 v2, v12, v2
	s_andn2_b64 exec, exec, s[12:13]
	s_cbranch_execnz .LBB1_285
; %bb.286:                              ;   in Loop: Header=BB1_282 Depth=1
	s_or_b64 exec, exec, s[12:13]
.LBB1_287:                              ;   in Loop: Header=BB1_282 Depth=1
	s_or_b64 exec, exec, s[10:11]
	s_mov_b32 s10, 0
.LBB1_288:                              ;   in Loop: Header=BB1_282 Depth=1
	s_or_saveexec_b64 s[0:1], s[0:1]
	v_mov_b32_e32 v12, s10
	v_mov_b64_e32 v[6:7], v[4:5]
	s_xor_b64 exec, exec, s[0:1]
	s_cbranch_execz .LBB1_290
; %bb.289:                              ;   in Loop: Header=BB1_282 Depth=1
	s_waitcnt vmcnt(0)
	flat_load_dwordx2 v[2:3], v[4:5]
	v_add_u32_e32 v12, -8, v30
	s_waitcnt vmcnt(0) lgkmcnt(0)
	v_and_b32_e32 v6, 0xff, v3
	v_and_b32_e32 v7, 0xff00, v3
	;; [unrolled: 1-line block ×4, first 2 shown]
	v_or_b32_e32 v6, v6, v7
	v_or3_b32 v2, v2, 0, 0
	v_or3_b32 v3, v6, v10, v3
	v_lshl_add_u64 v[6:7], v[4:5], 0, 8
.LBB1_290:                              ;   in Loop: Header=BB1_282 Depth=1
	s_or_b64 exec, exec, s[0:1]
	v_cmp_gt_u32_e32 vcc, 8, v12
                                        ; implicit-def: $vgpr10_vgpr11
                                        ; implicit-def: $sgpr10
	s_and_saveexec_b64 s[0:1], vcc
	s_xor_b64 s[0:1], exec, s[0:1]
	s_cbranch_execz .LBB1_296
; %bb.291:                              ;   in Loop: Header=BB1_282 Depth=1
	v_cmp_ne_u32_e32 vcc, 0, v12
	v_mov_b64_e32 v[10:11], 0
	s_and_saveexec_b64 s[10:11], vcc
	s_cbranch_execz .LBB1_295
; %bb.292:                              ;   in Loop: Header=BB1_282 Depth=1
	s_mov_b64 s[12:13], 0
	v_mov_b64_e32 v[10:11], 0
	s_mov_b64 s[14:15], 0
	s_mov_b64 s[16:17], 0
.LBB1_293:                              ;   Parent Loop BB1_282 Depth=1
                                        ; =>  This Inner Loop Header: Depth=2
	v_lshl_add_u64 v[14:15], v[6:7], 0, s[16:17]
	flat_load_ubyte v13, v[14:15]
	s_add_u32 s16, s16, 1
	v_mov_b32_e32 v15, s18
	s_addc_u32 s17, s17, 0
	v_cmp_eq_u32_e32 vcc, s16, v12
	s_waitcnt vmcnt(0) lgkmcnt(0)
	v_and_b32_e32 v14, 0xffff, v13
	v_lshlrev_b64 v[14:15], s14, v[14:15]
	s_add_u32 s14, s14, 8
	s_addc_u32 s15, s15, 0
	v_or_b32_e32 v11, v15, v11
	s_or_b64 s[12:13], vcc, s[12:13]
	v_or_b32_e32 v10, v14, v10
	s_andn2_b64 exec, exec, s[12:13]
	s_cbranch_execnz .LBB1_293
; %bb.294:                              ;   in Loop: Header=BB1_282 Depth=1
	s_or_b64 exec, exec, s[12:13]
.LBB1_295:                              ;   in Loop: Header=BB1_282 Depth=1
	s_or_b64 exec, exec, s[10:11]
	s_mov_b32 s10, 0
                                        ; implicit-def: $vgpr12
.LBB1_296:                              ;   in Loop: Header=BB1_282 Depth=1
	s_or_saveexec_b64 s[0:1], s[0:1]
	v_mov_b32_e32 v14, s10
	s_xor_b64 exec, exec, s[0:1]
	s_cbranch_execz .LBB1_298
; %bb.297:                              ;   in Loop: Header=BB1_282 Depth=1
	flat_load_dwordx2 v[10:11], v[6:7]
	v_add_u32_e32 v14, -8, v12
	v_lshl_add_u64 v[6:7], v[6:7], 0, 8
	s_waitcnt vmcnt(0) lgkmcnt(0)
	v_and_b32_e32 v12, 0xff, v11
	v_and_b32_e32 v13, 0xff00, v11
	;; [unrolled: 1-line block ×4, first 2 shown]
	v_or_b32_e32 v12, v12, v13
	v_or3_b32 v10, v10, 0, 0
	v_or3_b32 v11, v12, v15, v11
.LBB1_298:                              ;   in Loop: Header=BB1_282 Depth=1
	s_or_b64 exec, exec, s[0:1]
	v_cmp_gt_u32_e32 vcc, 8, v14
                                        ; implicit-def: $sgpr10
	s_and_saveexec_b64 s[0:1], vcc
	s_xor_b64 s[0:1], exec, s[0:1]
	s_cbranch_execz .LBB1_304
; %bb.299:                              ;   in Loop: Header=BB1_282 Depth=1
	v_cmp_ne_u32_e32 vcc, 0, v14
	v_mov_b64_e32 v[12:13], 0
	s_and_saveexec_b64 s[10:11], vcc
	s_cbranch_execz .LBB1_303
; %bb.300:                              ;   in Loop: Header=BB1_282 Depth=1
	s_mov_b64 s[12:13], 0
	v_mov_b64_e32 v[12:13], 0
	s_mov_b64 s[14:15], 0
	s_mov_b64 s[16:17], 0
.LBB1_301:                              ;   Parent Loop BB1_282 Depth=1
                                        ; =>  This Inner Loop Header: Depth=2
	v_lshl_add_u64 v[16:17], v[6:7], 0, s[16:17]
	flat_load_ubyte v15, v[16:17]
	s_add_u32 s16, s16, 1
	v_mov_b32_e32 v17, s18
	s_addc_u32 s17, s17, 0
	v_cmp_eq_u32_e32 vcc, s16, v14
	s_waitcnt vmcnt(0) lgkmcnt(0)
	v_and_b32_e32 v16, 0xffff, v15
	v_lshlrev_b64 v[16:17], s14, v[16:17]
	s_add_u32 s14, s14, 8
	s_addc_u32 s15, s15, 0
	v_or_b32_e32 v13, v17, v13
	s_or_b64 s[12:13], vcc, s[12:13]
	v_or_b32_e32 v12, v16, v12
	s_andn2_b64 exec, exec, s[12:13]
	s_cbranch_execnz .LBB1_301
; %bb.302:                              ;   in Loop: Header=BB1_282 Depth=1
	s_or_b64 exec, exec, s[12:13]
.LBB1_303:                              ;   in Loop: Header=BB1_282 Depth=1
	s_or_b64 exec, exec, s[10:11]
	s_mov_b32 s10, 0
                                        ; implicit-def: $vgpr14
.LBB1_304:                              ;   in Loop: Header=BB1_282 Depth=1
	s_or_saveexec_b64 s[0:1], s[0:1]
	v_mov_b32_e32 v16, s10
	s_xor_b64 exec, exec, s[0:1]
	s_cbranch_execz .LBB1_306
; %bb.305:                              ;   in Loop: Header=BB1_282 Depth=1
	flat_load_dwordx2 v[12:13], v[6:7]
	v_add_u32_e32 v16, -8, v14
	v_lshl_add_u64 v[6:7], v[6:7], 0, 8
	s_waitcnt vmcnt(0) lgkmcnt(0)
	v_and_b32_e32 v14, 0xff, v13
	v_and_b32_e32 v15, 0xff00, v13
	;; [unrolled: 1-line block ×4, first 2 shown]
	v_or_b32_e32 v14, v14, v15
	v_or3_b32 v12, v12, 0, 0
	v_or3_b32 v13, v14, v17, v13
.LBB1_306:                              ;   in Loop: Header=BB1_282 Depth=1
	s_or_b64 exec, exec, s[0:1]
	v_cmp_gt_u32_e32 vcc, 8, v16
                                        ; implicit-def: $vgpr14_vgpr15
                                        ; implicit-def: $sgpr10
	s_and_saveexec_b64 s[0:1], vcc
	s_xor_b64 s[0:1], exec, s[0:1]
	s_cbranch_execz .LBB1_312
; %bb.307:                              ;   in Loop: Header=BB1_282 Depth=1
	v_cmp_ne_u32_e32 vcc, 0, v16
	v_mov_b64_e32 v[14:15], 0
	s_and_saveexec_b64 s[10:11], vcc
	s_cbranch_execz .LBB1_311
; %bb.308:                              ;   in Loop: Header=BB1_282 Depth=1
	s_mov_b64 s[12:13], 0
	v_mov_b64_e32 v[14:15], 0
	s_mov_b64 s[14:15], 0
	s_mov_b64 s[16:17], 0
.LBB1_309:                              ;   Parent Loop BB1_282 Depth=1
                                        ; =>  This Inner Loop Header: Depth=2
	v_lshl_add_u64 v[18:19], v[6:7], 0, s[16:17]
	flat_load_ubyte v17, v[18:19]
	s_add_u32 s16, s16, 1
	v_mov_b32_e32 v19, s18
	s_addc_u32 s17, s17, 0
	v_cmp_eq_u32_e32 vcc, s16, v16
	s_waitcnt vmcnt(0) lgkmcnt(0)
	v_and_b32_e32 v18, 0xffff, v17
	v_lshlrev_b64 v[18:19], s14, v[18:19]
	s_add_u32 s14, s14, 8
	s_addc_u32 s15, s15, 0
	v_or_b32_e32 v15, v19, v15
	s_or_b64 s[12:13], vcc, s[12:13]
	v_or_b32_e32 v14, v18, v14
	s_andn2_b64 exec, exec, s[12:13]
	s_cbranch_execnz .LBB1_309
; %bb.310:                              ;   in Loop: Header=BB1_282 Depth=1
	s_or_b64 exec, exec, s[12:13]
.LBB1_311:                              ;   in Loop: Header=BB1_282 Depth=1
	s_or_b64 exec, exec, s[10:11]
	s_mov_b32 s10, 0
                                        ; implicit-def: $vgpr16
.LBB1_312:                              ;   in Loop: Header=BB1_282 Depth=1
	s_or_saveexec_b64 s[0:1], s[0:1]
	v_mov_b32_e32 v18, s10
	s_xor_b64 exec, exec, s[0:1]
	s_cbranch_execz .LBB1_314
; %bb.313:                              ;   in Loop: Header=BB1_282 Depth=1
	flat_load_dwordx2 v[14:15], v[6:7]
	v_add_u32_e32 v18, -8, v16
	v_lshl_add_u64 v[6:7], v[6:7], 0, 8
	s_waitcnt vmcnt(0) lgkmcnt(0)
	v_and_b32_e32 v16, 0xff, v15
	v_and_b32_e32 v17, 0xff00, v15
	;; [unrolled: 1-line block ×4, first 2 shown]
	v_or_b32_e32 v16, v16, v17
	v_or3_b32 v14, v14, 0, 0
	v_or3_b32 v15, v16, v19, v15
.LBB1_314:                              ;   in Loop: Header=BB1_282 Depth=1
	s_or_b64 exec, exec, s[0:1]
	v_cmp_gt_u32_e32 vcc, 8, v18
                                        ; implicit-def: $sgpr10
	s_and_saveexec_b64 s[0:1], vcc
	s_xor_b64 s[0:1], exec, s[0:1]
	s_cbranch_execz .LBB1_320
; %bb.315:                              ;   in Loop: Header=BB1_282 Depth=1
	v_cmp_ne_u32_e32 vcc, 0, v18
	v_mov_b64_e32 v[16:17], 0
	s_and_saveexec_b64 s[10:11], vcc
	s_cbranch_execz .LBB1_319
; %bb.316:                              ;   in Loop: Header=BB1_282 Depth=1
	s_mov_b64 s[12:13], 0
	v_mov_b64_e32 v[16:17], 0
	s_mov_b64 s[14:15], 0
	s_mov_b64 s[16:17], 0
.LBB1_317:                              ;   Parent Loop BB1_282 Depth=1
                                        ; =>  This Inner Loop Header: Depth=2
	v_lshl_add_u64 v[20:21], v[6:7], 0, s[16:17]
	flat_load_ubyte v19, v[20:21]
	s_add_u32 s16, s16, 1
	v_mov_b32_e32 v21, s18
	s_addc_u32 s17, s17, 0
	v_cmp_eq_u32_e32 vcc, s16, v18
	s_waitcnt vmcnt(0) lgkmcnt(0)
	v_and_b32_e32 v20, 0xffff, v19
	v_lshlrev_b64 v[20:21], s14, v[20:21]
	s_add_u32 s14, s14, 8
	s_addc_u32 s15, s15, 0
	v_or_b32_e32 v17, v21, v17
	s_or_b64 s[12:13], vcc, s[12:13]
	v_or_b32_e32 v16, v20, v16
	s_andn2_b64 exec, exec, s[12:13]
	s_cbranch_execnz .LBB1_317
; %bb.318:                              ;   in Loop: Header=BB1_282 Depth=1
	s_or_b64 exec, exec, s[12:13]
.LBB1_319:                              ;   in Loop: Header=BB1_282 Depth=1
	s_or_b64 exec, exec, s[10:11]
	s_mov_b32 s10, 0
                                        ; implicit-def: $vgpr18
.LBB1_320:                              ;   in Loop: Header=BB1_282 Depth=1
	s_or_saveexec_b64 s[0:1], s[0:1]
	v_mov_b32_e32 v20, s10
	s_xor_b64 exec, exec, s[0:1]
	s_cbranch_execz .LBB1_322
; %bb.321:                              ;   in Loop: Header=BB1_282 Depth=1
	flat_load_dwordx2 v[16:17], v[6:7]
	v_add_u32_e32 v20, -8, v18
	v_lshl_add_u64 v[6:7], v[6:7], 0, 8
	s_waitcnt vmcnt(0) lgkmcnt(0)
	v_and_b32_e32 v18, 0xff, v17
	v_and_b32_e32 v19, 0xff00, v17
	;; [unrolled: 1-line block ×4, first 2 shown]
	v_or_b32_e32 v18, v18, v19
	v_or3_b32 v16, v16, 0, 0
	v_or3_b32 v17, v18, v21, v17
.LBB1_322:                              ;   in Loop: Header=BB1_282 Depth=1
	s_or_b64 exec, exec, s[0:1]
	v_cmp_gt_u32_e32 vcc, 8, v20
                                        ; implicit-def: $vgpr18_vgpr19
                                        ; implicit-def: $sgpr10
	s_and_saveexec_b64 s[0:1], vcc
	s_xor_b64 s[0:1], exec, s[0:1]
	s_cbranch_execz .LBB1_328
; %bb.323:                              ;   in Loop: Header=BB1_282 Depth=1
	v_cmp_ne_u32_e32 vcc, 0, v20
	v_mov_b64_e32 v[18:19], 0
	s_and_saveexec_b64 s[10:11], vcc
	s_cbranch_execz .LBB1_327
; %bb.324:                              ;   in Loop: Header=BB1_282 Depth=1
	s_mov_b64 s[12:13], 0
	v_mov_b64_e32 v[18:19], 0
	s_mov_b64 s[14:15], 0
	s_mov_b64 s[16:17], 0
.LBB1_325:                              ;   Parent Loop BB1_282 Depth=1
                                        ; =>  This Inner Loop Header: Depth=2
	v_lshl_add_u64 v[22:23], v[6:7], 0, s[16:17]
	flat_load_ubyte v21, v[22:23]
	s_add_u32 s16, s16, 1
	v_mov_b32_e32 v23, s18
	s_addc_u32 s17, s17, 0
	v_cmp_eq_u32_e32 vcc, s16, v20
	s_waitcnt vmcnt(0) lgkmcnt(0)
	v_and_b32_e32 v22, 0xffff, v21
	v_lshlrev_b64 v[22:23], s14, v[22:23]
	s_add_u32 s14, s14, 8
	s_addc_u32 s15, s15, 0
	v_or_b32_e32 v19, v23, v19
	s_or_b64 s[12:13], vcc, s[12:13]
	v_or_b32_e32 v18, v22, v18
	s_andn2_b64 exec, exec, s[12:13]
	s_cbranch_execnz .LBB1_325
; %bb.326:                              ;   in Loop: Header=BB1_282 Depth=1
	s_or_b64 exec, exec, s[12:13]
.LBB1_327:                              ;   in Loop: Header=BB1_282 Depth=1
	s_or_b64 exec, exec, s[10:11]
	s_mov_b32 s10, 0
                                        ; implicit-def: $vgpr20
.LBB1_328:                              ;   in Loop: Header=BB1_282 Depth=1
	s_or_saveexec_b64 s[0:1], s[0:1]
	v_mov_b32_e32 v22, s10
	s_xor_b64 exec, exec, s[0:1]
	s_cbranch_execz .LBB1_330
; %bb.329:                              ;   in Loop: Header=BB1_282 Depth=1
	flat_load_dwordx2 v[18:19], v[6:7]
	v_add_u32_e32 v22, -8, v20
	v_lshl_add_u64 v[6:7], v[6:7], 0, 8
	s_waitcnt vmcnt(0) lgkmcnt(0)
	v_and_b32_e32 v20, 0xff, v19
	v_and_b32_e32 v21, 0xff00, v19
	;; [unrolled: 1-line block ×4, first 2 shown]
	v_or_b32_e32 v20, v20, v21
	v_or3_b32 v18, v18, 0, 0
	v_or3_b32 v19, v20, v23, v19
.LBB1_330:                              ;   in Loop: Header=BB1_282 Depth=1
	s_or_b64 exec, exec, s[0:1]
	v_cmp_gt_u32_e32 vcc, 8, v22
	s_and_saveexec_b64 s[0:1], vcc
	s_xor_b64 s[0:1], exec, s[0:1]
	s_cbranch_execz .LBB1_336
; %bb.331:                              ;   in Loop: Header=BB1_282 Depth=1
	v_cmp_ne_u32_e32 vcc, 0, v22
	v_mov_b64_e32 v[20:21], 0
	s_and_saveexec_b64 s[10:11], vcc
	s_cbranch_execz .LBB1_335
; %bb.332:                              ;   in Loop: Header=BB1_282 Depth=1
	s_mov_b64 s[12:13], 0
	v_mov_b64_e32 v[20:21], 0
	s_mov_b64 s[14:15], 0
.LBB1_333:                              ;   Parent Loop BB1_282 Depth=1
                                        ; =>  This Inner Loop Header: Depth=2
	flat_load_ubyte v23, v[6:7]
	v_mov_b32_e32 v25, s18
	v_add_u32_e32 v22, -1, v22
	v_cmp_eq_u32_e32 vcc, 0, v22
	v_lshl_add_u64 v[6:7], v[6:7], 0, 1
	s_waitcnt vmcnt(0) lgkmcnt(0)
	v_and_b32_e32 v24, 0xffff, v23
	v_lshlrev_b64 v[24:25], s14, v[24:25]
	s_add_u32 s14, s14, 8
	s_addc_u32 s15, s15, 0
	v_or_b32_e32 v21, v25, v21
	s_or_b64 s[12:13], vcc, s[12:13]
	v_or_b32_e32 v20, v24, v20
	s_andn2_b64 exec, exec, s[12:13]
	s_cbranch_execnz .LBB1_333
; %bb.334:                              ;   in Loop: Header=BB1_282 Depth=1
	s_or_b64 exec, exec, s[12:13]
.LBB1_335:                              ;   in Loop: Header=BB1_282 Depth=1
	s_or_b64 exec, exec, s[10:11]
                                        ; implicit-def: $vgpr6_vgpr7
.LBB1_336:                              ;   in Loop: Header=BB1_282 Depth=1
	s_andn2_saveexec_b64 s[0:1], s[0:1]
	s_cbranch_execz .LBB1_338
; %bb.337:                              ;   in Loop: Header=BB1_282 Depth=1
	flat_load_dwordx2 v[6:7], v[6:7]
	s_waitcnt vmcnt(0) lgkmcnt(0)
	v_and_b32_e32 v20, 0xff, v7
	v_and_b32_e32 v21, 0xff00, v7
	v_and_b32_e32 v22, 0xff0000, v7
	v_and_b32_e32 v7, 0xff000000, v7
	v_or_b32_e32 v20, v20, v21
	v_or3_b32 v21, v20, v22, v7
	v_or3_b32 v20, v6, 0, 0
.LBB1_338:                              ;   in Loop: Header=BB1_282 Depth=1
	s_or_b64 exec, exec, s[0:1]
	v_readfirstlane_b32 s0, v38
	v_mov_b64_e32 v[6:7], 0
	s_nop 0
	v_cmp_eq_u32_e64 s[0:1], s0, v38
	s_and_saveexec_b64 s[10:11], s[0:1]
	s_cbranch_execz .LBB1_344
; %bb.339:                              ;   in Loop: Header=BB1_282 Depth=1
	global_load_dwordx2 v[24:25], v33, s[2:3] offset:24 sc0 sc1
	s_waitcnt vmcnt(0)
	buffer_inv sc0 sc1
	global_load_dwordx2 v[6:7], v33, s[2:3] offset:40
	global_load_dwordx2 v[22:23], v33, s[2:3]
	s_waitcnt vmcnt(1)
	v_and_b32_e32 v6, v6, v24
	v_and_b32_e32 v7, v7, v25
	v_mul_lo_u32 v7, v7, 24
	v_mul_hi_u32 v29, v6, 24
	v_add_u32_e32 v7, v29, v7
	v_mul_lo_u32 v6, v6, 24
	s_waitcnt vmcnt(0)
	v_lshl_add_u64 v[6:7], v[22:23], 0, v[6:7]
	global_load_dwordx2 v[22:23], v[6:7], off sc0 sc1
	s_waitcnt vmcnt(0)
	global_atomic_cmpswap_x2 v[6:7], v33, v[22:25], s[2:3] offset:24 sc0 sc1
	s_waitcnt vmcnt(0)
	buffer_inv sc0 sc1
	v_cmp_ne_u64_e32 vcc, v[6:7], v[24:25]
	s_and_saveexec_b64 s[12:13], vcc
	s_cbranch_execz .LBB1_343
; %bb.340:                              ;   in Loop: Header=BB1_282 Depth=1
	s_mov_b64 s[14:15], 0
.LBB1_341:                              ;   Parent Loop BB1_282 Depth=1
                                        ; =>  This Inner Loop Header: Depth=2
	s_sleep 1
	global_load_dwordx2 v[22:23], v33, s[2:3] offset:40
	global_load_dwordx2 v[34:35], v33, s[2:3]
	v_mov_b64_e32 v[24:25], v[6:7]
	s_waitcnt vmcnt(1)
	v_and_b32_e32 v6, v22, v24
	s_waitcnt vmcnt(0)
	v_mad_u64_u32 v[6:7], s[16:17], v6, 24, v[34:35]
	v_and_b32_e32 v23, v23, v25
	v_mov_b32_e32 v22, v7
	v_mad_u64_u32 v[22:23], s[16:17], v23, 24, v[22:23]
	v_mov_b32_e32 v7, v22
	global_load_dwordx2 v[22:23], v[6:7], off sc0 sc1
	s_waitcnt vmcnt(0)
	global_atomic_cmpswap_x2 v[6:7], v33, v[22:25], s[2:3] offset:24 sc0 sc1
	s_waitcnt vmcnt(0)
	buffer_inv sc0 sc1
	v_cmp_eq_u64_e32 vcc, v[6:7], v[24:25]
	s_or_b64 s[14:15], vcc, s[14:15]
	s_andn2_b64 exec, exec, s[14:15]
	s_cbranch_execnz .LBB1_341
; %bb.342:                              ;   in Loop: Header=BB1_282 Depth=1
	s_or_b64 exec, exec, s[14:15]
.LBB1_343:                              ;   in Loop: Header=BB1_282 Depth=1
	s_or_b64 exec, exec, s[12:13]
.LBB1_344:                              ;   in Loop: Header=BB1_282 Depth=1
	s_or_b64 exec, exec, s[10:11]
	global_load_dwordx2 v[34:35], v33, s[2:3] offset:40
	global_load_dwordx4 v[22:25], v33, s[2:3]
	v_readfirstlane_b32 s10, v6
	v_readfirstlane_b32 s11, v7
	s_mov_b64 s[12:13], exec
	s_waitcnt vmcnt(1)
	v_readfirstlane_b32 s14, v34
	v_readfirstlane_b32 s15, v35
	s_and_b64 s[14:15], s[10:11], s[14:15]
	s_mul_i32 s16, s15, 24
	s_mul_hi_u32 s17, s14, 24
	s_add_i32 s17, s17, s16
	s_mul_i32 s16, s14, 24
	s_waitcnt vmcnt(0)
	v_lshl_add_u64 v[34:35], v[22:23], 0, s[16:17]
	s_and_saveexec_b64 s[16:17], s[0:1]
	s_cbranch_execz .LBB1_346
; %bb.345:                              ;   in Loop: Header=BB1_282 Depth=1
	v_mov_b64_e32 v[6:7], s[12:13]
	global_store_dwordx4 v[34:35], v[6:9], off offset:8
.LBB1_346:                              ;   in Loop: Header=BB1_282 Depth=1
	s_or_b64 exec, exec, s[16:17]
	s_lshl_b64 s[12:13], s[14:15], 12
	v_lshl_add_u64 v[6:7], v[24:25], 0, s[12:13]
	v_or_b32_e32 v24, 0, v1
	v_cmp_lt_u64_e32 vcc, 56, v[26:27]
	v_or_b32_e32 v25, v0, v28
	v_readfirstlane_b32 s12, v6
	v_cndmask_b32_e32 v1, v24, v1, vcc
	v_lshl_add_u32 v24, v30, 2, 28
	v_cndmask_b32_e32 v0, v25, v0, vcc
	v_and_b32_e32 v24, 0x1e0, v24
	v_and_or_b32 v0, v0, s19, v24
	v_readfirstlane_b32 s13, v7
	s_nop 4
	global_store_dwordx4 v32, v[0:3], s[12:13]
	global_store_dwordx4 v32, v[10:13], s[12:13] offset:16
	global_store_dwordx4 v32, v[14:17], s[12:13] offset:32
	;; [unrolled: 1-line block ×3, first 2 shown]
	s_and_saveexec_b64 s[12:13], s[0:1]
	s_cbranch_execz .LBB1_354
; %bb.347:                              ;   in Loop: Header=BB1_282 Depth=1
	global_load_dwordx2 v[14:15], v33, s[2:3] offset:32 sc0 sc1
	global_load_dwordx2 v[0:1], v33, s[2:3] offset:40
	v_mov_b32_e32 v12, s10
	v_mov_b32_e32 v13, s11
	s_waitcnt vmcnt(0)
	v_readfirstlane_b32 s14, v0
	v_readfirstlane_b32 s15, v1
	s_and_b64 s[14:15], s[14:15], s[10:11]
	s_mul_i32 s15, s15, 24
	s_mul_hi_u32 s16, s14, 24
	s_mul_i32 s14, s14, 24
	s_add_i32 s15, s16, s15
	v_lshl_add_u64 v[10:11], v[22:23], 0, s[14:15]
	global_store_dwordx2 v[10:11], v[14:15], off
	buffer_wbl2 sc0 sc1
	s_waitcnt vmcnt(0)
	global_atomic_cmpswap_x2 v[2:3], v33, v[12:15], s[2:3] offset:32 sc0 sc1
	s_waitcnt vmcnt(0)
	v_cmp_ne_u64_e32 vcc, v[2:3], v[14:15]
	s_and_saveexec_b64 s[14:15], vcc
	s_cbranch_execz .LBB1_350
; %bb.348:                              ;   in Loop: Header=BB1_282 Depth=1
	s_mov_b64 s[16:17], 0
.LBB1_349:                              ;   Parent Loop BB1_282 Depth=1
                                        ; =>  This Inner Loop Header: Depth=2
	s_sleep 1
	global_store_dwordx2 v[10:11], v[2:3], off
	v_mov_b32_e32 v0, s10
	v_mov_b32_e32 v1, s11
	buffer_wbl2 sc0 sc1
	s_waitcnt vmcnt(0)
	global_atomic_cmpswap_x2 v[0:1], v33, v[0:3], s[2:3] offset:32 sc0 sc1
	s_waitcnt vmcnt(0)
	v_cmp_eq_u64_e32 vcc, v[0:1], v[2:3]
	s_or_b64 s[16:17], vcc, s[16:17]
	v_mov_b64_e32 v[2:3], v[0:1]
	s_andn2_b64 exec, exec, s[16:17]
	s_cbranch_execnz .LBB1_349
.LBB1_350:                              ;   in Loop: Header=BB1_282 Depth=1
	s_or_b64 exec, exec, s[14:15]
	global_load_dwordx2 v[0:1], v33, s[2:3] offset:16
	s_mov_b64 s[16:17], exec
	v_mbcnt_lo_u32_b32 v2, s16, 0
	v_mbcnt_hi_u32_b32 v2, s17, v2
	v_cmp_eq_u32_e32 vcc, 0, v2
	s_and_saveexec_b64 s[14:15], vcc
	s_cbranch_execz .LBB1_352
; %bb.351:                              ;   in Loop: Header=BB1_282 Depth=1
	s_bcnt1_i32_b64 s16, s[16:17]
	v_mov_b32_e32 v2, s16
	v_mov_b32_e32 v3, v33
	buffer_wbl2 sc0 sc1
	s_waitcnt vmcnt(0)
	global_atomic_add_x2 v[0:1], v[2:3], off offset:8 sc1
.LBB1_352:                              ;   in Loop: Header=BB1_282 Depth=1
	s_or_b64 exec, exec, s[14:15]
	s_waitcnt vmcnt(0)
	global_load_dwordx2 v[2:3], v[0:1], off offset:16
	s_waitcnt vmcnt(0)
	v_cmp_eq_u64_e32 vcc, 0, v[2:3]
	s_cbranch_vccnz .LBB1_354
; %bb.353:                              ;   in Loop: Header=BB1_282 Depth=1
	global_load_dword v0, v[0:1], off offset:24
	v_mov_b32_e32 v1, v33
	buffer_wbl2 sc0 sc1
	s_waitcnt vmcnt(0)
	global_store_dwordx2 v[2:3], v[0:1], off sc0 sc1
	v_and_b32_e32 v0, 0xffffff, v0
	s_nop 0
	v_readfirstlane_b32 m0, v0
	s_sendmsg sendmsg(MSG_INTERRUPT)
.LBB1_354:                              ;   in Loop: Header=BB1_282 Depth=1
	s_or_b64 exec, exec, s[12:13]
	v_lshl_add_u64 v[0:1], v[6:7], 0, v[32:33]
	s_branch .LBB1_358
.LBB1_355:                              ;   in Loop: Header=BB1_358 Depth=2
	s_or_b64 exec, exec, s[12:13]
	v_readfirstlane_b32 s12, v2
	s_cmp_eq_u32 s12, 0
	s_cbranch_scc1 .LBB1_357
; %bb.356:                              ;   in Loop: Header=BB1_358 Depth=2
	s_sleep 1
	s_cbranch_execnz .LBB1_358
	s_branch .LBB1_360
.LBB1_357:                              ;   in Loop: Header=BB1_282 Depth=1
	s_branch .LBB1_360
.LBB1_358:                              ;   Parent Loop BB1_282 Depth=1
                                        ; =>  This Inner Loop Header: Depth=2
	v_mov_b32_e32 v2, 1
	s_and_saveexec_b64 s[12:13], s[0:1]
	s_cbranch_execz .LBB1_355
; %bb.359:                              ;   in Loop: Header=BB1_358 Depth=2
	global_load_dword v2, v[34:35], off offset:20 sc0 sc1
	s_waitcnt vmcnt(0)
	buffer_inv sc0 sc1
	v_and_b32_e32 v2, 1, v2
	s_branch .LBB1_355
.LBB1_360:                              ;   in Loop: Header=BB1_282 Depth=1
	global_load_dwordx4 v[0:3], v[0:1], off
	s_and_saveexec_b64 s[12:13], s[0:1]
	s_cbranch_execz .LBB1_281
; %bb.361:                              ;   in Loop: Header=BB1_282 Depth=1
	global_load_dwordx2 v[2:3], v33, s[2:3] offset:40
	global_load_dwordx2 v[6:7], v33, s[2:3] offset:24 sc0 sc1
	global_load_dwordx2 v[14:15], v33, s[2:3]
	s_waitcnt vmcnt(2)
	v_lshl_add_u64 v[10:11], v[2:3], 0, 1
	v_lshl_add_u64 v[16:17], v[10:11], 0, s[10:11]
	v_cmp_eq_u64_e32 vcc, 0, v[16:17]
	s_waitcnt vmcnt(1)
	v_mov_b32_e32 v12, v6
	v_cndmask_b32_e32 v11, v17, v11, vcc
	v_cndmask_b32_e32 v10, v16, v10, vcc
	v_and_b32_e32 v3, v11, v3
	v_and_b32_e32 v2, v10, v2
	v_mul_lo_u32 v3, v3, 24
	v_mul_hi_u32 v13, v2, 24
	v_mul_lo_u32 v2, v2, 24
	v_add_u32_e32 v3, v13, v3
	s_waitcnt vmcnt(0)
	v_lshl_add_u64 v[2:3], v[14:15], 0, v[2:3]
	global_store_dwordx2 v[2:3], v[6:7], off
	v_mov_b32_e32 v13, v7
	buffer_wbl2 sc0 sc1
	s_waitcnt vmcnt(0)
	global_atomic_cmpswap_x2 v[12:13], v33, v[10:13], s[2:3] offset:24 sc0 sc1
	s_waitcnt vmcnt(0)
	v_cmp_ne_u64_e32 vcc, v[12:13], v[6:7]
	s_and_b64 exec, exec, vcc
	s_cbranch_execz .LBB1_281
; %bb.362:                              ;   in Loop: Header=BB1_282 Depth=1
	s_mov_b64 s[0:1], 0
.LBB1_363:                              ;   Parent Loop BB1_282 Depth=1
                                        ; =>  This Inner Loop Header: Depth=2
	s_sleep 1
	global_store_dwordx2 v[2:3], v[12:13], off
	buffer_wbl2 sc0 sc1
	s_waitcnt vmcnt(0)
	global_atomic_cmpswap_x2 v[6:7], v33, v[10:13], s[2:3] offset:24 sc0 sc1
	s_waitcnt vmcnt(0)
	v_cmp_eq_u64_e32 vcc, v[6:7], v[12:13]
	s_or_b64 s[0:1], vcc, s[0:1]
	v_mov_b64_e32 v[12:13], v[6:7]
	s_andn2_b64 exec, exec, s[0:1]
	s_cbranch_execnz .LBB1_363
	s_branch .LBB1_281
.LBB1_364:
	s_or_b64 exec, exec, s[4:5]
                                        ; implicit-def: $vgpr32
                                        ; implicit-def: $vgpr38
.LBB1_365:
	s_andn2_saveexec_b64 s[4:5], s[6:7]
	s_cbranch_execz .LBB1_392
; %bb.366:
	v_readfirstlane_b32 s0, v38
	s_waitcnt vmcnt(0)
	v_mov_b64_e32 v[2:3], 0
	v_cmp_eq_u32_e64 s[0:1], s0, v38
	s_and_saveexec_b64 s[6:7], s[0:1]
	s_cbranch_execz .LBB1_372
; %bb.367:
	v_mov_b32_e32 v4, 0
	global_load_dwordx2 v[8:9], v4, s[2:3] offset:24 sc0 sc1
	s_waitcnt vmcnt(0)
	buffer_inv sc0 sc1
	global_load_dwordx2 v[2:3], v4, s[2:3] offset:40
	global_load_dwordx2 v[6:7], v4, s[2:3]
	s_waitcnt vmcnt(1)
	v_and_b32_e32 v2, v2, v8
	v_and_b32_e32 v3, v3, v9
	v_mul_lo_u32 v3, v3, 24
	v_mul_hi_u32 v5, v2, 24
	v_add_u32_e32 v3, v5, v3
	v_mul_lo_u32 v2, v2, 24
	s_waitcnt vmcnt(0)
	v_lshl_add_u64 v[2:3], v[6:7], 0, v[2:3]
	global_load_dwordx2 v[6:7], v[2:3], off sc0 sc1
	s_waitcnt vmcnt(0)
	global_atomic_cmpswap_x2 v[2:3], v4, v[6:9], s[2:3] offset:24 sc0 sc1
	s_waitcnt vmcnt(0)
	buffer_inv sc0 sc1
	v_cmp_ne_u64_e32 vcc, v[2:3], v[8:9]
	s_and_saveexec_b64 s[10:11], vcc
	s_cbranch_execz .LBB1_371
; %bb.368:
	s_mov_b64 s[12:13], 0
.LBB1_369:                              ; =>This Inner Loop Header: Depth=1
	s_sleep 1
	global_load_dwordx2 v[6:7], v4, s[2:3] offset:40
	global_load_dwordx2 v[10:11], v4, s[2:3]
	v_mov_b64_e32 v[8:9], v[2:3]
	s_waitcnt vmcnt(1)
	v_and_b32_e32 v2, v6, v8
	s_waitcnt vmcnt(0)
	v_mad_u64_u32 v[2:3], s[14:15], v2, 24, v[10:11]
	v_and_b32_e32 v5, v7, v9
	v_mov_b32_e32 v6, v3
	v_mad_u64_u32 v[6:7], s[14:15], v5, 24, v[6:7]
	v_mov_b32_e32 v3, v6
	global_load_dwordx2 v[6:7], v[2:3], off sc0 sc1
	s_waitcnt vmcnt(0)
	global_atomic_cmpswap_x2 v[2:3], v4, v[6:9], s[2:3] offset:24 sc0 sc1
	s_waitcnt vmcnt(0)
	buffer_inv sc0 sc1
	v_cmp_eq_u64_e32 vcc, v[2:3], v[8:9]
	s_or_b64 s[12:13], vcc, s[12:13]
	s_andn2_b64 exec, exec, s[12:13]
	s_cbranch_execnz .LBB1_369
; %bb.370:
	s_or_b64 exec, exec, s[12:13]
.LBB1_371:
	s_or_b64 exec, exec, s[10:11]
.LBB1_372:
	s_or_b64 exec, exec, s[6:7]
	v_mov_b32_e32 v33, 0
	global_load_dwordx2 v[8:9], v33, s[2:3] offset:40
	global_load_dwordx4 v[4:7], v33, s[2:3]
	v_readfirstlane_b32 s6, v2
	v_readfirstlane_b32 s7, v3
	s_mov_b64 s[10:11], exec
	s_waitcnt vmcnt(1)
	v_readfirstlane_b32 s12, v8
	v_readfirstlane_b32 s13, v9
	s_and_b64 s[12:13], s[6:7], s[12:13]
	s_mul_i32 s14, s13, 24
	s_mul_hi_u32 s15, s12, 24
	s_add_i32 s15, s15, s14
	s_mul_i32 s14, s12, 24
	s_waitcnt vmcnt(0)
	v_lshl_add_u64 v[8:9], v[4:5], 0, s[14:15]
	s_and_saveexec_b64 s[14:15], s[0:1]
	s_cbranch_execz .LBB1_374
; %bb.373:
	v_mov_b64_e32 v[10:11], s[10:11]
	v_mov_b32_e32 v12, 2
	v_mov_b32_e32 v13, 1
	global_store_dwordx4 v[8:9], v[10:13], off offset:8
.LBB1_374:
	s_or_b64 exec, exec, s[14:15]
	s_lshl_b64 s[10:11], s[12:13], 12
	v_lshl_add_u64 v[6:7], v[6:7], 0, s[10:11]
	s_movk_i32 s10, 0xff1f
	s_mov_b32 s12, 0
	v_and_or_b32 v0, v0, s10, 32
	v_mov_b32_e32 v2, v33
	v_mov_b32_e32 v3, v33
	v_readfirstlane_b32 s10, v6
	v_readfirstlane_b32 s11, v7
	s_mov_b32 s13, s12
	s_mov_b32 s14, s12
	s_mov_b32 s15, s12
	s_nop 1
	global_store_dwordx4 v32, v[0:3], s[10:11]
	s_nop 1
	v_mov_b64_e32 v[0:1], s[12:13]
	v_mov_b64_e32 v[2:3], s[14:15]
	global_store_dwordx4 v32, v[0:3], s[10:11] offset:16
	global_store_dwordx4 v32, v[0:3], s[10:11] offset:32
	;; [unrolled: 1-line block ×3, first 2 shown]
	s_and_saveexec_b64 s[10:11], s[0:1]
	s_cbranch_execz .LBB1_382
; %bb.375:
	v_mov_b32_e32 v10, 0
	global_load_dwordx2 v[14:15], v10, s[2:3] offset:32 sc0 sc1
	global_load_dwordx2 v[0:1], v10, s[2:3] offset:40
	v_mov_b32_e32 v12, s6
	v_mov_b32_e32 v13, s7
	s_waitcnt vmcnt(0)
	v_readfirstlane_b32 s12, v0
	v_readfirstlane_b32 s13, v1
	s_and_b64 s[12:13], s[12:13], s[6:7]
	s_mul_i32 s13, s13, 24
	s_mul_hi_u32 s14, s12, 24
	s_mul_i32 s12, s12, 24
	s_add_i32 s13, s14, s13
	v_lshl_add_u64 v[4:5], v[4:5], 0, s[12:13]
	global_store_dwordx2 v[4:5], v[14:15], off
	buffer_wbl2 sc0 sc1
	s_waitcnt vmcnt(0)
	global_atomic_cmpswap_x2 v[2:3], v10, v[12:15], s[2:3] offset:32 sc0 sc1
	s_waitcnt vmcnt(0)
	v_cmp_ne_u64_e32 vcc, v[2:3], v[14:15]
	s_and_saveexec_b64 s[12:13], vcc
	s_cbranch_execz .LBB1_378
; %bb.376:
	s_mov_b64 s[14:15], 0
.LBB1_377:                              ; =>This Inner Loop Header: Depth=1
	s_sleep 1
	global_store_dwordx2 v[4:5], v[2:3], off
	v_mov_b32_e32 v0, s6
	v_mov_b32_e32 v1, s7
	buffer_wbl2 sc0 sc1
	s_waitcnt vmcnt(0)
	global_atomic_cmpswap_x2 v[0:1], v10, v[0:3], s[2:3] offset:32 sc0 sc1
	s_waitcnt vmcnt(0)
	v_cmp_eq_u64_e32 vcc, v[0:1], v[2:3]
	s_or_b64 s[14:15], vcc, s[14:15]
	v_mov_b64_e32 v[2:3], v[0:1]
	s_andn2_b64 exec, exec, s[14:15]
	s_cbranch_execnz .LBB1_377
.LBB1_378:
	s_or_b64 exec, exec, s[12:13]
	v_mov_b32_e32 v3, 0
	global_load_dwordx2 v[0:1], v3, s[2:3] offset:16
	s_mov_b64 s[12:13], exec
	v_mbcnt_lo_u32_b32 v2, s12, 0
	v_mbcnt_hi_u32_b32 v2, s13, v2
	v_cmp_eq_u32_e32 vcc, 0, v2
	s_and_saveexec_b64 s[14:15], vcc
	s_cbranch_execz .LBB1_380
; %bb.379:
	s_bcnt1_i32_b64 s12, s[12:13]
	v_mov_b32_e32 v2, s12
	buffer_wbl2 sc0 sc1
	s_waitcnt vmcnt(0)
	global_atomic_add_x2 v[0:1], v[2:3], off offset:8 sc1
.LBB1_380:
	s_or_b64 exec, exec, s[14:15]
	s_waitcnt vmcnt(0)
	global_load_dwordx2 v[2:3], v[0:1], off offset:16
	s_waitcnt vmcnt(0)
	v_cmp_eq_u64_e32 vcc, 0, v[2:3]
	s_cbranch_vccnz .LBB1_382
; %bb.381:
	global_load_dword v0, v[0:1], off offset:24
	v_mov_b32_e32 v1, 0
	buffer_wbl2 sc0 sc1
	s_waitcnt vmcnt(0)
	global_store_dwordx2 v[2:3], v[0:1], off sc0 sc1
	v_and_b32_e32 v0, 0xffffff, v0
	s_nop 0
	v_readfirstlane_b32 m0, v0
	s_sendmsg sendmsg(MSG_INTERRUPT)
.LBB1_382:
	s_or_b64 exec, exec, s[10:11]
	v_lshl_add_u64 v[0:1], v[6:7], 0, v[32:33]
	s_branch .LBB1_386
.LBB1_383:                              ;   in Loop: Header=BB1_386 Depth=1
	s_or_b64 exec, exec, s[10:11]
	v_readfirstlane_b32 s10, v2
	s_cmp_eq_u32 s10, 0
	s_cbranch_scc1 .LBB1_385
; %bb.384:                              ;   in Loop: Header=BB1_386 Depth=1
	s_sleep 1
	s_cbranch_execnz .LBB1_386
	s_branch .LBB1_388
.LBB1_385:
	s_branch .LBB1_388
.LBB1_386:                              ; =>This Inner Loop Header: Depth=1
	v_mov_b32_e32 v2, 1
	s_and_saveexec_b64 s[10:11], s[0:1]
	s_cbranch_execz .LBB1_383
; %bb.387:                              ;   in Loop: Header=BB1_386 Depth=1
	global_load_dword v2, v[8:9], off offset:20 sc0 sc1
	s_waitcnt vmcnt(0)
	buffer_inv sc0 sc1
	v_and_b32_e32 v2, 1, v2
	s_branch .LBB1_383
.LBB1_388:
	global_load_dwordx2 v[0:1], v[0:1], off
	s_and_saveexec_b64 s[10:11], s[0:1]
	s_cbranch_execz .LBB1_391
; %bb.389:
	v_mov_b32_e32 v8, 0
	global_load_dwordx2 v[6:7], v8, s[2:3] offset:40
	global_load_dwordx2 v[10:11], v8, s[2:3] offset:24 sc0 sc1
	global_load_dwordx2 v[12:13], v8, s[2:3]
	s_mov_b64 s[0:1], 0
	s_waitcnt vmcnt(2)
	v_lshl_add_u64 v[2:3], v[6:7], 0, 1
	v_lshl_add_u64 v[14:15], v[2:3], 0, s[6:7]
	v_cmp_eq_u64_e32 vcc, 0, v[14:15]
	s_waitcnt vmcnt(1)
	v_mov_b32_e32 v4, v10
	v_cndmask_b32_e32 v3, v15, v3, vcc
	v_cndmask_b32_e32 v2, v14, v2, vcc
	v_and_b32_e32 v5, v3, v7
	v_and_b32_e32 v6, v2, v6
	v_mul_lo_u32 v5, v5, 24
	v_mul_hi_u32 v7, v6, 24
	v_mul_lo_u32 v6, v6, 24
	v_add_u32_e32 v7, v7, v5
	s_waitcnt vmcnt(0)
	v_lshl_add_u64 v[6:7], v[12:13], 0, v[6:7]
	global_store_dwordx2 v[6:7], v[10:11], off
	v_mov_b32_e32 v5, v11
	buffer_wbl2 sc0 sc1
	s_waitcnt vmcnt(0)
	global_atomic_cmpswap_x2 v[4:5], v8, v[2:5], s[2:3] offset:24 sc0 sc1
	s_waitcnt vmcnt(0)
	v_cmp_ne_u64_e32 vcc, v[4:5], v[10:11]
	s_and_b64 exec, exec, vcc
	s_cbranch_execz .LBB1_391
.LBB1_390:                              ; =>This Inner Loop Header: Depth=1
	s_sleep 1
	global_store_dwordx2 v[6:7], v[4:5], off
	buffer_wbl2 sc0 sc1
	s_waitcnt vmcnt(0)
	global_atomic_cmpswap_x2 v[10:11], v8, v[2:5], s[2:3] offset:24 sc0 sc1
	s_waitcnt vmcnt(0)
	v_cmp_eq_u64_e32 vcc, v[10:11], v[4:5]
	s_or_b64 s[0:1], vcc, s[0:1]
	v_mov_b64_e32 v[4:5], v[10:11]
	s_andn2_b64 exec, exec, s[0:1]
	s_cbranch_execnz .LBB1_390
.LBB1_391:
	s_or_b64 exec, exec, s[10:11]
.LBB1_392:
	s_or_b64 exec, exec, s[4:5]
	s_getpc_b64 s[0:1]
	s_add_u32 s0, s0, .str.1@rel32@lo+4
	s_addc_u32 s1, s1, .str.1@rel32@hi+12
	s_getpc_b64 s[2:3]
	s_add_u32 s2, s2, .str.1@rel32@lo+32
	s_addc_u32 s3, s3, .str.1@rel32@hi+40
	s_sub_i32 s4, s2, s0
	s_ashr_i32 s5, s4, 31
	s_waitcnt vmcnt(0)
	v_mov_b32_e32 v2, s0
	v_mov_b32_e32 v3, s1
	v_mov_b32_e32 v4, s4
	v_mov_b32_e32 v5, s5
	v_mov_b32_e32 v6, 1
	s_getpc_b64 s[2:3]
	s_add_u32 s2, s2, __ockl_fprintf_append_string_n@rel32@lo+4
	s_addc_u32 s3, s3, __ockl_fprintf_append_string_n@rel32@hi+12
	s_swappc_b64 s[30:31], s[2:3]
	s_trap 2
.Lfunc_end1:
	.size	__assert_fail, .Lfunc_end1-__assert_fail
                                        ; -- End function
	.section	.AMDGPU.csdata,"",@progbits
; Function info:
; codeLenInByte = 14360
; NumSgprs: 40
; NumVgprs: 40
; NumAgprs: 0
; TotalNumVgprs: 40
; ScratchSize: 64
; MemoryBound: 0
	.text
	.p2align	2                               ; -- Begin function _ZN12_GLOBAL__N_17runRingI6__half8FuncProdIS1_E11ProtoSimpleILi1ELi4ELi0ELi1ELi0ELi0EELi0ELi0ELi1ELi0EEEviiP15ncclDevWorkColl
	.type	_ZN12_GLOBAL__N_17runRingI6__half8FuncProdIS1_E11ProtoSimpleILi1ELi4ELi0ELi1ELi0ELi0EELi0ELi0ELi1ELi0EEEviiP15ncclDevWorkColl,@function
_ZN12_GLOBAL__N_17runRingI6__half8FuncProdIS1_E11ProtoSimpleILi1ELi4ELi0ELi1ELi0ELi0EELi0ELi0ELi1ELi0EEEviiP15ncclDevWorkColl: ; @_ZN12_GLOBAL__N_17runRingI6__half8FuncProdIS1_E11ProtoSimpleILi1ELi4ELi0ELi1ELi0ELi0EELi0ELi0ELi1ELi0EEEviiP15ncclDevWorkColl
; %bb.0:
	s_waitcnt vmcnt(0) expcnt(0) lgkmcnt(0)
	s_mov_b32 s0, s33
	s_mov_b32 s33, s32
	s_or_saveexec_b64 s[2:3], -1
	scratch_store_dword off, v63, s33 offset:64 ; 4-byte Folded Spill
	s_mov_b64 exec, s[2:3]
	v_writelane_b32 v63, s0, 51
	s_addk_i32 s32, 0x50
	scratch_store_dword off, v40, s33 offset:60 ; 4-byte Folded Spill
	scratch_store_dword off, v41, s33 offset:56 ; 4-byte Folded Spill
	;; [unrolled: 1-line block ×15, first 2 shown]
	scratch_store_dword off, a32, s33       ; 4-byte Folded Spill
	v_writelane_b32 v63, s34, 0
	v_writelane_b32 v63, s35, 1
	;; [unrolled: 1-line block ×50, first 2 shown]
	s_nop 1
	v_writelane_b32 v63, s31, 50
	v_mov_b32_e32 v14, v1
	s_trap 2
	flat_load_dword v1, v[2:3]
	ds_read_b32 v4, v0
	v_mov_b32_e32 v48, v0
                                        ; implicit-def: $vgpr16_vgpr17
                                        ; implicit-def: $agpr4_agpr5
                                        ; implicit-def: $vgpr52_vgpr53
	s_waitcnt lgkmcnt(0)
	v_readfirstlane_b32 s70, v4
	s_waitcnt vmcnt(0)
	v_cmp_ne_u32_sdwa s[0:1], v1, v4 src0_sel:BYTE_0 src1_sel:DWORD
	s_and_saveexec_b64 s[2:3], s[0:1]
	s_xor_b64 s[0:1], exec, s[2:3]
	s_cbranch_execz .LBB2_6
; %bb.1:
	v_not_b32_sdwa v0, v1 dst_sel:DWORD dst_unused:UNUSED_PAD src0_sel:BYTE_0
	v_cmp_ne_u32_sdwa s[2:3], v1, v4 src0_sel:BYTE_1 src1_sel:DWORD
                                        ; implicit-def: $vgpr16_vgpr17
                                        ; implicit-def: $agpr4_agpr5
                                        ; implicit-def: $vgpr52_vgpr53
	s_and_saveexec_b64 s[4:5], s[2:3]
	s_xor_b64 s[2:3], exec, s[4:5]
	s_cbranch_execz .LBB2_3
; %bb.2:
	flat_load_dwordx4 v[6:9], v[2:3] offset:72
	flat_load_dwordx2 v[10:11], v[2:3] offset:96
	v_add_u32_e32 v0, v4, v0
	v_ashrrev_i32_e32 v1, 31, v0
	s_waitcnt vmcnt(0) lgkmcnt(0)
	v_mul_lo_u32 v1, v8, v1
	v_mad_u64_u32 v[4:5], s[4:5], v8, v0, v[6:7]
	v_mul_lo_u32 v0, v9, v0
	v_add3_u32 v5, v0, v5, v1
	v_accvgpr_write_b32 a4, v4
	v_lshrrev_b64 v[16:17], 13, v[10:11]
	v_accvgpr_write_b32 a5, v5
	v_mov_b64_e32 v[52:53], v[8:9]
                                        ; implicit-def: $vgpr1
                                        ; implicit-def: $vgpr0
.LBB2_3:
	s_andn2_saveexec_b64 s[2:3], s[2:3]
	s_cbranch_execz .LBB2_5
; %bb.4:
	flat_load_dwordx4 v[4:7], v[2:3] offset:72
	flat_load_dwordx4 v[52:55], v[2:3] offset:88
	v_add_u32_sdwa v0, v1, v0 dst_sel:DWORD dst_unused:UNUSED_PAD src0_sel:BYTE_1 src1_sel:DWORD
	v_ashrrev_i32_e32 v1, 31, v0
	s_waitcnt vmcnt(0) lgkmcnt(0)
	v_mul_lo_u32 v1, v6, v1
	v_mad_u64_u32 v[4:5], s[4:5], v6, v0, v[4:5]
	v_mul_lo_u32 v0, v7, v0
	v_add3_u32 v5, v0, v5, v1
	v_accvgpr_write_b32 a4, v4
	v_accvgpr_write_b32 a5, v5
	v_lshrrev_b32_e32 v16, 2, v55
.LBB2_5:
	s_or_b64 exec, exec, s[2:3]
.LBB2_6:
	s_andn2_saveexec_b64 s[0:1], s[0:1]
	s_cbranch_execz .LBB2_8
; %bb.7:
	flat_load_dwordx2 v[0:1], v[2:3] offset:96
	flat_load_dwordx2 v[52:53], v[2:3] offset:72
	s_waitcnt vmcnt(0) lgkmcnt(0)
	v_lshlrev_b64 v[16:17], 8, v[0:1]
	v_mov_b64_e32 v[0:1], 0
	v_accvgpr_write_b32 a5, v1
	v_accvgpr_write_b32 a4, v0
.LBB2_8:
	s_or_b64 exec, exec, s[0:1]
	s_trap 2
	ds_read_b64 v[4:5], v0
	s_waitcnt lgkmcnt(0)
	v_cmp_ne_u32_e32 vcc, -1, v4
	s_nop 1
	v_cndmask_b32_e64 v1, 0, 1, vcc
	v_cmp_ne_u32_e32 vcc, -1, v5
	s_nop 1
	v_addc_co_u32_e64 v0, s[0:1], 0, v1, vcc
	v_lshlrev_b32_e32 v4, 1, v0
	v_cmp_le_i32_e64 s[0:1], v4, v14
	s_and_saveexec_b64 s[2:3], s[0:1]
	s_xor_b64 s[34:35], exec, s[2:3]
	s_cbranch_execz .LBB2_1223
; %bb.9:
	flat_load_dwordx2 v[34:35], v[2:3] offset:104
	flat_load_dwordx4 v[10:13], v[2:3] offset:16
	flat_load_ushort v7, v[2:3] offset:8
	flat_load_dword v6, v[2:3] offset:4
	s_trap 2
	s_load_dword s0, s[8:9], 0x0
	v_mov_b32_e32 v4, 0
	v_mov_b32_e32 v62, 4
	s_waitcnt lgkmcnt(0)
	s_cmp_lt_u32 s12, s0
	s_cselect_b32 s0, 12, 18
	s_add_u32 s0, s8, s0
	s_addc_u32 s1, s9, 0
	global_load_ushort v15, v4, s[0:1]
	ds_read_b32 v4, v0
	v_cmp_ge_i32_e64 s[0:1], v48, v1
	s_waitcnt lgkmcnt(0)
	v_readfirstlane_b32 s16, v4
	s_and_saveexec_b64 s[2:3], s[0:1]
	s_cbranch_execz .LBB2_19
; %bb.10:
	v_cmp_le_u32_e64 s[0:1], v0, v48
                                        ; implicit-def: $vgpr62
	s_and_saveexec_b64 s[4:5], s[0:1]
	s_xor_b64 s[0:1], exec, s[4:5]
	s_cbranch_execz .LBB2_16
; %bb.11:
	v_cndmask_b32_e64 v4, 0, 1, vcc
	v_sub_u32_e32 v4, v14, v4
	v_cmp_ge_u32_e32 vcc, v48, v4
                                        ; implicit-def: $sgpr6
	s_and_saveexec_b64 s[4:5], vcc
	s_xor_b64 s[4:5], exec, s[4:5]
; %bb.12:
	s_mov_b32 s6, 16
                                        ; implicit-def: $vgpr0
; %bb.13:
	s_or_saveexec_b64 s[4:5], s[4:5]
	v_mov_b32_e32 v62, s6
	s_xor_b64 exec, exec, s[4:5]
; %bb.14:
	v_sub_u32_e32 v0, v14, v0
	v_cmp_ge_i32_e32 vcc, v48, v0
	s_nop 1
	v_cndmask_b32_e64 v0, 0, 1, vcc
	v_lshlrev_b32_e32 v62, 5, v0
; %bb.15:
	s_or_b64 exec, exec, s[4:5]
.LBB2_16:
	s_andn2_saveexec_b64 s[0:1], s[0:1]
; %bb.17:
	v_mov_b32_e32 v62, 8
; %bb.18:
	s_or_b64 exec, exec, s[0:1]
.LBB2_19:
	s_or_b64 exec, exec, s[2:3]
	v_and_b32_e32 v0, 36, v62
	v_cmp_ne_u32_e32 vcc, 0, v0
	v_mov_b32_e32 v8, -1
	s_and_saveexec_b64 s[0:1], vcc
	s_cbranch_execz .LBB2_21
; %bb.20:
	s_trap 2
	ds_read_b32 v8, v0
.LBB2_21:
	s_or_b64 exec, exec, s[0:1]
	v_and_b32_e32 v0, 24, v62
	v_cmp_ne_u32_e64 s[0:1], 0, v0
	s_and_saveexec_b64 s[2:3], s[0:1]
	s_cbranch_execz .LBB2_23
; %bb.22:
	s_trap 2
	s_waitcnt lgkmcnt(0)
	ds_read_b32 v8, v0
.LBB2_23:
	s_or_b64 exec, exec, s[2:3]
	s_waitcnt vmcnt(0)
	v_lshrrev_b64 v[4:5], 31, v[6:7]
	v_mov_b64_e32 v[26:27], 0
	v_and_b32_e32 v4, 3, v4
	s_waitcnt lgkmcnt(0)
	v_ashrrev_i32_e32 v9, 31, v8
	v_mov_b64_e32 v[6:7], v[26:27]
                                        ; implicit-def: $agpr8_agpr9
                                        ; implicit-def: $vgpr24
                                        ; implicit-def: $vgpr20_vgpr21
                                        ; implicit-def: $vgpr60_vgpr61
                                        ; implicit-def: $vgpr32_vgpr33
                                        ; implicit-def: $vgpr22_vgpr23
	s_and_saveexec_b64 s[0:1], vcc
	s_cbranch_execz .LBB2_33
; %bb.24:
	s_trap 2
	ds_read_b64 v[6:7], v0
	v_and_b32_e32 v0, 0xffff, v4
	s_movk_i32 s2, 0xa8
                                        ; implicit-def: $agpr8_agpr9
	s_waitcnt lgkmcnt(0)
	v_lshl_add_u64 v[6:7], v[8:9], 3, v[6:7]
	flat_load_dwordx2 v[6:7], v[6:7]
	s_waitcnt vmcnt(0) lgkmcnt(0)
	v_mad_u64_u32 v[6:7], s[2:3], v0, s2, v[6:7]
	flat_load_dword v0, v[6:7] offset:640
	s_mov_b64 s[2:3], 0x1f8
	v_lshl_add_u64 v[26:27], v[6:7], 0, s[2:3]
	s_waitcnt vmcnt(0) lgkmcnt(0)
	v_cmp_eq_u32_e32 vcc, 1, v0
	s_and_saveexec_b64 s[2:3], vcc
	s_cbranch_execz .LBB2_26
; %bb.25:
	flat_load_dwordx2 v[18:19], v[26:27] offset:144
	v_or_b32_e32 v62, 0x2000, v62
	s_waitcnt vmcnt(0) lgkmcnt(0)
	flat_load_dwordx2 v[6:7], v[18:19]
	s_trap 2
	v_accvgpr_write_b32 a8, v18
	v_accvgpr_write_b32 a9, v19
	s_waitcnt vmcnt(0) lgkmcnt(0)
	ds_write_b64 v0, v[6:7]
	flat_load_dwordx2 v[6:7], v[18:19] offset:8
	s_waitcnt vmcnt(0) lgkmcnt(0)
	ds_write_b64 v0, v[6:7]
	flat_load_dwordx2 v[6:7], v[18:19] offset:16
	s_waitcnt vmcnt(0) lgkmcnt(0)
	ds_write_b64 v0, v[6:7]
.LBB2_26:
	s_or_b64 exec, exec, s[2:3]
	flat_load_dwordx2 v[6:7], v[26:27] offset:104
	v_and_b32_e32 v0, 32, v62
	v_cmp_ne_u32_e32 vcc, 0, v0
                                        ; implicit-def: $vgpr22_vgpr23
	s_waitcnt vmcnt(0) lgkmcnt(0)
	v_lshl_add_u64 v[20:21], v[6:7], 0, 3
	v_and_b32_e32 v20, -4, v20
	s_and_saveexec_b64 s[2:3], vcc
	s_cbranch_execz .LBB2_28
; %bb.27:
	flat_load_dwordx2 v[22:23], v[26:27] offset:56
	s_waitcnt vmcnt(0) lgkmcnt(0)
	flat_store_dwordx2 v[22:23], v[20:21] sc0 sc1
.LBB2_28:
	s_or_b64 exec, exec, s[2:3]
	v_and_b32_e32 v0, 4, v62
	v_cmp_ne_u32_e32 vcc, 0, v0
	v_mov_b64_e32 v[6:7], 0
                                        ; implicit-def: $vgpr24
                                        ; implicit-def: $vgpr60_vgpr61
                                        ; implicit-def: $vgpr32_vgpr33
	s_and_saveexec_b64 s[2:3], vcc
	s_cbranch_execz .LBB2_32
; %bb.29:
	v_and_b32_e32 v0, 0x800, v62
	v_cmp_eq_u32_e32 vcc, 0, v0
	s_and_saveexec_b64 s[4:5], vcc
	s_cbranch_execz .LBB2_31
; %bb.30:
	s_trap 2
	ds_write_b64 v0, v[26:27]
.LBB2_31:
	s_or_b64 exec, exec, s[4:5]
	flat_load_dwordx2 v[22:23], v[26:27] offset:48
	v_or_b32_e32 v5, 0x100, v62
	s_waitcnt vmcnt(0) lgkmcnt(0)
	flat_load_dwordx2 v[32:33], v[22:23] sc0 sc1
	flat_load_dword v0, v[26:27] offset:72
	flat_load_dwordx2 v[6:7], v[26:27] offset:96
	flat_load_dwordx2 v[60:61], v[26:27] offset:16
	s_waitcnt vmcnt(0) lgkmcnt(0)
	v_ashrrev_i32_e32 v24, 1, v0
	v_cmp_eq_u64_e32 vcc, 0, v[6:7]
	s_nop 1
	v_cndmask_b32_e32 v62, v5, v62, vcc
.LBB2_32:
	s_or_b64 exec, exec, s[2:3]
.LBB2_33:
	s_or_b64 exec, exec, s[0:1]
	v_and_b32_e32 v0, 24, v62
	v_cmp_ne_u32_e32 vcc, 0, v0
                                        ; implicit-def: $vgpr54_vgpr55
	s_and_saveexec_b64 s[0:1], vcc
	s_cbranch_execz .LBB2_41
; %bb.34:
	s_trap 2
	ds_read_b64 v[6:7], v0
	v_and_b32_e32 v0, 0xffff, v4
	s_movk_i32 s2, 0xa8
                                        ; implicit-def: $vgpr54_vgpr55
	s_waitcnt lgkmcnt(0)
	v_lshl_add_u64 v[6:7], v[8:9], 3, v[6:7]
	flat_load_dwordx2 v[6:7], v[6:7]
	s_waitcnt vmcnt(0) lgkmcnt(0)
	v_mad_u64_u32 v[26:27], s[2:3], v0, s2, v[6:7]
	flat_load_dwordx4 v[6:9], v[26:27] offset:96
	v_or_b32_e32 v0, 0x100, v62
	s_waitcnt vmcnt(0) lgkmcnt(0)
	v_cmp_eq_u64_e32 vcc, 0, v[6:7]
	s_nop 1
	v_cndmask_b32_e32 v62, v0, v62, vcc
	v_and_b32_e32 v0, 16, v62
	v_cmp_ne_u32_e32 vcc, 0, v0
	s_and_saveexec_b64 s[2:3], vcc
	s_cbranch_execz .LBB2_36
; %bb.35:
	flat_load_dwordx2 v[54:55], v[26:27] offset:120
	flat_load_dwordx2 v[22:23], v[26:27] offset:48
	;; [unrolled: 1-line block ×3, first 2 shown]
.LBB2_36:
	s_or_b64 exec, exec, s[2:3]
	v_lshl_add_u64 v[20:21], v[8:9], 0, 3
	v_and_b32_e32 v0, 8, v62
	v_and_b32_e32 v20, -4, v20
	v_cmp_ne_u32_e32 vcc, 0, v0
	s_and_saveexec_b64 s[2:3], vcc
	s_cbranch_execz .LBB2_40
; %bb.37:
	v_and_b32_e32 v0, 0x800, v62
	v_cmp_eq_u32_e32 vcc, 0, v0
	s_and_saveexec_b64 s[4:5], vcc
	s_cbranch_execz .LBB2_39
; %bb.38:
	s_trap 2
	ds_write_b64 v0, v[26:27]
.LBB2_39:
	s_or_b64 exec, exec, s[4:5]
	s_waitcnt vmcnt(0) lgkmcnt(0)
	flat_load_dwordx2 v[22:23], v[26:27] offset:56
	s_waitcnt vmcnt(0) lgkmcnt(0)
	flat_load_dwordx2 v[32:33], v[22:23] sc0 sc1
	flat_load_dword v0, v[26:27] offset:72
	flat_load_dwordx2 v[60:61], v[26:27] offset:16
	s_waitcnt vmcnt(0) lgkmcnt(0)
	v_ashrrev_i32_e32 v24, 1, v0
.LBB2_40:
	s_or_b64 exec, exec, s[2:3]
.LBB2_41:
	s_or_b64 exec, exec, s[0:1]
	v_cmp_eq_u32_e64 s[0:1], 0, v48
	s_and_saveexec_b64 s[2:3], s[0:1]
	s_cbranch_execz .LBB2_43
; %bb.42:
	flat_load_dwordx2 v[4:5], v[2:3] offset:32
	v_mov_b32_e32 v8, v12
	v_mov_b32_e32 v9, v13
	ds_write2_b64 v0, v[8:9], v[10:11] offset1:1
	s_trap 2
	s_waitcnt vmcnt(0) lgkmcnt(0)
	ds_write_b64 v0, v[4:5]
	ds_write_b64 v0, v[34:35]
.LBB2_43:
	s_or_b64 exec, exec, s[2:3]
	s_mov_b64 s[38:39], 0
	v_cmp_lt_i64_e32 vcc, 0, v[52:53]
	v_mov_b64_e32 v[12:13], 0
	s_and_saveexec_b64 s[36:37], vcc
	s_cbranch_execz .LBB2_1187
; %bb.44:
	flat_load_dword v5, v[2:3] offset:4
	s_ashr_i32 s17, s16, 31
	s_lshr_b32 s17, s17, 29
	s_add_i32 s22, s16, s17
	s_ashr_i32 s71, s70, 31
	s_ashr_i32 s23, s22, 4
	v_lshlrev_b32_e32 v12, 4, v48
	s_add_u32 s46, s70, -1
	v_ashrrev_i32_e32 v8, 31, v48
	v_ashrrev_i32_e32 v13, 31, v12
	s_addc_u32 s47, s71, -1
	s_add_i32 s73, s70, s70
	s_not_b32 s24, s70
	v_lshrrev_b32_e32 v34, 6, v14
	v_mov_b32_e32 v9, 0xfffff800
	v_lshrrev_b32_e32 v11, 26, v8
	v_accvgpr_write_b32 a17, v13
	s_cmp_gt_i32 s70, 0
	v_mov_b32_e32 v10, 0xfffffe00
	v_lshl_add_u32 v8, v34, 11, v9
	v_accvgpr_write_b32 a16, v12
	v_add_u32_e32 v12, v48, v11
	s_cselect_b32 s24, s24, -1
	s_ashr_i32 s22, s22, 31
	s_mov_b64 s[18:19], 0x800
	v_lshl_add_u32 v10, v34, 9, v10
	v_ashrrev_i32_e32 v9, 31, v8
	v_ashrrev_i32_e32 v13, 6, v12
	v_and_b32_e32 v12, 0xffffffc0, v12
	s_lshr_b32 s22, s22, 29
	s_mov_b64 s[20:21], 0x200
	v_ashrrev_i32_e32 v11, 31, v10
	v_lshl_add_u64 v[58:59], v[8:9], 0, s[18:19]
	v_sub_u32_e32 v9, v48, v12
	s_add_i32 s74, s24, s73
	s_add_i32 s23, s23, s22
	v_lshl_add_u64 v[40:41], v[10:11], 0, s[20:21]
	v_cmp_lt_i32_e64 s[18:19], v9, v1
	v_cmp_le_i32_e64 s[20:21], v9, v1
	s_ashr_i32 s75, s74, 31
	s_ashr_i32 s76, s23, 3
	v_and_b32_e32 v2, 0x1fffff00, v16
	s_cmp_gt_i32 s70, 2
	v_cmp_ge_i32_e64 s[2:3], v48, v14
	v_cmp_eq_u32_e64 s[4:5], 64, v14
	v_cmp_ne_u32_e64 s[6:7], 64, v14
	v_accvgpr_write_b32 a2, v15
	v_cmp_ne_u32_sdwa s[40:41], v15, v14 src0_sel:WORD_0 src1_sel:DWORD
	v_and_b32_e32 v4, 63, v31
	v_accvgpr_write_b32 a1, v14
	v_mad_i64_i32 v[14:15], s[14:15], v2, s70, 0
	v_lshlrev_b32_e32 v8, 11, v13
	s_cselect_b64 s[48:49], -1, 0
	s_add_i32 s24, s70, 1
	v_cmp_eq_u32_e64 s[14:15], 0, v4
	v_lshlrev_b32_e32 v49, 10, v34
	v_lshlrev_b32_e32 v4, 7, v34
	v_lshl_add_u32 v8, v9, 4, v8
	v_add_u32_e32 v50, 0xfffffc00, v49
	v_add_u32_e32 v36, 0xffffff80, v4
	v_cmp_gt_i32_e64 s[16:17], 1, v9
	v_accvgpr_write_b32 a26, v9
	v_ashrrev_i32_e32 v9, 31, v8
	v_accvgpr_write_b32 a10, v26
	v_mov_b32_e32 v3, 0
	v_ashrrev_i32_e32 v39, 31, v24
	s_mov_b64 s[42:43], 0x400
	s_mov_b64 s[44:45], 0x80
	v_mov_b64_e32 v[46:47], 0
	v_ashrrev_i32_e32 v51, 31, v50
	v_ashrrev_i32_e32 v37, 31, v36
	v_sub_u32_e32 v10, 0, v13
	v_accvgpr_write_b32 a29, v9
	v_accvgpr_write_b32 a6, v52
	s_waitcnt vmcnt(0) lgkmcnt(0)
	v_accvgpr_write_b32 a12, v54
	v_accvgpr_write_b32 a21, v15
	;; [unrolled: 1-line block ×5, first 2 shown]
	v_and_b32_e32 v1, 1, v5
	v_cmp_eq_u32_e64 s[22:23], 1, v1
	s_xor_b64 s[50:51], s[22:23], -1
	s_cmp_le_i32 s70, s24
	s_cselect_b32 s25, s70, 0
	s_sub_i32 s78, s24, s25
	v_cmp_eq_u64_e64 s[10:11], 0, v[54:55]
	v_cmp_ne_u64_e64 s[12:13], 0, v[54:55]
	s_movk_i32 s72, 0x270e
	v_mov_b32_e32 v0, 1
	v_mov_b32_e32 v35, v3
	v_lshl_add_u64 v[42:43], v[50:51], 0, s[42:43]
	v_lshl_add_u64 v[44:45], v[36:37], 0, s[44:45]
	v_accvgpr_write_b32 a14, v13
	v_accvgpr_write_b32 a27, v10
	;; [unrolled: 1-line block ×3, first 2 shown]
	s_add_i32 s77, s70, -2
	s_ashr_i32 s79, s78, 31
	s_movk_i32 s80, 0x108
	v_mov_b64_e32 v[56:57], v[2:3]
	v_mov_b64_e32 v[12:13], v[46:47]
	v_accvgpr_write_b32 a7, v53
	v_accvgpr_write_b32 a13, v55
	;; [unrolled: 1-line block ×5, first 2 shown]
	s_trap 2
	s_branch .LBB2_47
.LBB2_45:                               ;   in Loop: Header=BB2_47 Depth=1
	s_or_b64 exec, exec, s[24:25]
.LBB2_46:                               ;   in Loop: Header=BB2_47 Depth=1
	s_or_b64 exec, exec, s[28:29]
	v_accvgpr_read_b32 v14, a20
	v_accvgpr_read_b32 v15, a21
	v_lshl_add_u64 v[46:47], v[46:47], 0, v[14:15]
	v_cmp_ge_i64_e32 vcc, v[46:47], v[52:53]
	s_or_b64 s[38:39], vcc, s[38:39]
	s_andn2_b64 exec, exec, s[38:39]
	s_cbranch_execz .LBB2_1186
.LBB2_47:                               ; =>This Loop Header: Depth=1
                                        ;     Child Loop BB2_62 Depth 2
                                        ;     Child Loop BB2_86 Depth 2
	;; [unrolled: 1-line block ×13, first 2 shown]
                                        ;       Child Loop BB2_275 Depth 3
                                        ;       Child Loop BB2_301 Depth 3
	;; [unrolled: 1-line block ×12, first 2 shown]
                                        ;     Child Loop BB2_491 Depth 2
                                        ;     Child Loop BB2_524 Depth 2
	;; [unrolled: 1-line block ×4, first 2 shown]
                                        ;       Child Loop BB2_619 Depth 3
                                        ;     Child Loop BB2_625 Depth 2
                                        ;       Child Loop BB2_626 Depth 3
                                        ;     Child Loop BB2_635 Depth 2
                                        ;     Child Loop BB2_640 Depth 2
                                        ;       Child Loop BB2_641 Depth 3
                                        ;     Child Loop BB2_653 Depth 2
                                        ;     Child Loop BB2_658 Depth 2
	;; [unrolled: 1-line block ×10, first 2 shown]
                                        ;       Child Loop BB2_743 Depth 3
                                        ;       Child Loop BB2_776 Depth 3
	;; [unrolled: 1-line block ×4, first 2 shown]
                                        ;         Child Loop BB2_871 Depth 4
                                        ;       Child Loop BB2_877 Depth 3
                                        ;         Child Loop BB2_878 Depth 4
                                        ;       Child Loop BB2_887 Depth 3
                                        ;       Child Loop BB2_892 Depth 3
                                        ;         Child Loop BB2_893 Depth 4
                                        ;       Child Loop BB2_905 Depth 3
                                        ;       Child Loop BB2_910 Depth 3
	;; [unrolled: 1-line block ×9, first 2 shown]
                                        ;     Child Loop BB2_991 Depth 2
                                        ;     Child Loop BB2_1015 Depth 2
	;; [unrolled: 1-line block ×12, first 2 shown]
	v_accvgpr_write_b32 a24, v58
	v_accvgpr_write_b32 a25, v59
	v_sub_co_u32_e32 v58, vcc, v52, v46
	v_accvgpr_write_b32 a18, v46
	v_accvgpr_write_b32 a19, v47
	v_subb_co_u32_e32 v59, vcc, v53, v47, vcc
	v_cmp_lt_i64_e32 vcc, v[58:59], v[14:15]
	s_mov_b64 s[26:27], exec
	s_and_b64 s[24:25], s[26:27], vcc
	v_accvgpr_read_b32 v47, a14
	s_mov_b64 exec, s[24:25]
	s_cbranch_execz .LBB2_53
; %bb.48:                               ;   in Loop: Header=BB2_47 Depth=1
	v_lshl_add_u64 v[8:9], s[46:47], 0, v[58:59]
	v_or_b32_e32 v11, s71, v9
	v_mov_b32_e32 v10, v3
	v_cmp_ne_u64_e32 vcc, 0, v[10:11]
                                        ; implicit-def: $vgpr10_vgpr11
	s_and_saveexec_b64 s[24:25], vcc
	s_xor_b64 s[28:29], exec, s[24:25]
	s_cbranch_execz .LBB2_50
; %bb.49:                               ;   in Loop: Header=BB2_47 Depth=1
	s_add_u32 s24, s70, s71
	s_mov_b32 s30, s71
	s_mov_b32 s31, s71
	s_addc_u32 s25, s71, s71
	s_xor_b64 s[52:53], s[24:25], s[30:31]
	v_cvt_f32_u32_e32 v1, s52
	v_cvt_f32_u32_e32 v2, s53
	s_sub_u32 s24, 0, s52
	s_subb_u32 s25, 0, s53
	v_fmac_f32_e32 v1, 0x4f800000, v2
	v_rcp_f32_e32 v1, v1
	s_nop 0
	v_mul_f32_e32 v1, 0x5f7ffffc, v1
	v_mul_f32_e32 v2, 0x2f800000, v1
	v_trunc_f32_e32 v2, v2
	v_fmac_f32_e32 v1, 0xcf800000, v2
	v_cvt_u32_f32_e32 v5, v2
	v_cvt_u32_f32_e32 v1, v1
	v_mul_lo_u32 v2, s24, v5
	v_mul_hi_u32 v11, s24, v1
	v_mul_lo_u32 v10, s25, v1
	v_add_u32_e32 v2, v11, v2
	v_mul_lo_u32 v14, s24, v1
	v_add_u32_e32 v15, v2, v10
	v_mul_hi_u32 v11, v1, v15
	v_mul_lo_u32 v10, v1, v15
	v_mul_hi_u32 v2, v1, v14
	v_lshl_add_u64 v[10:11], v[2:3], 0, v[10:11]
	v_mul_hi_u32 v2, v5, v14
	v_mul_lo_u32 v14, v5, v14
	v_add_co_u32_e32 v10, vcc, v10, v14
	v_mul_hi_u32 v16, v5, v15
	s_nop 0
	v_addc_co_u32_e32 v2, vcc, v11, v2, vcc
	v_mul_lo_u32 v10, v5, v15
	s_nop 0
	v_addc_co_u32_e32 v11, vcc, 0, v16, vcc
	v_lshl_add_u64 v[10:11], v[2:3], 0, v[10:11]
	v_add_co_u32_e32 v1, vcc, v1, v10
	v_mul_hi_u32 v10, s24, v1
	s_nop 0
	v_addc_co_u32_e32 v5, vcc, v5, v11, vcc
	v_mul_lo_u32 v2, s24, v5
	v_add_u32_e32 v2, v10, v2
	v_mul_lo_u32 v10, s25, v1
	v_add_u32_e32 v14, v2, v10
	v_mul_lo_u32 v2, s24, v1
	v_mul_hi_u32 v16, v5, v2
	v_mul_lo_u32 v17, v5, v2
	v_mul_hi_u32 v11, v1, v14
	;; [unrolled: 2-line block ×3, first 2 shown]
	v_lshl_add_u64 v[10:11], v[2:3], 0, v[10:11]
	v_add_co_u32_e32 v2, vcc, v10, v17
	v_mul_hi_u32 v15, v5, v14
	s_nop 0
	v_addc_co_u32_e32 v2, vcc, v11, v16, vcc
	v_mul_lo_u32 v10, v5, v14
	s_nop 0
	v_addc_co_u32_e32 v11, vcc, 0, v15, vcc
	v_lshl_add_u64 v[10:11], v[2:3], 0, v[10:11]
	v_add_co_u32_e32 v1, vcc, v1, v10
	v_ashrrev_i32_e32 v10, 31, v9
	s_nop 0
	v_addc_co_u32_e32 v5, vcc, v5, v11, vcc
	v_mov_b32_e32 v11, v10
	v_lshl_add_u64 v[8:9], v[8:9], 0, v[10:11]
	v_xor_b32_e32 v18, v8, v10
	v_xor_b32_e32 v11, v9, v10
	v_mad_u64_u32 v[8:9], s[24:25], v18, v5, 0
	v_mul_hi_u32 v2, v18, v1
	v_lshl_add_u64 v[8:9], v[2:3], 0, v[8:9]
	v_mad_u64_u32 v[16:17], s[24:25], v11, v1, 0
	v_add_co_u32_e32 v1, vcc, v8, v16
	v_mad_u64_u32 v[14:15], s[24:25], v11, v5, 0
	s_nop 0
	v_addc_co_u32_e32 v2, vcc, v9, v17, vcc
	v_mov_b32_e32 v5, s53
	s_nop 0
	v_addc_co_u32_e32 v15, vcc, 0, v15, vcc
	v_lshl_add_u64 v[8:9], v[2:3], 0, v[14:15]
	v_mul_lo_u32 v1, s53, v8
	v_mul_lo_u32 v2, s52, v9
	v_mad_u64_u32 v[14:15], s[24:25], s52, v8, 0
	v_add3_u32 v1, v15, v2, v1
	v_sub_u32_e32 v2, v11, v1
	v_sub_co_u32_e32 v18, vcc, v18, v14
	v_lshl_add_u64 v[16:17], v[8:9], 0, 1
	s_nop 0
	v_subb_co_u32_e64 v2, s[24:25], v2, v5, vcc
	v_subrev_co_u32_e64 v5, s[24:25], s52, v18
	v_subb_co_u32_e32 v1, vcc, v11, v1, vcc
	s_nop 0
	v_subbrev_co_u32_e64 v2, s[24:25], 0, v2, s[24:25]
	v_cmp_le_u32_e64 s[24:25], s53, v2
	v_cmp_le_u32_e32 vcc, s53, v1
	s_nop 0
	v_cndmask_b32_e64 v14, 0, -1, s[24:25]
	v_cmp_le_u32_e64 s[24:25], s52, v5
	s_nop 1
	v_cndmask_b32_e64 v5, 0, -1, s[24:25]
	v_cmp_eq_u32_e64 s[24:25], s53, v2
	s_nop 1
	v_cndmask_b32_e64 v2, v14, v5, s[24:25]
	v_cndmask_b32_e64 v5, 0, -1, vcc
	v_cmp_le_u32_e32 vcc, s52, v18
	v_lshl_add_u64 v[14:15], v[8:9], 0, 2
	v_cmp_ne_u32_e64 s[24:25], 0, v2
	v_cndmask_b32_e64 v11, 0, -1, vcc
	v_cmp_eq_u32_e32 vcc, s53, v1
	v_cndmask_b32_e64 v2, v17, v15, s[24:25]
	s_nop 0
	v_cndmask_b32_e32 v1, v5, v11, vcc
	v_cmp_ne_u32_e32 vcc, 0, v1
	v_xor_b32_e32 v5, s31, v10
	s_nop 0
	v_cndmask_b32_e32 v1, v9, v2, vcc
	v_cndmask_b32_e64 v2, v16, v14, s[24:25]
	v_cndmask_b32_e32 v2, v8, v2, vcc
	v_xor_b32_e32 v8, s30, v10
	v_xor_b32_e32 v2, v2, v8
	;; [unrolled: 1-line block ×3, first 2 shown]
	v_sub_co_u32_e32 v10, vcc, v2, v8
                                        ; implicit-def: $vgpr8_vgpr9
	s_nop 1
	v_subb_co_u32_e32 v11, vcc, v1, v5, vcc
.LBB2_50:                               ;   in Loop: Header=BB2_47 Depth=1
	s_andn2_saveexec_b64 s[24:25], s[28:29]
	s_cbranch_execz .LBB2_52
; %bb.51:                               ;   in Loop: Header=BB2_47 Depth=1
	v_cvt_f32_u32_e32 v1, s70
	s_sub_i32 s28, 0, s70
	v_rcp_iflag_f32_e32 v1, v1
	s_nop 0
	v_mul_f32_e32 v1, 0x4f7ffffe, v1
	v_cvt_u32_f32_e32 v1, v1
	v_mul_lo_u32 v2, s28, v1
	v_mul_hi_u32 v2, v1, v2
	v_add_u32_e32 v1, v1, v2
	v_mul_hi_u32 v1, v8, v1
	v_mul_lo_u32 v2, v1, s70
	v_sub_u32_e32 v2, v8, v2
	v_add_u32_e32 v5, 1, v1
	v_subrev_u32_e32 v8, s70, v2
	v_cmp_le_u32_e32 vcc, s70, v2
	s_nop 1
	v_cndmask_b32_e32 v2, v2, v8, vcc
	v_cndmask_b32_e32 v1, v1, v5, vcc
	v_add_u32_e32 v5, 1, v1
	v_cmp_le_u32_e32 vcc, s70, v2
	s_nop 1
	v_cndmask_b32_e32 v2, v1, v5, vcc
	v_mov_b64_e32 v[10:11], v[2:3]
.LBB2_52:                               ;   in Loop: Header=BB2_47 Depth=1
	s_or_b64 exec, exec, s[24:25]
	v_lshl_add_u64 v[56:57], v[10:11], 0, 7
	v_and_b32_e32 v56, -8, v56
.LBB2_53:                               ;   in Loop: Header=BB2_47 Depth=1
	s_or_b64 exec, exec, s[26:27]
	v_accvgpr_read_b32 v9, a5
	v_accvgpr_read_b32 v14, a18
	;; [unrolled: 1-line block ×4, first 2 shown]
	v_lshl_add_u64 v[8:9], v[14:15], 0, v[8:9]
	v_mul_lo_u32 v1, v57, s74
	v_mul_lo_u32 v2, v56, s75
	v_mad_u64_u32 v[10:11], s[24:25], v56, s74, 0
	v_accvgpr_write_b32 a31, v9
	v_add3_u32 v11, v11, v2, v1
	v_accvgpr_write_b32 a30, v8
	v_sub_co_u32_e32 v8, vcc, v58, v10
	s_nop 1
	v_subb_co_u32_e32 v9, vcc, v59, v11, vcc
	v_cmp_lt_i64_e32 vcc, v[56:57], v[8:9]
	s_nop 1
	v_cndmask_b32_e32 v2, v8, v56, vcc
	v_max_i32_e32 v1, 0, v2
	v_add_u32_e32 v5, 15, v1
	v_ashrrev_i32_e32 v8, 31, v5
	v_lshrrev_b32_e32 v8, 28, v8
	v_add_u32_e32 v5, v5, v8
	v_cmp_gt_i32_e32 vcc, 1, v2
	v_and_b32_e32 v5, -16, v5
	s_or_b64 s[26:27], s[2:3], vcc
	v_max_i32_e32 v8, s76, v5
	s_xor_b64 s[24:25], s[26:27], -1
	v_mov_b32_e32 v2, 0
	s_and_saveexec_b64 s[28:29], s[24:25]
	s_cbranch_execz .LBB2_192
; %bb.54:                               ;   in Loop: Header=BB2_47 Depth=1
	s_and_saveexec_b64 s[24:25], s[0:1]
	s_cbranch_execz .LBB2_56
; %bb.55:                               ;   in Loop: Header=BB2_47 Depth=1
	s_trap 2
	ds_read_b64 v[14:15], v0
	v_accvgpr_read_b32 v16, a30
	v_accvgpr_read_b32 v17, a31
	v_mov_b32_e32 v2, v3
	s_waitcnt lgkmcnt(0)
	v_lshl_add_u64 v[14:15], v[16:17], 1, v[14:15]
	v_lshl_add_u64 v[10:11], v[10:11], 1, v[14:15]
	ds_write_b64 v0, v[10:11]
	ds_write_b64 v0, v[2:3]
.LBB2_56:                               ;   in Loop: Header=BB2_47 Depth=1
	s_or_b64 exec, exec, s[24:25]
	v_and_b32_e32 v2, 8, v62
	v_cmp_ne_u32_e32 vcc, 0, v2
	s_mov_b64 s[30:31], -1
	s_and_saveexec_b64 s[24:25], vcc
	s_cbranch_execz .LBB2_68
; %bb.57:                               ;   in Loop: Header=BB2_47 Depth=1
	v_lshl_add_u64 v[14:15], v[32:33], 0, 8
	v_lshl_add_u64 v[10:11], v[20:21], 0, 4
	v_cmp_lt_u64_e32 vcc, v[14:15], v[10:11]
	v_mov_b32_e32 v2, 1
	s_and_saveexec_b64 s[30:31], vcc
	s_cbranch_execz .LBB2_67
; %bb.58:                               ;   in Loop: Header=BB2_47 Depth=1
	s_mov_b64 s[52:53], 0
	v_mov_b32_e32 v2, 0
                                        ; implicit-def: $sgpr54_sgpr55
	s_branch .LBB2_62
.LBB2_59:                               ;   in Loop: Header=BB2_62 Depth=2
	s_or_b64 exec, exec, s[62:63]
	v_mov_b32_e32 v5, 0
	s_orn2_b64 s[60:61], s[60:61], exec
.LBB2_60:                               ;   in Loop: Header=BB2_62 Depth=2
	s_or_b64 exec, exec, s[58:59]
	s_andn2_b64 vcc, s[54:55], exec
	s_and_b64 s[54:55], s[60:61], exec
	s_or_b64 s[54:55], vcc, s[54:55]
	v_mov_b32_e32 v2, v5
.LBB2_61:                               ;   in Loop: Header=BB2_62 Depth=2
	s_or_b64 exec, exec, s[56:57]
	s_waitcnt vmcnt(0) lgkmcnt(0)
	v_lshl_add_u64 v[14:15], v[32:33], 0, 8
	v_cmp_ge_u64_e32 vcc, v[14:15], v[10:11]
	s_xor_b64 s[56:57], s[54:55], -1
	s_or_b64 vcc, s[56:57], vcc
	s_and_b64 vcc, exec, vcc
	s_or_b64 s[52:53], vcc, s[52:53]
	s_andn2_b64 exec, exec, s[52:53]
	s_cbranch_execz .LBB2_66
.LBB2_62:                               ;   Parent Loop BB2_47 Depth=1
                                        ; =>  This Inner Loop Header: Depth=2
	s_sleep 1
	flat_load_dwordx2 v[32:33], v[22:23] sc0 sc1
	v_and_b32_e32 v5, 64, v62
	v_cmp_eq_u32_e32 vcc, 0, v5
	s_andn2_b64 s[54:55], s[54:55], exec
	s_and_saveexec_b64 s[56:57], vcc
	s_cbranch_execz .LBB2_61
; %bb.63:                               ;   in Loop: Header=BB2_62 Depth=2
	v_add_u32_e32 v5, 1, v2
	v_cmp_lt_i32_e32 vcc, s72, v2
	s_mov_b64 s[60:61], -1
	s_and_saveexec_b64 s[58:59], vcc
	s_cbranch_execz .LBB2_60
; %bb.64:                               ;   in Loop: Header=BB2_62 Depth=2
	s_trap 2
	ds_read_b64 v[14:15], v0
	s_waitcnt vmcnt(0) lgkmcnt(0)
	flat_load_dword v2, v[14:15] sc0 sc1
	s_waitcnt vmcnt(0) lgkmcnt(0)
	buffer_inv sc0 sc1
	v_cmp_ne_u32_e32 vcc, 0, v2
	s_and_saveexec_b64 s[62:63], vcc
	s_cbranch_execz .LBB2_59
; %bb.65:                               ;   in Loop: Header=BB2_62 Depth=2
	v_or_b32_e32 v62, 64, v62
	s_xor_b64 s[60:61], exec, -1
	ds_write_b32 v0, v2
	s_trap 2
	s_branch .LBB2_59
.LBB2_66:                               ;   in Loop: Header=BB2_47 Depth=1
	s_or_b64 exec, exec, s[52:53]
	v_and_b32_e32 v2, 8, v62
.LBB2_67:                               ;   in Loop: Header=BB2_47 Depth=1
	s_or_b64 exec, exec, s[30:31]
	v_cmp_eq_u32_e32 vcc, 0, v2
	s_orn2_b64 s[30:31], vcc, exec
	;;#ASMSTART
	s_wakeup
	;;#ASMEND
.LBB2_68:                               ;   in Loop: Header=BB2_47 Depth=1
	s_or_b64 exec, exec, s[24:25]
	s_xor_b64 s[24:25], s[30:31], -1
	v_min_i32_e32 v8, v8, v1
	s_and_saveexec_b64 s[30:31], s[24:25]
	s_cbranch_execz .LBB2_78
; %bb.69:                               ;   in Loop: Header=BB2_47 Depth=1
	v_and_b32_e32 v2, 0x100, v62
	v_cmp_ne_u32_e32 vcc, 0, v2
	v_and_b32_e32 v2, 7, v20
	s_mov_b64 s[24:25], -1
                                        ; implicit-def: $vgpr10_vgpr11
	s_and_saveexec_b64 s[52:53], vcc
	s_cbranch_execz .LBB2_73
; %bb.70:                               ;   in Loop: Header=BB2_47 Depth=1
	v_mad_u64_u32 v[14:15], s[24:25], v2, 24, v[6:7]
	flat_load_dword v5, v[14:15]
	v_ashrrev_i32_e32 v9, 31, v8
	v_lshlrev_b64 v[10:11], 1, v[8:9]
	flat_store_dwordx2 v[14:15], v[10:11] offset:8
                                        ; implicit-def: $vgpr10_vgpr11
	s_waitcnt vmcnt(0) lgkmcnt(0)
	v_cmp_ne_u32_e32 vcc, 1, v5
	v_cmp_eq_u32_e64 s[24:25], 1, v5
	s_and_saveexec_b64 s[54:55], s[24:25]
	s_cbranch_execz .LBB2_72
; %bb.71:                               ;   in Loop: Header=BB2_47 Depth=1
	flat_load_dword v10, v[14:15] offset:4 sc0 sc1
	s_waitcnt vmcnt(0) lgkmcnt(0)
	v_ashrrev_i32_e32 v11, 31, v10
	v_lshrrev_b64 v[10:11], 1, v[10:11]
.LBB2_72:                               ;   in Loop: Header=BB2_47 Depth=1
	s_or_b64 exec, exec, s[54:55]
	s_orn2_b64 s[24:25], vcc, exec
.LBB2_73:                               ;   in Loop: Header=BB2_47 Depth=1
	s_or_b64 exec, exec, s[52:53]
	s_and_saveexec_b64 vcc, s[24:25]
; %bb.74:                               ;   in Loop: Header=BB2_47 Depth=1
	v_mad_i64_i32 v[10:11], s[24:25], v2, v24, 0
; %bb.75:                               ;   in Loop: Header=BB2_47 Depth=1
	s_or_b64 exec, exec, vcc
	v_and_b32_e32 v2, 0x2000, v62
	v_lshl_add_u64 v[10:11], v[10:11], 1, v[60:61]
	v_cmp_ne_u32_e32 vcc, 0, v2
	ds_write_b64 v0, v[10:11] offset:784
	s_and_saveexec_b64 s[24:25], vcc
	s_cbranch_execz .LBB2_77
; %bb.76:                               ;   in Loop: Header=BB2_47 Depth=1
	ds_read_b64 v[10:11], v0 offset:584
	s_waitcnt lgkmcnt(0)
	v_lshl_add_u64 v[10:11], v[10:11], 0, 1
	ds_write_b64 v0, v[10:11] offset:584
.LBB2_77:                               ;   in Loop: Header=BB2_47 Depth=1
	s_or_b64 exec, exec, s[24:25]
	v_lshl_add_u64 v[20:21], v[20:21], 0, 4
.LBB2_78:                               ;   in Loop: Header=BB2_47 Depth=1
	s_or_b64 exec, exec, s[30:31]
	s_and_saveexec_b64 s[24:25], s[6:7]
	s_cbranch_execz .LBB2_97
; %bb.79:                               ;   in Loop: Header=BB2_47 Depth=1
	s_and_saveexec_b64 vcc, s[40:41]
	s_xor_b64 s[30:31], exec, vcc
	s_cbranch_execz .LBB2_94
; %bb.80:                               ;   in Loop: Header=BB2_47 Depth=1
	s_and_saveexec_b64 s[52:53], s[14:15]
	s_cbranch_execz .LBB2_93
; %bb.81:                               ;   in Loop: Header=BB2_47 Depth=1
	s_mov_b64 s[56:57], exec
	v_mbcnt_lo_u32_b32 v2, s56, 0
	v_mbcnt_hi_u32_b32 v2, s57, v2
	v_cmp_eq_u32_e32 vcc, 0, v2
	s_waitcnt lgkmcnt(0)
	s_and_saveexec_b64 s[54:55], vcc
	s_cbranch_execz .LBB2_83
; %bb.82:                               ;   in Loop: Header=BB2_47 Depth=1
	s_bcnt1_i32_b64 vcc_lo, s[56:57]
	v_mov_b32_e32 v2, vcc_lo
	ds_add_u64 v0, v[2:3]
	s_trap 2
.LBB2_83:                               ;   in Loop: Header=BB2_47 Depth=1
	s_or_b64 exec, exec, s[54:55]
	s_trap 2
	ds_read_b64 v[10:11], v0
	v_lshl_add_u64 v[12:13], v[12:13], 0, v[34:35]
	s_waitcnt lgkmcnt(0)
	v_cmp_lt_u64_e32 vcc, v[10:11], v[12:13]
	s_and_saveexec_b64 s[54:55], vcc
	s_cbranch_execz .LBB2_92
; %bb.84:                               ;   in Loop: Header=BB2_47 Depth=1
	s_mov_b32 s66, 0
	s_mov_b64 s[56:57], 0
                                        ; implicit-def: $sgpr58_sgpr59
                                        ; implicit-def: $sgpr60_sgpr61
	s_branch .LBB2_86
.LBB2_85:                               ;   in Loop: Header=BB2_86 Depth=2
	s_or_b64 exec, exec, s[64:65]
	s_and_b64 vcc, exec, vcc
	s_or_b64 s[56:57], vcc, s[56:57]
	s_andn2_b64 vcc, s[58:59], exec
	s_and_b64 s[58:59], s[60:61], exec
	s_or_b64 s[58:59], vcc, s[58:59]
	s_andn2_b64 exec, exec, s[56:57]
	s_cbranch_execz .LBB2_90
.LBB2_86:                               ;   Parent Loop BB2_47 Depth=1
                                        ; =>  This Inner Loop Header: Depth=2
	s_add_i32 s66, s66, 1
	s_cmpk_lg_i32 s66, 0x2710
	s_cselect_b64 s[62:63], -1, 0
	s_and_b64 vcc, exec, s[62:63]
                                        ; implicit-def: $sgpr64_sgpr65
	s_cbranch_vccnz .LBB2_88
; %bb.87:                               ;   in Loop: Header=BB2_86 Depth=2
	s_trap 2
	ds_read_b64 v[10:11], v0
	s_andn2_b64 s[62:63], s[62:63], exec
	s_mov_b32 s66, 0
	s_mov_b64 s[64:65], -1
	s_waitcnt lgkmcnt(0)
	flat_load_dword v2, v[10:11] sc0 sc1
	s_waitcnt vmcnt(0) lgkmcnt(0)
	buffer_inv sc0 sc1
	v_cmp_eq_u32_e32 vcc, 0, v2
	s_and_b64 vcc, vcc, exec
	s_or_b64 s[62:63], s[62:63], vcc
.LBB2_88:                               ;   in Loop: Header=BB2_86 Depth=2
	s_andn2_b64 s[60:61], s[60:61], exec
	s_and_b64 s[64:65], s[64:65], exec
	s_mov_b64 vcc, -1
	s_or_b64 s[60:61], s[60:61], s[64:65]
	s_and_saveexec_b64 s[64:65], s[62:63]
	s_cbranch_execz .LBB2_85
; %bb.89:                               ;   in Loop: Header=BB2_86 Depth=2
	s_sleep 1
	s_trap 2
	ds_read_b64 v[10:11], v0
	s_andn2_b64 s[60:61], s[60:61], exec
	s_waitcnt lgkmcnt(0)
	v_cmp_ge_u64_e32 vcc, v[10:11], v[12:13]
	s_orn2_b64 vcc, vcc, exec
	s_branch .LBB2_85
.LBB2_90:                               ;   in Loop: Header=BB2_47 Depth=1
	s_or_b64 exec, exec, s[56:57]
	s_and_saveexec_b64 vcc, s[58:59]
	s_xor_b64 vcc, exec, vcc
	s_cbranch_execz .LBB2_92
; %bb.91:                               ;   in Loop: Header=BB2_47 Depth=1
	ds_write_b32 v0, v0
	s_trap 2
.LBB2_92:                               ;   in Loop: Header=BB2_47 Depth=1
	s_or_b64 exec, exec, s[54:55]
	;;#ASMSTART
	s_wakeup
	;;#ASMEND
.LBB2_93:                               ;   in Loop: Header=BB2_47 Depth=1
	s_or_b64 exec, exec, s[52:53]
.LBB2_94:                               ;   in Loop: Header=BB2_47 Depth=1
	s_andn2_saveexec_b64 vcc, s[30:31]
	s_cbranch_execz .LBB2_96
; %bb.95:                               ;   in Loop: Header=BB2_47 Depth=1
	s_waitcnt lgkmcnt(0)
	s_barrier
.LBB2_96:                               ;   in Loop: Header=BB2_47 Depth=1
	s_or_b64 exec, exec, vcc
.LBB2_97:                               ;   in Loop: Header=BB2_47 Depth=1
	s_or_b64 exec, exec, s[24:25]
	s_trap 2
	ds_read_b32 v9, v0
	v_and_b32_e32 v2, 0x4000, v62
	v_cmp_ne_u32_e32 vcc, 0, v2
	s_xor_b64 s[24:25], s[4:5], -1
	s_and_b64 vcc, s[24:25], vcc
	s_and_saveexec_b64 s[24:25], vcc
	s_cbranch_execz .LBB2_116
; %bb.98:                               ;   in Loop: Header=BB2_47 Depth=1
	s_and_saveexec_b64 vcc, s[40:41]
	s_xor_b64 s[30:31], exec, vcc
	s_cbranch_execz .LBB2_113
; %bb.99:                               ;   in Loop: Header=BB2_47 Depth=1
	s_and_saveexec_b64 s[52:53], s[14:15]
	s_cbranch_execz .LBB2_112
; %bb.100:                              ;   in Loop: Header=BB2_47 Depth=1
	s_mov_b64 s[56:57], exec
	v_mbcnt_lo_u32_b32 v2, s56, 0
	v_mbcnt_hi_u32_b32 v2, s57, v2
	v_cmp_eq_u32_e32 vcc, 0, v2
	s_waitcnt lgkmcnt(0)
	s_and_saveexec_b64 s[54:55], vcc
	s_cbranch_execz .LBB2_102
; %bb.101:                              ;   in Loop: Header=BB2_47 Depth=1
	s_bcnt1_i32_b64 vcc_lo, s[56:57]
	v_mov_b32_e32 v2, vcc_lo
	ds_add_u64 v0, v[2:3]
	s_trap 2
.LBB2_102:                              ;   in Loop: Header=BB2_47 Depth=1
	s_or_b64 exec, exec, s[54:55]
	s_trap 2
	ds_read_b64 v[10:11], v0
	v_lshl_add_u64 v[12:13], v[12:13], 0, v[34:35]
	s_waitcnt lgkmcnt(0)
	v_cmp_lt_u64_e32 vcc, v[10:11], v[12:13]
	s_and_saveexec_b64 s[54:55], vcc
	s_cbranch_execz .LBB2_111
; %bb.103:                              ;   in Loop: Header=BB2_47 Depth=1
	s_mov_b32 s66, 0
	s_mov_b64 s[56:57], 0
                                        ; implicit-def: $sgpr58_sgpr59
                                        ; implicit-def: $sgpr60_sgpr61
	s_branch .LBB2_105
.LBB2_104:                              ;   in Loop: Header=BB2_105 Depth=2
	s_or_b64 exec, exec, s[64:65]
	s_and_b64 vcc, exec, vcc
	s_or_b64 s[56:57], vcc, s[56:57]
	s_andn2_b64 vcc, s[58:59], exec
	s_and_b64 s[58:59], s[60:61], exec
	s_or_b64 s[58:59], vcc, s[58:59]
	s_andn2_b64 exec, exec, s[56:57]
	s_cbranch_execz .LBB2_109
.LBB2_105:                              ;   Parent Loop BB2_47 Depth=1
                                        ; =>  This Inner Loop Header: Depth=2
	s_add_i32 s66, s66, 1
	s_cmpk_lg_i32 s66, 0x2710
	s_cselect_b64 s[62:63], -1, 0
	s_and_b64 vcc, exec, s[62:63]
                                        ; implicit-def: $sgpr64_sgpr65
	s_cbranch_vccnz .LBB2_107
; %bb.106:                              ;   in Loop: Header=BB2_105 Depth=2
	s_trap 2
	ds_read_b64 v[10:11], v0
	s_andn2_b64 s[62:63], s[62:63], exec
	s_mov_b32 s66, 0
	s_mov_b64 s[64:65], -1
	s_waitcnt lgkmcnt(0)
	flat_load_dword v2, v[10:11] sc0 sc1
	s_waitcnt vmcnt(0) lgkmcnt(0)
	buffer_inv sc0 sc1
	v_cmp_eq_u32_e32 vcc, 0, v2
	s_and_b64 vcc, vcc, exec
	s_or_b64 s[62:63], s[62:63], vcc
.LBB2_107:                              ;   in Loop: Header=BB2_105 Depth=2
	s_andn2_b64 s[60:61], s[60:61], exec
	s_and_b64 s[64:65], s[64:65], exec
	s_mov_b64 vcc, -1
	s_or_b64 s[60:61], s[60:61], s[64:65]
	s_and_saveexec_b64 s[64:65], s[62:63]
	s_cbranch_execz .LBB2_104
; %bb.108:                              ;   in Loop: Header=BB2_105 Depth=2
	s_sleep 1
	s_trap 2
	ds_read_b64 v[10:11], v0
	s_andn2_b64 s[60:61], s[60:61], exec
	s_waitcnt lgkmcnt(0)
	v_cmp_ge_u64_e32 vcc, v[10:11], v[12:13]
	s_orn2_b64 vcc, vcc, exec
	s_branch .LBB2_104
.LBB2_109:                              ;   in Loop: Header=BB2_47 Depth=1
	s_or_b64 exec, exec, s[56:57]
	s_and_saveexec_b64 vcc, s[58:59]
	s_xor_b64 vcc, exec, vcc
	s_cbranch_execz .LBB2_111
; %bb.110:                              ;   in Loop: Header=BB2_47 Depth=1
	ds_write_b32 v0, v0
	s_trap 2
.LBB2_111:                              ;   in Loop: Header=BB2_47 Depth=1
	s_or_b64 exec, exec, s[54:55]
	;;#ASMSTART
	s_wakeup
	;;#ASMEND
.LBB2_112:                              ;   in Loop: Header=BB2_47 Depth=1
	s_or_b64 exec, exec, s[52:53]
.LBB2_113:                              ;   in Loop: Header=BB2_47 Depth=1
	s_andn2_saveexec_b64 vcc, s[30:31]
	s_cbranch_execz .LBB2_115
; %bb.114:                              ;   in Loop: Header=BB2_47 Depth=1
	s_waitcnt lgkmcnt(0)
	s_barrier
.LBB2_115:                              ;   in Loop: Header=BB2_47 Depth=1
	s_or_b64 exec, exec, vcc
.LBB2_116:                              ;   in Loop: Header=BB2_47 Depth=1
	s_or_b64 exec, exec, s[24:25]
	s_trap 2
	ds_read_b64 v[10:11], v0
	s_waitcnt lgkmcnt(0)
	v_readfirstlane_b32 s24, v10
	v_readfirstlane_b32 s25, v11
	s_cmp_eq_u64 s[24:25], 0
	s_cselect_b64 s[24:25], -1, 0
	s_or_b64 vcc, s[24:25], s[24:25]
	s_mov_b64 s[24:25], 0
	s_and_b64 vcc, exec, vcc
	s_cbranch_vccnz .LBB2_123
; %bb.117:                              ;   in Loop: Header=BB2_47 Depth=1
	s_mov_b64 s[24:25], -1
	s_and_saveexec_b64 s[30:31], s[16:17]
	s_cbranch_execz .LBB2_119
; %bb.118:                              ;   in Loop: Header=BB2_47 Depth=1
	ds_read_b32 v2, v0 offset:720
	s_waitcnt lgkmcnt(0)
	v_and_b32_e32 v2, 15, v2
	v_cmp_eq_u32_e32 vcc, 0, v2
	s_orn2_b64 s[24:25], vcc, exec
.LBB2_119:                              ;   in Loop: Header=BB2_47 Depth=1
	s_or_b64 exec, exec, s[30:31]
	s_and_saveexec_b64 s[30:31], s[18:19]
	s_cbranch_execz .LBB2_121
; %bb.120:                              ;   in Loop: Header=BB2_47 Depth=1
	ds_read_b32 v2, v0 offset:784
	s_waitcnt lgkmcnt(0)
	v_and_b32_e32 v2, 15, v2
	v_cmp_eq_u32_e32 vcc, 0, v2
	s_and_b64 vcc, s[24:25], vcc
	s_andn2_b64 s[24:25], s[24:25], exec
	s_and_b64 vcc, vcc, exec
	s_or_b64 s[24:25], s[24:25], vcc
.LBB2_121:                              ;   in Loop: Header=BB2_47 Depth=1
	s_or_b64 exec, exec, s[30:31]
	v_cmp_eq_u32_e32 vcc, 0, v9
	s_xor_b64 s[24:25], s[24:25], -1
	v_cndmask_b32_e64 v5, 0, 1, s[24:25]
	v_cndmask_b32_e32 v2, 0, v8, vcc
	v_mov_b32_e32 v18, 0
	v_lshlrev_b32_e32 v9, 1, v2
	s_mov_b64 s[52:53], -1
	;;#ASMSTART
	;;#ASMEND
	s_nop 0
	v_cmp_ne_u32_e32 vcc, 0, v5
	s_cbranch_vccz .LBB2_129
; %bb.122:                              ;   in Loop: Header=BB2_47 Depth=1
	v_mov_b32_e32 v5, v48
	v_mov_b32_e32 v14, v47
	s_and_saveexec_b64 s[24:25], s[52:53]
	s_cbranch_execnz .LBB2_142
	s_branch .LBB2_150
.LBB2_123:                              ;   in Loop: Header=BB2_47 Depth=1
	s_and_saveexec_b64 s[30:31], s[6:7]
	s_cbranch_execnz .LBB2_151
.LBB2_124:                              ;   in Loop: Header=BB2_47 Depth=1
	s_or_b64 exec, exec, s[30:31]
                                        ; implicit-def: $vgpr2
	s_and_saveexec_b64 vcc, s[22:23]
	s_xor_b64 s[30:31], exec, vcc
	s_cbranch_execz .LBB2_169
.LBB2_125:                              ;   in Loop: Header=BB2_47 Depth=1
	v_and_b32_e32 v5, 16, v62
	v_cmp_ne_u32_e32 vcc, 0, v5
	v_and_b32_e32 v2, 16, v62
	s_and_b64 vcc, vcc, s[24:25]
	s_and_saveexec_b64 s[24:25], vcc
	s_cbranch_execz .LBB2_127
; %bb.126:                              ;   in Loop: Header=BB2_47 Depth=1
	v_mov_b32_e32 v2, 1
	buffer_wbl2 sc1
	s_waitcnt vmcnt(0) lgkmcnt(0)
	buffer_inv sc1
.LBB2_127:                              ;   in Loop: Header=BB2_47 Depth=1
	s_or_b64 exec, exec, s[24:25]
	s_andn2_saveexec_b64 s[24:25], s[30:31]
	s_cbranch_execnz .LBB2_170
.LBB2_128:                              ;   in Loop: Header=BB2_47 Depth=1
	s_or_b64 exec, exec, s[24:25]
	v_cmp_ne_u32_e32 vcc, 0, v2
	s_and_saveexec_b64 s[24:25], vcc
	s_cbranch_execnz .LBB2_188
	s_branch .LBB2_191
.LBB2_129:                              ;   in Loop: Header=BB2_47 Depth=1
	v_ashrrev_i32_e32 v5, 31, v9
	v_lshrrev_b32_e32 v5, 21, v5
	v_add_u32_e32 v5, v9, v5
	v_ashrrev_i32_e32 v5, 11, v5
	v_sub_u32_e32 v17, v5, v47
	v_cmp_lt_i32_e32 vcc, 0, v17
	s_and_saveexec_b64 s[24:25], vcc
	s_cbranch_execz .LBB2_133
; %bb.130:                              ;   in Loop: Header=BB2_47 Depth=1
	s_trap 2
	ds_read_b64 v[10:11], v0
	v_accvgpr_read_b32 v14, a28
	v_accvgpr_read_b32 v27, a25
	s_mov_b64 s[30:31], 0
	v_accvgpr_read_b32 v15, a29
	v_accvgpr_read_b32 v26, a24
.LBB2_131:                              ;   Parent Loop BB2_47 Depth=1
                                        ; =>  This Inner Loop Header: Depth=2
	s_waitcnt lgkmcnt(0)
	v_lshl_add_u64 v[18:19], v[10:11], 0, v[14:15]
	global_load_dwordx4 v[36:39], v[18:19], off nt
	global_load_dwordx4 v[52:55], v[18:19], off offset:1024 nt
	v_sub_u32_e32 v17, v17, v34
	v_cmp_gt_i32_e32 vcc, 1, v17
	v_lshl_add_u64 v[14:15], v[14:15], 0, v[26:27]
	s_or_b64 s[30:31], vcc, s[30:31]
	s_waitcnt vmcnt(0)
	global_store_dwordx4 v[18:19], v[36:39], off nt
	s_waitcnt vmcnt(1)
	global_store_dwordx4 v[18:19], v[52:55], off offset:1024 nt
	s_andn2_b64 exec, exec, s[30:31]
	s_cbranch_execnz .LBB2_131
; %bb.132:                              ;   in Loop: Header=BB2_47 Depth=1
	s_or_b64 exec, exec, s[30:31]
	v_accvgpr_read_b32 v53, a7
	v_accvgpr_read_b32 v55, a13
	;; [unrolled: 1-line block ×7, first 2 shown]
.LBB2_133:                              ;   in Loop: Header=BB2_47 Depth=1
	s_or_b64 exec, exec, s[24:25]
	v_lshlrev_b32_e32 v16, 11, v5
	v_cmp_ne_u32_e32 vcc, v9, v16
	s_mov_b64 s[52:53], 0
	v_mov_b32_e32 v18, 0
                                        ; implicit-def: $vgpr5
                                        ; implicit-def: $vgpr14
	s_and_saveexec_b64 s[30:31], vcc
	s_cbranch_execz .LBB2_141
; %bb.134:                              ;   in Loop: Header=BB2_47 Depth=1
	v_lshlrev_b32_e32 v5, 6, v17
	v_accvgpr_read_b32 v11, a26
	v_sub_u32_e32 v5, v11, v5
	v_ashrrev_i32_e32 v11, 31, v5
	v_lshrrev_b32_e32 v11, 26, v11
	v_add_u32_e32 v11, v5, v11
	v_sub_u32_e32 v10, v9, v16
	v_ashrrev_i32_e32 v15, 6, v11
	v_and_b32_e32 v11, 0xffffffc0, v11
	v_sub_u32_e32 v17, v5, v11
	v_ashrrev_i32_e32 v11, 31, v10
	v_lshrrev_b32_e32 v11, 22, v11
	v_add_u32_e32 v11, v10, v11
	v_and_b32_e32 v19, 0xfffffc00, v11
	v_lshlrev_b32_e32 v5, 4, v17
	v_sub_u32_e32 v30, v10, v19
	v_lshl_add_u32 v14, v15, 10, v5
	v_ashrrev_i32_e32 v18, 10, v11
	v_cmp_lt_i32_e32 vcc, 15, v30
	v_sub_u32_e32 v5, v10, v14
	s_nop 0
	v_addc_co_u32_e64 v10, s[24:25], 0, v18, vcc
	v_sub_u32_e32 v25, v10, v15
	v_cmp_lt_i32_e64 s[24:25], 15, v5
	s_and_saveexec_b64 s[52:53], s[24:25]
	s_cbranch_execz .LBB2_138
; %bb.135:                              ;   in Loop: Header=BB2_47 Depth=1
	s_trap 2
	ds_read_b64 v[10:11], v0
	v_add_u32_e32 v14, v14, v16
	v_ashrrev_i32_e32 v15, 31, v14
	s_mov_b64 s[54:55], 0
.LBB2_136:                              ;   Parent Loop BB2_47 Depth=1
                                        ; =>  This Inner Loop Header: Depth=2
	s_waitcnt lgkmcnt(0)
	v_lshl_add_u64 v[26:27], v[10:11], 0, v[14:15]
	global_load_dwordx4 v[36:39], v[26:27], off nt
	v_sub_u32_e32 v5, v5, v49
	v_cmp_gt_i32_e64 s[24:25], 16, v5
	v_sub_u32_e32 v25, v25, v34
	v_lshl_add_u64 v[14:15], v[14:15], 0, v[42:43]
	s_or_b64 s[54:55], s[24:25], s[54:55]
	s_waitcnt vmcnt(0)
	global_store_dwordx4 v[26:27], v[36:39], off nt
	s_andn2_b64 exec, exec, s[54:55]
	s_cbranch_execnz .LBB2_136
; %bb.137:                              ;   in Loop: Header=BB2_47 Depth=1
	s_or_b64 exec, exec, s[54:55]
	v_accvgpr_read_b32 v37, a23
	v_accvgpr_read_b32 v39, a15
	;; [unrolled: 1-line block ×3, first 2 shown]
.LBB2_138:                              ;   in Loop: Header=BB2_47 Depth=1
	s_or_b64 exec, exec, s[52:53]
	v_and_b32_e32 v10, 14, v9
	v_cndmask_b32_e32 v9, v30, v10, vcc
	v_cmp_ne_u32_e64 s[24:25], 0, v9
	s_mov_b64 s[52:53], 0
	v_mov_b32_e32 v18, 0
                                        ; implicit-def: $vgpr5
                                        ; implicit-def: $vgpr14
	s_and_saveexec_b64 s[54:55], s[24:25]
	s_cbranch_execz .LBB2_140
; %bb.139:                              ;   in Loop: Header=BB2_47 Depth=1
	v_sub_u32_e32 v5, v30, v10
	v_cndmask_b32_e32 v5, 0, v5, vcc
	v_cmp_lt_i32_e32 vcc, 0, v25
	v_add3_u32 v18, v19, v16, v5
	s_mov_b64 s[52:53], exec
	v_cndmask_b32_e32 v5, 0, v34, vcc
	v_sub_u32_e32 v5, v5, v25
	v_lshl_add_u32 v5, v5, 6, v17
	v_ashrrev_i32_e32 v10, 31, v5
	v_lshrrev_b32_e32 v10, 26, v10
	v_add_u32_e32 v10, v5, v10
	v_ashrrev_i32_e32 v14, 6, v10
.LBB2_140:                              ;   in Loop: Header=BB2_47 Depth=1
	s_or_b64 exec, exec, s[54:55]
	s_and_b64 s[52:53], s[52:53], exec
.LBB2_141:                              ;   in Loop: Header=BB2_47 Depth=1
	s_or_b64 exec, exec, s[30:31]
	s_and_saveexec_b64 s[24:25], s[52:53]
	s_cbranch_execz .LBB2_150
.LBB2_142:                              ;   in Loop: Header=BB2_47 Depth=1
	v_ashrrev_i32_e32 v10, 31, v9
	v_lshrrev_b32_e32 v10, 23, v10
	v_add_u32_e32 v10, v9, v10
	v_ashrrev_i32_e32 v30, 9, v10
	v_sub_u32_e32 v19, v30, v14
	v_ashrrev_i32_e32 v10, 31, v5
	v_cmp_lt_i32_e32 vcc, 0, v19
	v_lshrrev_b32_e32 v25, 26, v10
	s_and_saveexec_b64 s[30:31], vcc
	s_cbranch_execz .LBB2_146
; %bb.143:                              ;   in Loop: Header=BB2_47 Depth=1
	s_trap 2
	ds_read_b64 v[10:11], v0
	v_add_u32_e32 v15, v5, v25
	v_and_b32_e32 v15, 0x7fffffc0, v15
	v_sub_u32_e32 v15, v5, v15
	v_lshlrev_b32_e32 v15, 1, v15
	v_lshlrev_b32_e32 v14, 9, v14
	v_add3_u32 v14, v15, v18, v14
	v_ashrrev_i32_e32 v15, 31, v14
	s_mov_b64 s[52:53], 0
	s_waitcnt lgkmcnt(0)
	v_mov_b64_e32 v[16:17], v[10:11]
.LBB2_144:                              ;   Parent Loop BB2_47 Depth=1
                                        ; =>  This Inner Loop Header: Depth=2
	v_lshl_add_u64 v[26:27], v[14:15], 0, v[16:17]
	flat_load_ushort v28, v[26:27] nt
	flat_load_ushort v29, v[26:27] offset:128 nt
	flat_load_ushort v31, v[26:27] offset:256 nt
	;; [unrolled: 1-line block ×3, first 2 shown]
	v_sub_u32_e32 v19, v19, v34
	v_cmp_gt_i32_e32 vcc, 1, v19
	v_lshl_add_u64 v[26:27], v[14:15], 0, v[10:11]
	v_lshl_add_u64 v[16:17], v[16:17], 0, v[40:41]
	;; [unrolled: 1-line block ×3, first 2 shown]
	s_or_b64 s[52:53], vcc, s[52:53]
	s_waitcnt vmcnt(0) lgkmcnt(0)
	flat_store_short v[26:27], v28 nt
	flat_store_short v[26:27], v29 offset:128 nt
	flat_store_short v[26:27], v31 offset:256 nt
	;; [unrolled: 1-line block ×3, first 2 shown]
	s_andn2_b64 exec, exec, s[52:53]
	s_cbranch_execnz .LBB2_144
; %bb.145:                              ;   in Loop: Header=BB2_47 Depth=1
	s_or_b64 exec, exec, s[52:53]
	v_accvgpr_read_b32 v37, a23
	v_accvgpr_read_b32 v36, a22
.LBB2_146:                              ;   in Loop: Header=BB2_47 Depth=1
	s_or_b64 exec, exec, s[30:31]
	v_lshlrev_b32_e32 v10, 9, v30
	v_cmp_ne_u32_e32 vcc, v9, v10
	s_and_b64 exec, exec, vcc
	s_cbranch_execz .LBB2_150
; %bb.147:                              ;   in Loop: Header=BB2_47 Depth=1
	v_add_u32_e32 v11, v5, v25
	v_and_b32_e32 v11, 0xffffffc0, v11
	v_sub_u32_e32 v5, v5, v11
	v_lshlrev_b32_e32 v11, 6, v19
	v_sub_u32_e32 v5, v5, v11
	v_ashrrev_i32_e32 v11, 31, v5
	v_lshrrev_b32_e32 v11, 26, v11
	v_add_u32_e32 v11, v5, v11
	v_and_b32_e32 v14, 0x7fffffc0, v11
	v_sub_u32_e32 v5, v5, v14
	v_lshlrev_b32_e32 v11, 1, v11
	v_and_b32_e32 v11, 0xffffff80, v11
	v_lshlrev_b32_e32 v5, 1, v5
	v_add3_u32 v14, v11, v5, v10
	v_sub_u32_e32 v5, v9, v14
	v_cmp_lt_i32_e32 vcc, 1, v5
	s_and_b64 exec, exec, vcc
	s_cbranch_execz .LBB2_150
; %bb.148:                              ;   in Loop: Header=BB2_47 Depth=1
	s_trap 2
	ds_read_b64 v[10:11], v0
	v_add_u32_e32 v14, v14, v18
	v_ashrrev_i32_e32 v15, 31, v14
	s_mov_b64 s[30:31], 0
.LBB2_149:                              ;   Parent Loop BB2_47 Depth=1
                                        ; =>  This Inner Loop Header: Depth=2
	s_waitcnt lgkmcnt(0)
	v_lshl_add_u64 v[16:17], v[10:11], 0, v[14:15]
	flat_load_ushort v9, v[16:17] nt
	v_sub_u32_e32 v5, v5, v4
	v_cmp_gt_i32_e32 vcc, 2, v5
	v_lshl_add_u64 v[14:15], v[14:15], 0, v[44:45]
	s_or_b64 s[30:31], vcc, s[30:31]
	s_waitcnt vmcnt(0) lgkmcnt(0)
	flat_store_short v[16:17], v9 nt
	s_andn2_b64 exec, exec, s[30:31]
	s_cbranch_execnz .LBB2_149
.LBB2_150:                              ;   in Loop: Header=BB2_47 Depth=1
	s_or_b64 exec, exec, s[24:25]
	v_cmp_lt_i32_e64 s[24:25], 0, v2
	s_and_saveexec_b64 s[30:31], s[6:7]
	s_cbranch_execz .LBB2_124
.LBB2_151:                              ;   in Loop: Header=BB2_47 Depth=1
	s_and_saveexec_b64 vcc, s[40:41]
	s_xor_b64 s[52:53], exec, vcc
	s_cbranch_execz .LBB2_166
; %bb.152:                              ;   in Loop: Header=BB2_47 Depth=1
	s_and_saveexec_b64 s[54:55], s[14:15]
	s_cbranch_execz .LBB2_165
; %bb.153:                              ;   in Loop: Header=BB2_47 Depth=1
	s_mov_b64 s[58:59], exec
	v_mbcnt_lo_u32_b32 v2, s58, 0
	v_mbcnt_hi_u32_b32 v2, s59, v2
	v_cmp_eq_u32_e32 vcc, 0, v2
	s_waitcnt lgkmcnt(0)
	s_and_saveexec_b64 s[56:57], vcc
	s_cbranch_execz .LBB2_155
; %bb.154:                              ;   in Loop: Header=BB2_47 Depth=1
	s_bcnt1_i32_b64 vcc_lo, s[58:59]
	v_mov_b32_e32 v2, vcc_lo
	ds_add_u64 v0, v[2:3]
	s_trap 2
.LBB2_155:                              ;   in Loop: Header=BB2_47 Depth=1
	s_or_b64 exec, exec, s[56:57]
	s_trap 2
	ds_read_b64 v[10:11], v0
	v_lshl_add_u64 v[12:13], v[12:13], 0, v[34:35]
	s_waitcnt lgkmcnt(0)
	v_cmp_lt_u64_e32 vcc, v[10:11], v[12:13]
	s_and_saveexec_b64 s[56:57], vcc
	s_cbranch_execz .LBB2_164
; %bb.156:                              ;   in Loop: Header=BB2_47 Depth=1
	s_mov_b32 s68, 0
	s_mov_b64 s[58:59], 0
                                        ; implicit-def: $sgpr60_sgpr61
                                        ; implicit-def: $sgpr62_sgpr63
	s_branch .LBB2_158
.LBB2_157:                              ;   in Loop: Header=BB2_158 Depth=2
	s_or_b64 exec, exec, s[66:67]
	s_and_b64 vcc, exec, vcc
	s_or_b64 s[58:59], vcc, s[58:59]
	s_andn2_b64 vcc, s[60:61], exec
	s_and_b64 s[60:61], s[62:63], exec
	s_or_b64 s[60:61], vcc, s[60:61]
	s_andn2_b64 exec, exec, s[58:59]
	s_cbranch_execz .LBB2_162
.LBB2_158:                              ;   Parent Loop BB2_47 Depth=1
                                        ; =>  This Inner Loop Header: Depth=2
	s_add_i32 s68, s68, 1
	s_cmpk_lg_i32 s68, 0x2710
	s_cselect_b64 s[64:65], -1, 0
	s_and_b64 vcc, exec, s[64:65]
                                        ; implicit-def: $sgpr66_sgpr67
	s_cbranch_vccnz .LBB2_160
; %bb.159:                              ;   in Loop: Header=BB2_158 Depth=2
	s_trap 2
	ds_read_b64 v[10:11], v0
	s_andn2_b64 s[64:65], s[64:65], exec
	s_mov_b32 s68, 0
	s_mov_b64 s[66:67], -1
	s_waitcnt vmcnt(0) lgkmcnt(0)
	flat_load_dword v2, v[10:11] sc0 sc1
	s_waitcnt vmcnt(0) lgkmcnt(0)
	buffer_inv sc0 sc1
	v_cmp_eq_u32_e32 vcc, 0, v2
	s_and_b64 vcc, vcc, exec
	s_or_b64 s[64:65], s[64:65], vcc
.LBB2_160:                              ;   in Loop: Header=BB2_158 Depth=2
	s_andn2_b64 s[62:63], s[62:63], exec
	s_and_b64 s[66:67], s[66:67], exec
	s_mov_b64 vcc, -1
	s_or_b64 s[62:63], s[62:63], s[66:67]
	s_and_saveexec_b64 s[66:67], s[64:65]
	s_cbranch_execz .LBB2_157
; %bb.161:                              ;   in Loop: Header=BB2_158 Depth=2
	s_sleep 1
	s_trap 2
	ds_read_b64 v[10:11], v0
	s_andn2_b64 s[62:63], s[62:63], exec
	s_waitcnt lgkmcnt(0)
	v_cmp_ge_u64_e32 vcc, v[10:11], v[12:13]
	s_orn2_b64 vcc, vcc, exec
	s_branch .LBB2_157
.LBB2_162:                              ;   in Loop: Header=BB2_47 Depth=1
	s_or_b64 exec, exec, s[58:59]
	s_and_saveexec_b64 vcc, s[60:61]
	s_xor_b64 vcc, exec, vcc
	s_cbranch_execz .LBB2_164
; %bb.163:                              ;   in Loop: Header=BB2_47 Depth=1
	ds_write_b32 v0, v0
	s_trap 2
.LBB2_164:                              ;   in Loop: Header=BB2_47 Depth=1
	s_or_b64 exec, exec, s[56:57]
	;;#ASMSTART
	s_wakeup
	;;#ASMEND
.LBB2_165:                              ;   in Loop: Header=BB2_47 Depth=1
	s_or_b64 exec, exec, s[54:55]
.LBB2_166:                              ;   in Loop: Header=BB2_47 Depth=1
	s_andn2_saveexec_b64 vcc, s[52:53]
	s_cbranch_execz .LBB2_168
; %bb.167:                              ;   in Loop: Header=BB2_47 Depth=1
	s_waitcnt lgkmcnt(0)
	s_barrier
.LBB2_168:                              ;   in Loop: Header=BB2_47 Depth=1
	s_or_b64 exec, exec, vcc
	s_or_b64 exec, exec, s[30:31]
                                        ; implicit-def: $vgpr2
	s_and_saveexec_b64 vcc, s[22:23]
	s_xor_b64 s[30:31], exec, vcc
	s_cbranch_execnz .LBB2_125
.LBB2_169:                              ;   in Loop: Header=BB2_47 Depth=1
	s_andn2_saveexec_b64 s[24:25], s[30:31]
	s_cbranch_execz .LBB2_128
.LBB2_170:                              ;   in Loop: Header=BB2_47 Depth=1
	s_and_saveexec_b64 vcc, s[40:41]
	s_xor_b64 s[30:31], exec, vcc
	s_cbranch_execz .LBB2_185
; %bb.171:                              ;   in Loop: Header=BB2_47 Depth=1
	s_and_saveexec_b64 s[52:53], s[14:15]
	s_cbranch_execz .LBB2_184
; %bb.172:                              ;   in Loop: Header=BB2_47 Depth=1
	s_mov_b64 s[56:57], exec
	v_mbcnt_lo_u32_b32 v2, s56, 0
	v_mbcnt_hi_u32_b32 v2, s57, v2
	v_cmp_eq_u32_e32 vcc, 0, v2
	;;#ASMSTART
	s_waitcnt lgkmcnt(0) vmcnt(0)
	;;#ASMEND
	s_and_saveexec_b64 s[54:55], vcc
	s_cbranch_execz .LBB2_174
; %bb.173:                              ;   in Loop: Header=BB2_47 Depth=1
	s_bcnt1_i32_b64 vcc_lo, s[56:57]
	v_mov_b32_e32 v2, vcc_lo
	ds_add_u64 v0, v[2:3]
	s_trap 2
.LBB2_174:                              ;   in Loop: Header=BB2_47 Depth=1
	s_or_b64 exec, exec, s[54:55]
	s_trap 2
	ds_read_b64 v[10:11], v0
	v_lshl_add_u64 v[12:13], v[12:13], 0, v[34:35]
	s_waitcnt lgkmcnt(0)
	v_cmp_lt_u64_e32 vcc, v[10:11], v[12:13]
	s_and_saveexec_b64 s[54:55], vcc
	s_cbranch_execz .LBB2_183
; %bb.175:                              ;   in Loop: Header=BB2_47 Depth=1
	s_mov_b32 s66, 0
	s_mov_b64 s[56:57], 0
                                        ; implicit-def: $sgpr58_sgpr59
                                        ; implicit-def: $sgpr60_sgpr61
	s_branch .LBB2_177
.LBB2_176:                              ;   in Loop: Header=BB2_177 Depth=2
	s_or_b64 exec, exec, s[64:65]
	s_and_b64 vcc, exec, vcc
	s_or_b64 s[56:57], vcc, s[56:57]
	s_andn2_b64 vcc, s[58:59], exec
	s_and_b64 s[58:59], s[60:61], exec
	s_or_b64 s[58:59], vcc, s[58:59]
	s_andn2_b64 exec, exec, s[56:57]
	s_cbranch_execz .LBB2_181
.LBB2_177:                              ;   Parent Loop BB2_47 Depth=1
                                        ; =>  This Inner Loop Header: Depth=2
	s_add_i32 s66, s66, 1
	s_cmpk_lg_i32 s66, 0x2710
	s_cselect_b64 s[62:63], -1, 0
	s_and_b64 vcc, exec, s[62:63]
                                        ; implicit-def: $sgpr64_sgpr65
	s_cbranch_vccnz .LBB2_179
; %bb.178:                              ;   in Loop: Header=BB2_177 Depth=2
	s_trap 2
	ds_read_b64 v[10:11], v0
	s_andn2_b64 s[62:63], s[62:63], exec
	s_mov_b32 s66, 0
	s_mov_b64 s[64:65], -1
	s_waitcnt vmcnt(0) lgkmcnt(0)
	flat_load_dword v2, v[10:11] sc0 sc1
	s_waitcnt vmcnt(0) lgkmcnt(0)
	buffer_inv sc0 sc1
	v_cmp_eq_u32_e32 vcc, 0, v2
	s_and_b64 vcc, vcc, exec
	s_or_b64 s[62:63], s[62:63], vcc
.LBB2_179:                              ;   in Loop: Header=BB2_177 Depth=2
	s_andn2_b64 s[60:61], s[60:61], exec
	s_and_b64 s[64:65], s[64:65], exec
	s_mov_b64 vcc, -1
	s_or_b64 s[60:61], s[60:61], s[64:65]
	s_and_saveexec_b64 s[64:65], s[62:63]
	s_cbranch_execz .LBB2_176
; %bb.180:                              ;   in Loop: Header=BB2_177 Depth=2
	s_sleep 1
	s_trap 2
	ds_read_b64 v[10:11], v0
	s_andn2_b64 s[60:61], s[60:61], exec
	s_waitcnt lgkmcnt(0)
	v_cmp_ge_u64_e32 vcc, v[10:11], v[12:13]
	s_orn2_b64 vcc, vcc, exec
	s_branch .LBB2_176
.LBB2_181:                              ;   in Loop: Header=BB2_47 Depth=1
	s_or_b64 exec, exec, s[56:57]
	s_and_saveexec_b64 vcc, s[58:59]
	s_xor_b64 vcc, exec, vcc
	s_cbranch_execz .LBB2_183
; %bb.182:                              ;   in Loop: Header=BB2_47 Depth=1
	ds_write_b32 v0, v0
	s_trap 2
.LBB2_183:                              ;   in Loop: Header=BB2_47 Depth=1
	s_or_b64 exec, exec, s[54:55]
	;;#ASMSTART
	s_wakeup
	;;#ASMEND
.LBB2_184:                              ;   in Loop: Header=BB2_47 Depth=1
	s_or_b64 exec, exec, s[52:53]
.LBB2_185:                              ;   in Loop: Header=BB2_47 Depth=1
	s_andn2_saveexec_b64 vcc, s[30:31]
	s_cbranch_execz .LBB2_187
; %bb.186:                              ;   in Loop: Header=BB2_47 Depth=1
	;;#ASMSTART
	s_waitcnt lgkmcnt(0) vmcnt(0)
	;;#ASMEND
	s_barrier
.LBB2_187:                              ;   in Loop: Header=BB2_47 Depth=1
	s_or_b64 exec, exec, vcc
	v_and_b32_e32 v2, 16, v62
	s_or_b64 exec, exec, s[24:25]
	v_cmp_ne_u32_e32 vcc, 0, v2
	s_and_saveexec_b64 s[24:25], vcc
	s_cbranch_execz .LBB2_191
.LBB2_188:                              ;   in Loop: Header=BB2_47 Depth=1
	s_and_saveexec_b64 vcc, s[12:13]
	s_cbranch_execz .LBB2_190
; %bb.189:                              ;   in Loop: Header=BB2_47 Depth=1
	flat_store_dword v[54:55], v0 sc0 sc1
.LBB2_190:                              ;   in Loop: Header=BB2_47 Depth=1
	s_or_b64 exec, exec, vcc
	v_lshl_add_u64 v[20:21], v[20:21], 0, 4
	flat_store_dwordx2 v[22:23], v[20:21] sc0 sc1
.LBB2_191:                              ;   in Loop: Header=BB2_47 Depth=1
	s_or_b64 exec, exec, s[24:25]
	v_mov_b32_e32 v2, v8
.LBB2_192:                              ;   in Loop: Header=BB2_47 Depth=1
	s_or_b64 exec, exec, s[28:29]
	s_and_saveexec_b64 s[28:29], s[26:27]
	s_cbranch_execz .LBB2_262
; %bb.193:                              ;   in Loop: Header=BB2_47 Depth=1
	v_and_b32_e32 v5, 8, v62
	v_cmp_ne_u32_e32 vcc, 0, v5
	s_mov_b64 s[26:27], -1
	s_and_saveexec_b64 s[24:25], vcc
	s_cbranch_execz .LBB2_205
; %bb.194:                              ;   in Loop: Header=BB2_47 Depth=1
	v_lshl_add_u64 v[14:15], v[32:33], 0, 8
	v_lshl_add_u64 v[10:11], v[20:21], 0, 4
	v_cmp_lt_u64_e32 vcc, v[14:15], v[10:11]
	v_mov_b32_e32 v5, 1
	s_and_saveexec_b64 s[26:27], vcc
	s_cbranch_execz .LBB2_204
; %bb.195:                              ;   in Loop: Header=BB2_47 Depth=1
	s_mov_b64 s[30:31], 0
	v_mov_b32_e32 v5, 0
                                        ; implicit-def: $sgpr52_sgpr53
	s_branch .LBB2_199
.LBB2_196:                              ;   in Loop: Header=BB2_199 Depth=2
	s_or_b64 exec, exec, s[60:61]
	v_mov_b32_e32 v9, 0
	s_orn2_b64 s[58:59], s[58:59], exec
.LBB2_197:                              ;   in Loop: Header=BB2_199 Depth=2
	s_or_b64 exec, exec, s[56:57]
	s_andn2_b64 vcc, s[52:53], exec
	s_and_b64 s[52:53], s[58:59], exec
	s_or_b64 s[52:53], vcc, s[52:53]
	v_mov_b32_e32 v5, v9
.LBB2_198:                              ;   in Loop: Header=BB2_199 Depth=2
	s_or_b64 exec, exec, s[54:55]
	s_waitcnt vmcnt(0) lgkmcnt(0)
	v_lshl_add_u64 v[14:15], v[32:33], 0, 8
	v_cmp_ge_u64_e32 vcc, v[14:15], v[10:11]
	s_xor_b64 s[54:55], s[52:53], -1
	s_or_b64 vcc, s[54:55], vcc
	s_and_b64 vcc, exec, vcc
	s_or_b64 s[30:31], vcc, s[30:31]
	s_andn2_b64 exec, exec, s[30:31]
	s_cbranch_execz .LBB2_203
.LBB2_199:                              ;   Parent Loop BB2_47 Depth=1
                                        ; =>  This Inner Loop Header: Depth=2
	s_sleep 1
	flat_load_dwordx2 v[32:33], v[22:23] sc0 sc1
	v_and_b32_e32 v9, 64, v62
	v_cmp_eq_u32_e32 vcc, 0, v9
	s_andn2_b64 s[52:53], s[52:53], exec
	s_and_saveexec_b64 s[54:55], vcc
	s_cbranch_execz .LBB2_198
; %bb.200:                              ;   in Loop: Header=BB2_199 Depth=2
	v_add_u32_e32 v9, 1, v5
	v_cmp_lt_i32_e32 vcc, s72, v5
	s_mov_b64 s[58:59], -1
	s_and_saveexec_b64 s[56:57], vcc
	s_cbranch_execz .LBB2_197
; %bb.201:                              ;   in Loop: Header=BB2_199 Depth=2
	s_trap 2
	ds_read_b64 v[14:15], v0
	s_waitcnt vmcnt(0) lgkmcnt(0)
	flat_load_dword v5, v[14:15] sc0 sc1
	s_waitcnt vmcnt(0) lgkmcnt(0)
	buffer_inv sc0 sc1
	v_cmp_ne_u32_e32 vcc, 0, v5
	s_and_saveexec_b64 s[60:61], vcc
	s_cbranch_execz .LBB2_196
; %bb.202:                              ;   in Loop: Header=BB2_199 Depth=2
	v_or_b32_e32 v62, 64, v62
	s_xor_b64 s[58:59], exec, -1
	ds_write_b32 v0, v5
	s_trap 2
	s_branch .LBB2_196
.LBB2_203:                              ;   in Loop: Header=BB2_47 Depth=1
	s_or_b64 exec, exec, s[30:31]
	v_and_b32_e32 v5, 8, v62
.LBB2_204:                              ;   in Loop: Header=BB2_47 Depth=1
	s_or_b64 exec, exec, s[26:27]
	v_cmp_eq_u32_e32 vcc, 0, v5
	s_orn2_b64 s[26:27], vcc, exec
	;;#ASMSTART
	s_wakeup
	;;#ASMEND
.LBB2_205:                              ;   in Loop: Header=BB2_47 Depth=1
	s_or_b64 exec, exec, s[24:25]
	v_sub_u32_e32 v1, v1, v2
	s_xor_b64 s[24:25], s[26:27], -1
	v_min_i32_e32 v8, v8, v1
	s_and_saveexec_b64 s[26:27], s[24:25]
	s_cbranch_execz .LBB2_220
; %bb.206:                              ;   in Loop: Header=BB2_47 Depth=1
	v_and_b32_e32 v1, 0x100, v62
	v_cmp_ne_u32_e32 vcc, 0, v1
	v_and_b32_e32 v1, 7, v20
	s_mov_b64 s[24:25], -1
                                        ; implicit-def: $vgpr10_vgpr11
	s_and_saveexec_b64 s[30:31], vcc
	s_cbranch_execz .LBB2_210
; %bb.207:                              ;   in Loop: Header=BB2_47 Depth=1
	v_mad_u64_u32 v[14:15], s[24:25], v1, 24, v[6:7]
	flat_load_dword v2, v[14:15]
	v_ashrrev_i32_e32 v9, 31, v8
	v_lshlrev_b64 v[10:11], 1, v[8:9]
	flat_store_dwordx2 v[14:15], v[10:11] offset:8
                                        ; implicit-def: $vgpr10_vgpr11
	s_waitcnt vmcnt(0) lgkmcnt(0)
	v_cmp_ne_u32_e32 vcc, 1, v2
	v_cmp_eq_u32_e64 s[24:25], 1, v2
	s_and_saveexec_b64 s[52:53], s[24:25]
	s_cbranch_execz .LBB2_209
; %bb.208:                              ;   in Loop: Header=BB2_47 Depth=1
	flat_load_dword v10, v[14:15] offset:4 sc0 sc1
	s_waitcnt vmcnt(0) lgkmcnt(0)
	v_ashrrev_i32_e32 v11, 31, v10
	v_lshrrev_b64 v[10:11], 1, v[10:11]
.LBB2_209:                              ;   in Loop: Header=BB2_47 Depth=1
	s_or_b64 exec, exec, s[52:53]
	s_orn2_b64 s[24:25], vcc, exec
.LBB2_210:                              ;   in Loop: Header=BB2_47 Depth=1
	s_or_b64 exec, exec, s[30:31]
	s_and_saveexec_b64 vcc, s[24:25]
; %bb.211:                              ;   in Loop: Header=BB2_47 Depth=1
	v_mad_i64_i32 v[10:11], s[24:25], v1, v24, 0
; %bb.212:                              ;   in Loop: Header=BB2_47 Depth=1
	s_or_b64 exec, exec, vcc
	v_and_b32_e32 v1, 0x2000, v62
	v_lshl_add_u64 v[10:11], v[10:11], 1, v[60:61]
	v_cmp_ne_u32_e32 vcc, 0, v1
	ds_write_b64 v0, v[10:11] offset:784
	s_and_saveexec_b64 s[24:25], vcc
	s_cbranch_execz .LBB2_214
; %bb.213:                              ;   in Loop: Header=BB2_47 Depth=1
	ds_read_b64 v[10:11], v0 offset:584
	s_waitcnt lgkmcnt(0)
	v_lshl_add_u64 v[10:11], v[10:11], 0, 1
	ds_write_b64 v0, v[10:11] offset:584
.LBB2_214:                              ;   in Loop: Header=BB2_47 Depth=1
	s_or_b64 exec, exec, s[24:25]
	v_lshl_add_u64 v[20:21], v[20:21], 0, 4
	s_or_b64 exec, exec, s[26:27]
	s_and_saveexec_b64 s[24:25], s[6:7]
	s_cbranch_execnz .LBB2_221
.LBB2_215:                              ;   in Loop: Header=BB2_47 Depth=1
	s_or_b64 exec, exec, s[24:25]
                                        ; implicit-def: $vgpr1
	s_and_saveexec_b64 s[24:25], s[22:23]
	s_xor_b64 s[24:25], exec, s[24:25]
	s_cbranch_execz .LBB2_239
.LBB2_216:                              ;   in Loop: Header=BB2_47 Depth=1
	s_trap 2
	ds_read_b32 v2, v0
	v_cmp_lt_i32_e32 vcc, 0, v8
	v_and_b32_e32 v5, 16, v62
	v_and_b32_e32 v1, 16, v62
	s_waitcnt lgkmcnt(0)
	v_readfirstlane_b32 s26, v2
	s_cmp_eq_u32 s26, 0
	s_cselect_b64 s[26:27], -1, 0
	s_and_b64 s[26:27], vcc, s[26:27]
	v_cmp_ne_u32_e32 vcc, 0, v5
	s_and_b64 vcc, vcc, s[26:27]
	s_and_saveexec_b64 s[26:27], vcc
	s_cbranch_execz .LBB2_218
; %bb.217:                              ;   in Loop: Header=BB2_47 Depth=1
	v_mov_b32_e32 v1, 1
	buffer_wbl2 sc1
	s_waitcnt vmcnt(0)
	buffer_inv sc1
.LBB2_218:                              ;   in Loop: Header=BB2_47 Depth=1
	s_or_b64 exec, exec, s[26:27]
	s_andn2_saveexec_b64 s[24:25], s[24:25]
	s_cbranch_execnz .LBB2_240
.LBB2_219:                              ;   in Loop: Header=BB2_47 Depth=1
	s_or_b64 exec, exec, s[24:25]
	v_cmp_ne_u32_e32 vcc, 0, v1
	s_and_saveexec_b64 s[24:25], vcc
	s_cbranch_execnz .LBB2_258
	s_branch .LBB2_261
.LBB2_220:                              ;   in Loop: Header=BB2_47 Depth=1
	s_or_b64 exec, exec, s[26:27]
	s_and_saveexec_b64 s[24:25], s[6:7]
	s_cbranch_execz .LBB2_215
.LBB2_221:                              ;   in Loop: Header=BB2_47 Depth=1
	s_and_saveexec_b64 s[26:27], s[40:41]
	s_xor_b64 s[26:27], exec, s[26:27]
	s_cbranch_execz .LBB2_236
; %bb.222:                              ;   in Loop: Header=BB2_47 Depth=1
	s_and_saveexec_b64 s[30:31], s[14:15]
	s_cbranch_execz .LBB2_235
; %bb.223:                              ;   in Loop: Header=BB2_47 Depth=1
	s_mov_b64 s[54:55], exec
	v_mbcnt_lo_u32_b32 v1, s54, 0
	v_mbcnt_hi_u32_b32 v1, s55, v1
	v_cmp_eq_u32_e32 vcc, 0, v1
	s_waitcnt lgkmcnt(0)
	s_and_saveexec_b64 s[52:53], vcc
	s_cbranch_execz .LBB2_225
; %bb.224:                              ;   in Loop: Header=BB2_47 Depth=1
	s_bcnt1_i32_b64 vcc_lo, s[54:55]
	v_mov_b32_e32 v2, vcc_lo
	ds_add_u64 v0, v[2:3]
	s_trap 2
.LBB2_225:                              ;   in Loop: Header=BB2_47 Depth=1
	s_or_b64 exec, exec, s[52:53]
	s_trap 2
	ds_read_b64 v[10:11], v0
	v_lshl_add_u64 v[12:13], v[12:13], 0, v[34:35]
	s_waitcnt lgkmcnt(0)
	v_cmp_lt_u64_e32 vcc, v[10:11], v[12:13]
	s_and_saveexec_b64 s[52:53], vcc
	s_cbranch_execz .LBB2_234
; %bb.226:                              ;   in Loop: Header=BB2_47 Depth=1
	s_mov_b32 s64, 0
	s_mov_b64 s[54:55], 0
                                        ; implicit-def: $sgpr56_sgpr57
                                        ; implicit-def: $sgpr58_sgpr59
	s_branch .LBB2_228
.LBB2_227:                              ;   in Loop: Header=BB2_228 Depth=2
	s_or_b64 exec, exec, s[62:63]
	s_and_b64 vcc, exec, vcc
	s_or_b64 s[54:55], vcc, s[54:55]
	s_andn2_b64 vcc, s[56:57], exec
	s_and_b64 s[56:57], s[58:59], exec
	s_or_b64 s[56:57], vcc, s[56:57]
	s_andn2_b64 exec, exec, s[54:55]
	s_cbranch_execz .LBB2_232
.LBB2_228:                              ;   Parent Loop BB2_47 Depth=1
                                        ; =>  This Inner Loop Header: Depth=2
	s_add_i32 s64, s64, 1
	s_cmpk_lg_i32 s64, 0x2710
	s_cselect_b64 s[60:61], -1, 0
	s_and_b64 vcc, exec, s[60:61]
                                        ; implicit-def: $sgpr62_sgpr63
	s_cbranch_vccnz .LBB2_230
; %bb.229:                              ;   in Loop: Header=BB2_228 Depth=2
	s_trap 2
	ds_read_b64 v[10:11], v0
	s_andn2_b64 s[60:61], s[60:61], exec
	s_mov_b32 s64, 0
	s_mov_b64 s[62:63], -1
	s_waitcnt vmcnt(0) lgkmcnt(0)
	flat_load_dword v1, v[10:11] sc0 sc1
	s_waitcnt vmcnt(0) lgkmcnt(0)
	buffer_inv sc0 sc1
	v_cmp_eq_u32_e32 vcc, 0, v1
	s_and_b64 vcc, vcc, exec
	s_or_b64 s[60:61], s[60:61], vcc
.LBB2_230:                              ;   in Loop: Header=BB2_228 Depth=2
	s_andn2_b64 s[58:59], s[58:59], exec
	s_and_b64 s[62:63], s[62:63], exec
	s_mov_b64 vcc, -1
	s_or_b64 s[58:59], s[58:59], s[62:63]
	s_and_saveexec_b64 s[62:63], s[60:61]
	s_cbranch_execz .LBB2_227
; %bb.231:                              ;   in Loop: Header=BB2_228 Depth=2
	s_sleep 1
	s_trap 2
	ds_read_b64 v[10:11], v0
	s_andn2_b64 s[58:59], s[58:59], exec
	s_waitcnt lgkmcnt(0)
	v_cmp_ge_u64_e32 vcc, v[10:11], v[12:13]
	s_orn2_b64 vcc, vcc, exec
	s_branch .LBB2_227
.LBB2_232:                              ;   in Loop: Header=BB2_47 Depth=1
	s_or_b64 exec, exec, s[54:55]
	s_and_saveexec_b64 vcc, s[56:57]
	s_xor_b64 vcc, exec, vcc
	s_cbranch_execz .LBB2_234
; %bb.233:                              ;   in Loop: Header=BB2_47 Depth=1
	ds_write_b32 v0, v0
	s_trap 2
.LBB2_234:                              ;   in Loop: Header=BB2_47 Depth=1
	s_or_b64 exec, exec, s[52:53]
	;;#ASMSTART
	s_wakeup
	;;#ASMEND
.LBB2_235:                              ;   in Loop: Header=BB2_47 Depth=1
	s_or_b64 exec, exec, s[30:31]
.LBB2_236:                              ;   in Loop: Header=BB2_47 Depth=1
	s_andn2_saveexec_b64 s[26:27], s[26:27]
	s_cbranch_execz .LBB2_238
; %bb.237:                              ;   in Loop: Header=BB2_47 Depth=1
	s_waitcnt lgkmcnt(0)
	s_barrier
.LBB2_238:                              ;   in Loop: Header=BB2_47 Depth=1
	s_or_b64 exec, exec, s[26:27]
	s_or_b64 exec, exec, s[24:25]
                                        ; implicit-def: $vgpr1
	s_and_saveexec_b64 s[24:25], s[22:23]
	s_xor_b64 s[24:25], exec, s[24:25]
	s_cbranch_execnz .LBB2_216
.LBB2_239:                              ;   in Loop: Header=BB2_47 Depth=1
	s_andn2_saveexec_b64 s[24:25], s[24:25]
	s_cbranch_execz .LBB2_219
.LBB2_240:                              ;   in Loop: Header=BB2_47 Depth=1
	s_and_saveexec_b64 s[26:27], s[40:41]
	s_xor_b64 s[26:27], exec, s[26:27]
	s_cbranch_execz .LBB2_255
; %bb.241:                              ;   in Loop: Header=BB2_47 Depth=1
	s_and_saveexec_b64 s[30:31], s[14:15]
	s_cbranch_execz .LBB2_254
; %bb.242:                              ;   in Loop: Header=BB2_47 Depth=1
	s_mov_b64 s[54:55], exec
	v_mbcnt_lo_u32_b32 v1, s54, 0
	v_mbcnt_hi_u32_b32 v1, s55, v1
	v_cmp_eq_u32_e32 vcc, 0, v1
	;;#ASMSTART
	s_waitcnt lgkmcnt(0) vmcnt(0)
	;;#ASMEND
	s_and_saveexec_b64 s[52:53], vcc
	s_cbranch_execz .LBB2_244
; %bb.243:                              ;   in Loop: Header=BB2_47 Depth=1
	s_bcnt1_i32_b64 vcc_lo, s[54:55]
	v_mov_b32_e32 v2, vcc_lo
	ds_add_u64 v0, v[2:3]
	s_trap 2
.LBB2_244:                              ;   in Loop: Header=BB2_47 Depth=1
	s_or_b64 exec, exec, s[52:53]
	s_trap 2
	ds_read_b64 v[8:9], v0
	v_lshl_add_u64 v[12:13], v[12:13], 0, v[34:35]
	s_waitcnt lgkmcnt(0)
	v_cmp_lt_u64_e32 vcc, v[8:9], v[12:13]
	s_and_saveexec_b64 s[52:53], vcc
	s_cbranch_execz .LBB2_253
; %bb.245:                              ;   in Loop: Header=BB2_47 Depth=1
	s_mov_b32 s64, 0
	s_mov_b64 s[54:55], 0
                                        ; implicit-def: $sgpr56_sgpr57
                                        ; implicit-def: $sgpr58_sgpr59
	s_branch .LBB2_247
.LBB2_246:                              ;   in Loop: Header=BB2_247 Depth=2
	s_or_b64 exec, exec, s[62:63]
	s_and_b64 vcc, exec, vcc
	s_or_b64 s[54:55], vcc, s[54:55]
	s_andn2_b64 vcc, s[56:57], exec
	s_and_b64 s[56:57], s[58:59], exec
	s_or_b64 s[56:57], vcc, s[56:57]
	s_andn2_b64 exec, exec, s[54:55]
	s_cbranch_execz .LBB2_251
.LBB2_247:                              ;   Parent Loop BB2_47 Depth=1
                                        ; =>  This Inner Loop Header: Depth=2
	s_add_i32 s64, s64, 1
	s_cmpk_lg_i32 s64, 0x2710
	s_cselect_b64 s[60:61], -1, 0
	s_and_b64 vcc, exec, s[60:61]
                                        ; implicit-def: $sgpr62_sgpr63
	s_cbranch_vccnz .LBB2_249
; %bb.248:                              ;   in Loop: Header=BB2_247 Depth=2
	s_trap 2
	ds_read_b64 v[8:9], v0
	s_andn2_b64 s[60:61], s[60:61], exec
	s_mov_b32 s64, 0
	s_mov_b64 s[62:63], -1
	s_waitcnt vmcnt(0) lgkmcnt(0)
	flat_load_dword v1, v[8:9] sc0 sc1
	s_waitcnt vmcnt(0) lgkmcnt(0)
	buffer_inv sc0 sc1
	v_cmp_eq_u32_e32 vcc, 0, v1
	s_and_b64 vcc, vcc, exec
	s_or_b64 s[60:61], s[60:61], vcc
.LBB2_249:                              ;   in Loop: Header=BB2_247 Depth=2
	s_andn2_b64 s[58:59], s[58:59], exec
	s_and_b64 s[62:63], s[62:63], exec
	s_mov_b64 vcc, -1
	s_or_b64 s[58:59], s[58:59], s[62:63]
	s_and_saveexec_b64 s[62:63], s[60:61]
	s_cbranch_execz .LBB2_246
; %bb.250:                              ;   in Loop: Header=BB2_247 Depth=2
	s_sleep 1
	s_trap 2
	ds_read_b64 v[8:9], v0
	s_andn2_b64 s[58:59], s[58:59], exec
	s_waitcnt lgkmcnt(0)
	v_cmp_ge_u64_e32 vcc, v[8:9], v[12:13]
	s_orn2_b64 vcc, vcc, exec
	s_branch .LBB2_246
.LBB2_251:                              ;   in Loop: Header=BB2_47 Depth=1
	s_or_b64 exec, exec, s[54:55]
	s_and_saveexec_b64 vcc, s[56:57]
	s_xor_b64 vcc, exec, vcc
	s_cbranch_execz .LBB2_253
; %bb.252:                              ;   in Loop: Header=BB2_47 Depth=1
	ds_write_b32 v0, v0
	s_trap 2
.LBB2_253:                              ;   in Loop: Header=BB2_47 Depth=1
	s_or_b64 exec, exec, s[52:53]
	;;#ASMSTART
	s_wakeup
	;;#ASMEND
.LBB2_254:                              ;   in Loop: Header=BB2_47 Depth=1
	s_or_b64 exec, exec, s[30:31]
.LBB2_255:                              ;   in Loop: Header=BB2_47 Depth=1
	s_andn2_saveexec_b64 s[26:27], s[26:27]
	s_cbranch_execz .LBB2_257
; %bb.256:                              ;   in Loop: Header=BB2_47 Depth=1
	;;#ASMSTART
	s_waitcnt lgkmcnt(0) vmcnt(0)
	;;#ASMEND
	s_barrier
.LBB2_257:                              ;   in Loop: Header=BB2_47 Depth=1
	s_or_b64 exec, exec, s[26:27]
	v_and_b32_e32 v1, 16, v62
	s_or_b64 exec, exec, s[24:25]
	v_cmp_ne_u32_e32 vcc, 0, v1
	s_and_saveexec_b64 s[24:25], vcc
	s_cbranch_execz .LBB2_261
.LBB2_258:                              ;   in Loop: Header=BB2_47 Depth=1
	s_and_saveexec_b64 s[26:27], s[12:13]
	s_cbranch_execz .LBB2_260
; %bb.259:                              ;   in Loop: Header=BB2_47 Depth=1
	flat_store_dword v[54:55], v0 sc0 sc1
.LBB2_260:                              ;   in Loop: Header=BB2_47 Depth=1
	s_or_b64 exec, exec, s[26:27]
	v_lshl_add_u64 v[20:21], v[20:21], 0, 4
	flat_store_dwordx2 v[22:23], v[20:21] sc0 sc1
.LBB2_261:                              ;   in Loop: Header=BB2_47 Depth=1
	s_or_b64 exec, exec, s[24:25]
.LBB2_262:                              ;   in Loop: Header=BB2_47 Depth=1
	s_or_b64 exec, exec, s[28:29]
	v_cndmask_b32_e64 v1, 0, 1, s[48:49]
	v_cmp_ne_u32_e64 s[24:25], 1, v1
	s_andn2_b64 vcc, exec, s[48:49]
	s_cbranch_vccnz .LBB2_478
; %bb.263:                              ;   in Loop: Header=BB2_47 Depth=1
	s_mov_b32 s81, 2
	s_branch .LBB2_266
.LBB2_264:                              ;   in Loop: Header=BB2_266 Depth=2
	s_or_b64 exec, exec, s[26:27]
.LBB2_265:                              ;   in Loop: Header=BB2_266 Depth=2
	s_or_b64 exec, exec, s[30:31]
	s_add_i32 s81, s81, 1
	s_cmp_eq_u32 s81, s70
	s_cbranch_scc1 .LBB2_478
.LBB2_266:                              ;   Parent Loop BB2_47 Depth=1
                                        ; =>  This Loop Header: Depth=2
                                        ;       Child Loop BB2_275 Depth 3
                                        ;       Child Loop BB2_301 Depth 3
	;; [unrolled: 1-line block ×12, first 2 shown]
	s_sub_i32 s26, s73, s81
	s_cmp_le_i32 s70, s26
	s_cselect_b32 s27, s70, 0
	s_sub_i32 s26, s26, s27
	s_ashr_i32 s27, s26, 31
	v_mul_lo_u32 v1, v56, s27
	v_mul_lo_u32 v2, v57, s26
	v_mad_u64_u32 v[10:11], s[26:27], v56, s26, 0
	v_add3_u32 v11, v11, v1, v2
	v_sub_co_u32_e32 v8, vcc, v58, v10
	s_nop 1
	v_subb_co_u32_e32 v9, vcc, v59, v11, vcc
	v_cmp_lt_i64_e32 vcc, v[56:57], v[8:9]
	s_nop 1
	v_cndmask_b32_e32 v2, v8, v56, vcc
	v_max_i32_e32 v1, 0, v2
	v_add_u32_e32 v5, 15, v1
	v_ashrrev_i32_e32 v8, 31, v5
	v_lshrrev_b32_e32 v8, 28, v8
	v_add_u32_e32 v5, v5, v8
	v_cmp_gt_i32_e32 vcc, 1, v2
	v_and_b32_e32 v5, -16, v5
	s_or_b64 s[28:29], s[2:3], vcc
	v_max_i32_e32 v8, s76, v5
	s_xor_b64 s[26:27], s[28:29], -1
	v_mov_b32_e32 v5, 0
	s_and_saveexec_b64 s[30:31], s[26:27]
	s_cbranch_execz .LBB2_407
; %bb.267:                              ;   in Loop: Header=BB2_266 Depth=2
	s_and_saveexec_b64 s[26:27], s[0:1]
	s_cbranch_execz .LBB2_269
; %bb.268:                              ;   in Loop: Header=BB2_266 Depth=2
	s_trap 2
	ds_read_b64 v[14:15], v0
	v_accvgpr_read_b32 v16, a30
	v_accvgpr_read_b32 v17, a31
	v_mov_b32_e32 v2, v3
	s_waitcnt lgkmcnt(0)
	v_lshl_add_u64 v[14:15], v[16:17], 1, v[14:15]
	v_lshl_add_u64 v[10:11], v[10:11], 1, v[14:15]
	ds_write_b64 v0, v[10:11]
	ds_write_b64 v0, v[2:3]
.LBB2_269:                              ;   in Loop: Header=BB2_266 Depth=2
	s_or_b64 exec, exec, s[26:27]
	v_and_b32_e32 v2, 12, v62
	v_cmp_ne_u32_e32 vcc, 0, v2
	s_mov_b64 s[52:53], -1
	s_and_saveexec_b64 s[26:27], vcc
	s_cbranch_execz .LBB2_281
; %bb.270:                              ;   in Loop: Header=BB2_266 Depth=2
	v_and_b32_e32 v2, 8, v62
	v_lshl_add_u64 v[14:15], v[32:33], 0, v[2:3]
	v_lshl_add_u64 v[10:11], v[20:21], 0, 4
	v_cmp_lt_u64_e32 vcc, v[14:15], v[10:11]
	v_mov_b32_e32 v5, 1
	s_and_saveexec_b64 s[52:53], vcc
	s_cbranch_execz .LBB2_280
; %bb.271:                              ;   in Loop: Header=BB2_266 Depth=2
	s_mov_b64 s[54:55], 0
	v_mov_b32_e32 v5, 0
                                        ; implicit-def: $sgpr56_sgpr57
	s_branch .LBB2_275
.LBB2_272:                              ;   in Loop: Header=BB2_275 Depth=3
	s_or_b64 exec, exec, s[64:65]
	v_mov_b32_e32 v9, 0
	s_orn2_b64 s[62:63], s[62:63], exec
.LBB2_273:                              ;   in Loop: Header=BB2_275 Depth=3
	s_or_b64 exec, exec, s[60:61]
	s_andn2_b64 vcc, s[56:57], exec
	s_and_b64 s[56:57], s[62:63], exec
	s_or_b64 s[56:57], vcc, s[56:57]
	v_mov_b32_e32 v5, v9
.LBB2_274:                              ;   in Loop: Header=BB2_275 Depth=3
	s_or_b64 exec, exec, s[58:59]
	s_waitcnt vmcnt(0) lgkmcnt(0)
	v_lshl_add_u64 v[14:15], v[32:33], 0, v[2:3]
	v_cmp_ge_u64_e32 vcc, v[14:15], v[10:11]
	s_xor_b64 s[58:59], s[56:57], -1
	s_or_b64 vcc, s[58:59], vcc
	s_and_b64 vcc, exec, vcc
	s_or_b64 s[54:55], vcc, s[54:55]
	s_andn2_b64 exec, exec, s[54:55]
	s_cbranch_execz .LBB2_279
.LBB2_275:                              ;   Parent Loop BB2_47 Depth=1
                                        ;     Parent Loop BB2_266 Depth=2
                                        ; =>    This Inner Loop Header: Depth=3
	s_sleep 1
	flat_load_dwordx2 v[32:33], v[22:23] sc0 sc1
	v_and_b32_e32 v9, 64, v62
	v_cmp_eq_u32_e32 vcc, 0, v9
	s_andn2_b64 s[56:57], s[56:57], exec
	s_and_saveexec_b64 s[58:59], vcc
	s_cbranch_execz .LBB2_274
; %bb.276:                              ;   in Loop: Header=BB2_275 Depth=3
	v_add_u32_e32 v9, 1, v5
	v_cmp_lt_i32_e32 vcc, s72, v5
	s_mov_b64 s[62:63], -1
	s_and_saveexec_b64 s[60:61], vcc
	s_cbranch_execz .LBB2_273
; %bb.277:                              ;   in Loop: Header=BB2_275 Depth=3
	s_trap 2
	ds_read_b64 v[14:15], v0
	s_waitcnt vmcnt(0) lgkmcnt(0)
	flat_load_dword v5, v[14:15] sc0 sc1
	s_waitcnt vmcnt(0) lgkmcnt(0)
	buffer_inv sc0 sc1
	v_cmp_ne_u32_e32 vcc, 0, v5
	s_and_saveexec_b64 s[64:65], vcc
	s_cbranch_execz .LBB2_272
; %bb.278:                              ;   in Loop: Header=BB2_275 Depth=3
	v_or_b32_e32 v62, 64, v62
	s_xor_b64 s[62:63], exec, -1
	ds_write_b32 v0, v5
	s_trap 2
	s_branch .LBB2_272
.LBB2_279:                              ;   in Loop: Header=BB2_266 Depth=2
	s_or_b64 exec, exec, s[54:55]
	v_and_b32_e32 v5, 12, v62
.LBB2_280:                              ;   in Loop: Header=BB2_266 Depth=2
	s_or_b64 exec, exec, s[52:53]
	v_cmp_eq_u32_e32 vcc, 0, v5
	s_orn2_b64 s[52:53], vcc, exec
	;;#ASMSTART
	s_wakeup
	;;#ASMEND
.LBB2_281:                              ;   in Loop: Header=BB2_266 Depth=2
	s_or_b64 exec, exec, s[26:27]
	s_xor_b64 s[26:27], s[52:53], -1
	v_min_i32_e32 v8, v8, v1
	s_and_saveexec_b64 s[52:53], s[26:27]
	s_cbranch_execz .LBB2_293
; %bb.282:                              ;   in Loop: Header=BB2_266 Depth=2
	v_and_b32_e32 v2, 0x108, v62
	v_cmp_ne_u32_e32 vcc, s80, v2
	v_and_b32_e32 v2, 7, v20
	s_and_saveexec_b64 s[26:27], vcc
	s_xor_b64 s[26:27], exec, s[26:27]
	s_andn2_saveexec_b64 s[26:27], s[26:27]
	s_cbranch_execz .LBB2_284
; %bb.283:                              ;   in Loop: Header=BB2_266 Depth=2
	v_ashrrev_i32_e32 v9, 31, v8
	v_mad_u64_u32 v[10:11], vcc, v2, 24, v[6:7]
	v_lshlrev_b64 v[14:15], 1, v[8:9]
	flat_store_dwordx2 v[10:11], v[14:15] offset:8
.LBB2_284:                              ;   in Loop: Header=BB2_266 Depth=2
	s_or_b64 exec, exec, s[26:27]
	v_and_b32_e32 v5, 0x100, v62
	v_cmp_ne_u32_e32 vcc, 0, v5
	s_mov_b64 s[26:27], -1
                                        ; implicit-def: $vgpr10_vgpr11
	s_and_saveexec_b64 s[54:55], vcc
	s_cbranch_execz .LBB2_288
; %bb.285:                              ;   in Loop: Header=BB2_266 Depth=2
	v_mad_u64_u32 v[14:15], s[26:27], v2, 24, v[6:7]
	v_mov_b32_e32 v10, v15
	v_mad_u64_u32 v[10:11], s[26:27], v3, 24, v[10:11]
	v_mov_b32_e32 v15, v10
	flat_load_dword v5, v[14:15]
                                        ; implicit-def: $vgpr10_vgpr11
	s_waitcnt vmcnt(0) lgkmcnt(0)
	v_cmp_ne_u32_e32 vcc, 1, v5
	v_cmp_eq_u32_e64 s[26:27], 1, v5
	s_and_saveexec_b64 s[56:57], s[26:27]
	s_cbranch_execz .LBB2_287
; %bb.286:                              ;   in Loop: Header=BB2_266 Depth=2
	flat_load_dword v10, v[14:15] offset:4 sc0 sc1
	s_waitcnt vmcnt(0) lgkmcnt(0)
	v_ashrrev_i32_e32 v11, 31, v10
	v_lshrrev_b64 v[10:11], 1, v[10:11]
.LBB2_287:                              ;   in Loop: Header=BB2_266 Depth=2
	s_or_b64 exec, exec, s[56:57]
	s_orn2_b64 s[26:27], vcc, exec
.LBB2_288:                              ;   in Loop: Header=BB2_266 Depth=2
	s_or_b64 exec, exec, s[54:55]
	s_and_saveexec_b64 vcc, s[26:27]
; %bb.289:                              ;   in Loop: Header=BB2_266 Depth=2
	v_mul_lo_u32 v5, v3, v24
	v_mul_lo_u32 v9, v2, v39
	v_mad_u64_u32 v[10:11], s[26:27], v2, v24, 0
	v_add3_u32 v11, v11, v9, v5
; %bb.290:                              ;   in Loop: Header=BB2_266 Depth=2
	s_or_b64 exec, exec, vcc
	v_and_b32_e32 v2, 0x2000, v62
	v_lshl_add_u64 v[10:11], v[10:11], 1, v[60:61]
	v_cmp_ne_u32_e32 vcc, 0, v2
	s_trap 2
	ds_write_b64 v0, v[10:11]
	s_and_saveexec_b64 s[26:27], vcc
	s_cbranch_execz .LBB2_292
; %bb.291:                              ;   in Loop: Header=BB2_266 Depth=2
	ds_read_b64 v[10:11], v0 offset:584
	s_waitcnt lgkmcnt(0)
	v_lshl_add_u64 v[10:11], v[10:11], 0, 1
	ds_write_b64 v0, v[10:11] offset:584
.LBB2_292:                              ;   in Loop: Header=BB2_266 Depth=2
	s_or_b64 exec, exec, s[26:27]
	v_lshl_add_u64 v[20:21], v[20:21], 0, 4
.LBB2_293:                              ;   in Loop: Header=BB2_266 Depth=2
	s_or_b64 exec, exec, s[52:53]
	s_and_saveexec_b64 s[26:27], s[6:7]
	s_cbranch_execz .LBB2_312
; %bb.294:                              ;   in Loop: Header=BB2_266 Depth=2
	s_and_saveexec_b64 vcc, s[40:41]
	s_xor_b64 s[52:53], exec, vcc
	s_cbranch_execz .LBB2_309
; %bb.295:                              ;   in Loop: Header=BB2_266 Depth=2
	s_and_saveexec_b64 s[54:55], s[14:15]
	s_cbranch_execz .LBB2_308
; %bb.296:                              ;   in Loop: Header=BB2_266 Depth=2
	s_mov_b64 s[58:59], exec
	v_mbcnt_lo_u32_b32 v2, s58, 0
	v_mbcnt_hi_u32_b32 v2, s59, v2
	v_cmp_eq_u32_e32 vcc, 0, v2
	s_waitcnt lgkmcnt(0)
	s_and_saveexec_b64 s[56:57], vcc
	s_cbranch_execz .LBB2_298
; %bb.297:                              ;   in Loop: Header=BB2_266 Depth=2
	s_bcnt1_i32_b64 vcc_lo, s[58:59]
	v_mov_b32_e32 v2, vcc_lo
	ds_add_u64 v0, v[2:3]
	s_trap 2
.LBB2_298:                              ;   in Loop: Header=BB2_266 Depth=2
	s_or_b64 exec, exec, s[56:57]
	s_trap 2
	ds_read_b64 v[10:11], v0
	v_lshl_add_u64 v[12:13], v[12:13], 0, v[34:35]
	s_waitcnt lgkmcnt(0)
	v_cmp_lt_u64_e32 vcc, v[10:11], v[12:13]
	s_and_saveexec_b64 s[56:57], vcc
	s_cbranch_execz .LBB2_307
; %bb.299:                              ;   in Loop: Header=BB2_266 Depth=2
	s_mov_b32 s68, 0
	s_mov_b64 s[58:59], 0
                                        ; implicit-def: $sgpr60_sgpr61
                                        ; implicit-def: $sgpr62_sgpr63
	s_branch .LBB2_301
.LBB2_300:                              ;   in Loop: Header=BB2_301 Depth=3
	s_or_b64 exec, exec, s[66:67]
	s_and_b64 vcc, exec, vcc
	s_or_b64 s[58:59], vcc, s[58:59]
	s_andn2_b64 vcc, s[60:61], exec
	s_and_b64 s[60:61], s[62:63], exec
	s_or_b64 s[60:61], vcc, s[60:61]
	s_andn2_b64 exec, exec, s[58:59]
	s_cbranch_execz .LBB2_305
.LBB2_301:                              ;   Parent Loop BB2_47 Depth=1
                                        ;     Parent Loop BB2_266 Depth=2
                                        ; =>    This Inner Loop Header: Depth=3
	s_add_i32 s68, s68, 1
	s_cmpk_lg_i32 s68, 0x2710
	s_cselect_b64 s[64:65], -1, 0
	s_and_b64 vcc, exec, s[64:65]
                                        ; implicit-def: $sgpr66_sgpr67
	s_cbranch_vccnz .LBB2_303
; %bb.302:                              ;   in Loop: Header=BB2_301 Depth=3
	s_trap 2
	ds_read_b64 v[10:11], v0
	s_andn2_b64 s[64:65], s[64:65], exec
	s_mov_b32 s68, 0
	s_mov_b64 s[66:67], -1
	s_waitcnt vmcnt(0) lgkmcnt(0)
	flat_load_dword v2, v[10:11] sc0 sc1
	s_waitcnt vmcnt(0) lgkmcnt(0)
	buffer_inv sc0 sc1
	v_cmp_eq_u32_e32 vcc, 0, v2
	s_and_b64 vcc, vcc, exec
	s_or_b64 s[64:65], s[64:65], vcc
.LBB2_303:                              ;   in Loop: Header=BB2_301 Depth=3
	s_andn2_b64 s[62:63], s[62:63], exec
	s_and_b64 s[66:67], s[66:67], exec
	s_mov_b64 vcc, -1
	s_or_b64 s[62:63], s[62:63], s[66:67]
	s_and_saveexec_b64 s[66:67], s[64:65]
	s_cbranch_execz .LBB2_300
; %bb.304:                              ;   in Loop: Header=BB2_301 Depth=3
	s_sleep 1
	s_trap 2
	ds_read_b64 v[10:11], v0
	s_andn2_b64 s[62:63], s[62:63], exec
	s_waitcnt lgkmcnt(0)
	v_cmp_ge_u64_e32 vcc, v[10:11], v[12:13]
	s_orn2_b64 vcc, vcc, exec
	s_branch .LBB2_300
.LBB2_305:                              ;   in Loop: Header=BB2_266 Depth=2
	s_or_b64 exec, exec, s[58:59]
	s_and_saveexec_b64 vcc, s[60:61]
	s_xor_b64 vcc, exec, vcc
	s_cbranch_execz .LBB2_307
; %bb.306:                              ;   in Loop: Header=BB2_266 Depth=2
	ds_write_b32 v0, v0
	s_trap 2
.LBB2_307:                              ;   in Loop: Header=BB2_266 Depth=2
	s_or_b64 exec, exec, s[56:57]
	;;#ASMSTART
	s_wakeup
	;;#ASMEND
.LBB2_308:                              ;   in Loop: Header=BB2_266 Depth=2
	s_or_b64 exec, exec, s[54:55]
.LBB2_309:                              ;   in Loop: Header=BB2_266 Depth=2
	s_andn2_saveexec_b64 vcc, s[52:53]
	s_cbranch_execz .LBB2_311
; %bb.310:                              ;   in Loop: Header=BB2_266 Depth=2
	s_waitcnt lgkmcnt(0)
	s_barrier
.LBB2_311:                              ;   in Loop: Header=BB2_266 Depth=2
	s_or_b64 exec, exec, vcc
.LBB2_312:                              ;   in Loop: Header=BB2_266 Depth=2
	s_or_b64 exec, exec, s[26:27]
	s_trap 2
	ds_read_b32 v9, v0
	v_and_b32_e32 v2, 0x4000, v62
	v_cmp_ne_u32_e32 vcc, 0, v2
	s_xor_b64 s[26:27], s[4:5], -1
	s_and_b64 vcc, s[26:27], vcc
	s_and_saveexec_b64 s[26:27], vcc
	s_cbranch_execz .LBB2_331
; %bb.313:                              ;   in Loop: Header=BB2_266 Depth=2
	s_and_saveexec_b64 vcc, s[40:41]
	s_xor_b64 s[52:53], exec, vcc
	s_cbranch_execz .LBB2_328
; %bb.314:                              ;   in Loop: Header=BB2_266 Depth=2
	s_and_saveexec_b64 s[54:55], s[14:15]
	s_cbranch_execz .LBB2_327
; %bb.315:                              ;   in Loop: Header=BB2_266 Depth=2
	s_mov_b64 s[58:59], exec
	v_mbcnt_lo_u32_b32 v2, s58, 0
	v_mbcnt_hi_u32_b32 v2, s59, v2
	v_cmp_eq_u32_e32 vcc, 0, v2
	s_waitcnt lgkmcnt(0)
	s_and_saveexec_b64 s[56:57], vcc
	s_cbranch_execz .LBB2_317
; %bb.316:                              ;   in Loop: Header=BB2_266 Depth=2
	s_bcnt1_i32_b64 vcc_lo, s[58:59]
	v_mov_b32_e32 v2, vcc_lo
	ds_add_u64 v0, v[2:3]
	s_trap 2
.LBB2_317:                              ;   in Loop: Header=BB2_266 Depth=2
	s_or_b64 exec, exec, s[56:57]
	s_trap 2
	ds_read_b64 v[10:11], v0
	v_lshl_add_u64 v[12:13], v[12:13], 0, v[34:35]
	s_waitcnt lgkmcnt(0)
	v_cmp_lt_u64_e32 vcc, v[10:11], v[12:13]
	s_and_saveexec_b64 s[56:57], vcc
	s_cbranch_execz .LBB2_326
; %bb.318:                              ;   in Loop: Header=BB2_266 Depth=2
	s_mov_b32 s68, 0
	s_mov_b64 s[58:59], 0
                                        ; implicit-def: $sgpr60_sgpr61
                                        ; implicit-def: $sgpr62_sgpr63
	s_branch .LBB2_320
.LBB2_319:                              ;   in Loop: Header=BB2_320 Depth=3
	s_or_b64 exec, exec, s[66:67]
	s_and_b64 vcc, exec, vcc
	s_or_b64 s[58:59], vcc, s[58:59]
	s_andn2_b64 vcc, s[60:61], exec
	s_and_b64 s[60:61], s[62:63], exec
	s_or_b64 s[60:61], vcc, s[60:61]
	s_andn2_b64 exec, exec, s[58:59]
	s_cbranch_execz .LBB2_324
.LBB2_320:                              ;   Parent Loop BB2_47 Depth=1
                                        ;     Parent Loop BB2_266 Depth=2
                                        ; =>    This Inner Loop Header: Depth=3
	s_add_i32 s68, s68, 1
	s_cmpk_lg_i32 s68, 0x2710
	s_cselect_b64 s[64:65], -1, 0
	s_and_b64 vcc, exec, s[64:65]
                                        ; implicit-def: $sgpr66_sgpr67
	s_cbranch_vccnz .LBB2_322
; %bb.321:                              ;   in Loop: Header=BB2_320 Depth=3
	s_trap 2
	ds_read_b64 v[10:11], v0
	s_andn2_b64 s[64:65], s[64:65], exec
	s_mov_b32 s68, 0
	s_mov_b64 s[66:67], -1
	s_waitcnt vmcnt(0) lgkmcnt(0)
	flat_load_dword v2, v[10:11] sc0 sc1
	s_waitcnt vmcnt(0) lgkmcnt(0)
	buffer_inv sc0 sc1
	v_cmp_eq_u32_e32 vcc, 0, v2
	s_and_b64 vcc, vcc, exec
	s_or_b64 s[64:65], s[64:65], vcc
.LBB2_322:                              ;   in Loop: Header=BB2_320 Depth=3
	s_andn2_b64 s[62:63], s[62:63], exec
	s_and_b64 s[66:67], s[66:67], exec
	s_mov_b64 vcc, -1
	s_or_b64 s[62:63], s[62:63], s[66:67]
	s_and_saveexec_b64 s[66:67], s[64:65]
	s_cbranch_execz .LBB2_319
; %bb.323:                              ;   in Loop: Header=BB2_320 Depth=3
	s_sleep 1
	s_trap 2
	ds_read_b64 v[10:11], v0
	s_andn2_b64 s[62:63], s[62:63], exec
	s_waitcnt lgkmcnt(0)
	v_cmp_ge_u64_e32 vcc, v[10:11], v[12:13]
	s_orn2_b64 vcc, vcc, exec
	s_branch .LBB2_319
.LBB2_324:                              ;   in Loop: Header=BB2_266 Depth=2
	s_or_b64 exec, exec, s[58:59]
	s_and_saveexec_b64 vcc, s[60:61]
	s_xor_b64 vcc, exec, vcc
	s_cbranch_execz .LBB2_326
; %bb.325:                              ;   in Loop: Header=BB2_266 Depth=2
	ds_write_b32 v0, v0
	s_trap 2
.LBB2_326:                              ;   in Loop: Header=BB2_266 Depth=2
	s_or_b64 exec, exec, s[56:57]
	;;#ASMSTART
	s_wakeup
	;;#ASMEND
.LBB2_327:                              ;   in Loop: Header=BB2_266 Depth=2
	s_or_b64 exec, exec, s[54:55]
.LBB2_328:                              ;   in Loop: Header=BB2_266 Depth=2
	s_andn2_saveexec_b64 vcc, s[52:53]
	s_cbranch_execz .LBB2_330
; %bb.329:                              ;   in Loop: Header=BB2_266 Depth=2
	s_waitcnt lgkmcnt(0)
	s_barrier
.LBB2_330:                              ;   in Loop: Header=BB2_266 Depth=2
	s_or_b64 exec, exec, vcc
.LBB2_331:                              ;   in Loop: Header=BB2_266 Depth=2
	s_or_b64 exec, exec, s[26:27]
	s_trap 2
	ds_read_b64 v[10:11], v0
	s_waitcnt lgkmcnt(0)
	v_readfirstlane_b32 s26, v10
	v_readfirstlane_b32 s27, v11
	s_cmp_eq_u64 s[26:27], 0
	s_cselect_b64 s[26:27], -1, 0
	s_or_b64 vcc, s[26:27], s[26:27]
	s_mov_b64 s[26:27], 0
	s_and_b64 vcc, exec, vcc
	s_cbranch_vccnz .LBB2_338
; %bb.332:                              ;   in Loop: Header=BB2_266 Depth=2
	s_mov_b64 s[26:27], -1
	s_and_saveexec_b64 s[52:53], s[20:21]
	s_cbranch_execz .LBB2_334
; %bb.333:                              ;   in Loop: Header=BB2_266 Depth=2
	ds_read_b32 v2, v0 offset:720
	s_waitcnt lgkmcnt(0)
	v_and_b32_e32 v2, 15, v2
	v_cmp_eq_u32_e32 vcc, 0, v2
	s_orn2_b64 s[26:27], vcc, exec
.LBB2_334:                              ;   in Loop: Header=BB2_266 Depth=2
	s_or_b64 exec, exec, s[52:53]
	s_and_saveexec_b64 s[52:53], s[18:19]
	s_cbranch_execz .LBB2_336
; %bb.335:                              ;   in Loop: Header=BB2_266 Depth=2
	ds_read_b32 v2, v0 offset:784
	s_waitcnt lgkmcnt(0)
	v_and_b32_e32 v2, 15, v2
	v_cmp_eq_u32_e32 vcc, 0, v2
	s_and_b64 vcc, s[26:27], vcc
	s_andn2_b64 s[26:27], s[26:27], exec
	s_and_b64 vcc, vcc, exec
	s_or_b64 s[26:27], s[26:27], vcc
.LBB2_336:                              ;   in Loop: Header=BB2_266 Depth=2
	s_or_b64 exec, exec, s[52:53]
	v_cmp_eq_u32_e32 vcc, 0, v9
	s_xor_b64 s[26:27], s[26:27], -1
	v_cndmask_b32_e64 v5, 0, 1, s[26:27]
	v_cndmask_b32_e32 v2, 0, v8, vcc
	v_mov_b32_e32 v18, 0
	v_lshlrev_b32_e32 v9, 1, v2
	s_mov_b64 s[54:55], -1
	;;#ASMSTART
	;;#ASMEND
	s_nop 0
	v_cmp_ne_u32_e32 vcc, 0, v5
	s_cbranch_vccz .LBB2_343
; %bb.337:                              ;   in Loop: Header=BB2_266 Depth=2
	v_mov_b32_e32 v5, v48
	v_mov_b32_e32 v10, v47
	s_and_saveexec_b64 s[26:27], s[54:55]
	s_cbranch_execnz .LBB2_356
	s_branch .LBB2_364
.LBB2_338:                              ;   in Loop: Header=BB2_266 Depth=2
	s_and_saveexec_b64 s[52:53], s[6:7]
	s_cbranch_execnz .LBB2_365
.LBB2_339:                              ;   in Loop: Header=BB2_266 Depth=2
	s_or_b64 exec, exec, s[52:53]
                                        ; implicit-def: $vgpr2
	s_and_saveexec_b64 vcc, s[22:23]
	s_xor_b64 s[52:53], exec, vcc
	s_cbranch_execz .LBB2_383
.LBB2_340:                              ;   in Loop: Header=BB2_266 Depth=2
	v_and_b32_e32 v5, 16, v62
	v_cmp_ne_u32_e32 vcc, 0, v5
	v_and_b32_e32 v2, 16, v62
	s_and_b64 vcc, vcc, s[26:27]
	s_and_saveexec_b64 s[26:27], vcc
	s_cbranch_execz .LBB2_342
; %bb.341:                              ;   in Loop: Header=BB2_266 Depth=2
	v_mov_b32_e32 v2, 1
	buffer_wbl2 sc1
	s_waitcnt vmcnt(0) lgkmcnt(0)
	buffer_inv sc1
.LBB2_342:                              ;   in Loop: Header=BB2_266 Depth=2
	s_or_b64 exec, exec, s[26:27]
	s_andn2_saveexec_b64 s[26:27], s[52:53]
	s_cbranch_execz .LBB2_402
	s_branch .LBB2_384
.LBB2_343:                              ;   in Loop: Header=BB2_266 Depth=2
	v_accvgpr_read_b32 v10, a16
	v_sub_u32_e32 v5, v9, v10
	v_ashrrev_i32_e32 v10, 31, v9
	v_lshrrev_b32_e32 v10, 22, v10
	v_add_u32_e32 v10, v9, v10
	v_and_b32_e32 v19, 0xfffffc00, v10
	v_accvgpr_read_b32 v11, a17
	v_sub_u32_e32 v31, v9, v19
	v_ashrrev_i32_e32 v11, 10, v10
	v_cmp_lt_i32_e32 vcc, 15, v31
	v_accvgpr_read_b32 v10, a27
	s_nop 0
	v_addc_co_u32_e64 v30, s[26:27], v11, v10, vcc
	v_cmp_lt_i32_e64 s[26:27], 15, v5
	s_and_saveexec_b64 s[52:53], s[26:27]
	s_cbranch_execz .LBB2_347
; %bb.344:                              ;   in Loop: Header=BB2_266 Depth=2
	s_trap 2
	ds_read_b128 v[14:17], v0
	ds_read_b64 v[26:27], v0
	v_accvgpr_read_b32 v29, a17
	v_accvgpr_read_b32 v28, a16
	s_mov_b64 s[54:55], 0
	s_waitcnt lgkmcnt(0)
	v_lshl_add_u64 v[10:11], v[14:15], 0, v[28:29]
	v_lshl_add_u64 v[14:15], v[16:17], 0, v[28:29]
	;; [unrolled: 1-line block ×3, first 2 shown]
.LBB2_345:                              ;   Parent Loop BB2_47 Depth=1
                                        ;     Parent Loop BB2_266 Depth=2
                                        ; =>    This Inner Loop Header: Depth=3
	global_load_dwordx4 v[36:39], v[10:11], off nt
	global_load_dwordx4 v[52:55], v[14:15], off nt
	v_sub_u32_e32 v5, v5, v49
	v_cmp_gt_i32_e64 s[26:27], 16, v5
	v_lshl_add_u64 v[10:11], v[10:11], 0, v[42:43]
	v_lshl_add_u64 v[14:15], v[14:15], 0, v[42:43]
	v_sub_u32_e32 v30, v30, v34
	s_or_b64 s[54:55], s[26:27], s[54:55]
	s_waitcnt vmcnt(0)
	v_mul_f16_e32 v18, v36, v52
	v_mul_f16_sdwa v25, v36, v52 dst_sel:WORD_1 dst_unused:UNUSED_PAD src0_sel:WORD_1 src1_sel:WORD_1
	v_mul_f16_e32 v26, v37, v53
	v_mul_f16_sdwa v27, v37, v53 dst_sel:WORD_1 dst_unused:UNUSED_PAD src0_sel:WORD_1 src1_sel:WORD_1
	;; [unrolled: 2-line block ×4, first 2 shown]
	v_or_b32_e32 v37, v27, v26
	v_or_b32_e32 v36, v25, v18
	;; [unrolled: 1-line block ×4, first 2 shown]
	global_store_dwordx4 v[16:17], v[36:39], off nt
	v_lshl_add_u64 v[16:17], v[16:17], 0, v[42:43]
	s_andn2_b64 exec, exec, s[54:55]
	s_cbranch_execnz .LBB2_345
; %bb.346:                              ;   in Loop: Header=BB2_266 Depth=2
	s_or_b64 exec, exec, s[54:55]
	v_accvgpr_read_b32 v53, a7
	v_accvgpr_read_b32 v55, a13
	;; [unrolled: 1-line block ×7, first 2 shown]
.LBB2_347:                              ;   in Loop: Header=BB2_266 Depth=2
	s_or_b64 exec, exec, s[52:53]
	v_and_b32_e32 v11, 14, v9
	v_cndmask_b32_e32 v25, v31, v11, vcc
	v_cmp_ne_u32_e64 s[26:27], 0, v25
	s_mov_b64 s[54:55], 0
	v_mov_b32_e32 v18, 0
                                        ; implicit-def: $vgpr9
                                        ; implicit-def: $vgpr5
                                        ; implicit-def: $vgpr10
	s_and_saveexec_b64 s[52:53], s[26:27]
	s_cbranch_execz .LBB2_355
; %bb.348:                              ;   in Loop: Header=BB2_266 Depth=2
	v_sub_u32_e32 v5, v31, v11
	v_cndmask_b32_e32 v5, 0, v5, vcc
	v_cmp_lt_i32_e32 vcc, 0, v30
	v_add_u32_e32 v19, v5, v19
	v_accvgpr_read_b32 v9, a26
	v_cndmask_b32_e32 v5, 0, v34, vcc
	v_sub_u32_e32 v5, v5, v30
	v_lshl_add_u32 v5, v5, 6, v9
	v_ashrrev_i32_e32 v9, 31, v5
	v_lshrrev_b32_e32 v9, 26, v9
	v_ashrrev_i32_e32 v11, 31, v25
	v_add_u32_e32 v9, v5, v9
	v_lshrrev_b32_e32 v11, 22, v11
	v_ashrrev_i32_e32 v10, 6, v9
	v_and_b32_e32 v9, 0xffffffc0, v9
	v_add_u32_e32 v11, v25, v11
	v_sub_u32_e32 v30, v5, v9
	v_and_b32_e32 v31, 0xfffffc00, v11
	v_lshlrev_b32_e32 v5, 4, v30
	v_sub_u32_e32 v37, v25, v31
	v_lshl_add_u32 v9, v10, 10, v5
	v_ashrrev_i32_e32 v14, 10, v11
	v_cmp_lt_i32_e32 vcc, 15, v37
	v_sub_u32_e32 v5, v25, v9
	s_nop 0
	v_addc_co_u32_e64 v11, s[26:27], 0, v14, vcc
	v_sub_u32_e32 v36, v11, v10
	v_cmp_lt_i32_e64 s[26:27], 15, v5
	s_and_saveexec_b64 s[54:55], s[26:27]
	s_cbranch_execz .LBB2_352
; %bb.349:                              ;   in Loop: Header=BB2_266 Depth=2
	s_trap 2
	ds_read_b128 v[14:17], v0
	ds_read_b64 v[26:27], v0
	v_add_u32_e32 v28, v9, v19
	v_ashrrev_i32_e32 v29, 31, v28
	s_mov_b64 s[56:57], 0
	s_waitcnt lgkmcnt(0)
	v_lshl_add_u64 v[10:11], v[14:15], 0, v[28:29]
	v_lshl_add_u64 v[14:15], v[16:17], 0, v[28:29]
	;; [unrolled: 1-line block ×3, first 2 shown]
.LBB2_350:                              ;   Parent Loop BB2_47 Depth=1
                                        ;     Parent Loop BB2_266 Depth=2
                                        ; =>    This Inner Loop Header: Depth=3
	global_load_dwordx4 v[52:55], v[10:11], off nt
	global_load_dwordx4 v[26:29], v[14:15], off nt
	v_sub_u32_e32 v5, v5, v49
	v_cmp_gt_i32_e64 s[26:27], 16, v5
	v_lshl_add_u64 v[10:11], v[10:11], 0, v[42:43]
	v_lshl_add_u64 v[14:15], v[14:15], 0, v[42:43]
	v_sub_u32_e32 v36, v36, v34
	s_or_b64 s[56:57], s[26:27], s[56:57]
	s_waitcnt vmcnt(0)
	v_mul_f16_e32 v9, v52, v26
	v_mul_f16_sdwa v18, v52, v26 dst_sel:WORD_1 dst_unused:UNUSED_PAD src0_sel:WORD_1 src1_sel:WORD_1
	v_mul_f16_e32 v26, v53, v27
	v_mul_f16_sdwa v27, v53, v27 dst_sel:WORD_1 dst_unused:UNUSED_PAD src0_sel:WORD_1 src1_sel:WORD_1
	;; [unrolled: 2-line block ×4, first 2 shown]
	v_or_b32_e32 v27, v27, v26
	v_or_b32_e32 v26, v18, v9
	v_or_b32_e32 v29, v29, v39
	v_or_b32_e32 v28, v28, v38
	global_store_dwordx4 v[16:17], v[26:29], off nt
	v_lshl_add_u64 v[16:17], v[16:17], 0, v[42:43]
	s_andn2_b64 exec, exec, s[56:57]
	s_cbranch_execnz .LBB2_350
; %bb.351:                              ;   in Loop: Header=BB2_266 Depth=2
	s_or_b64 exec, exec, s[56:57]
	v_accvgpr_read_b32 v53, a7
	v_accvgpr_read_b32 v55, a13
	v_accvgpr_read_b32 v52, a6
	v_accvgpr_read_b32 v54, a12
	v_accvgpr_read_b32 v39, a15
.LBB2_352:                              ;   in Loop: Header=BB2_266 Depth=2
	s_or_b64 exec, exec, s[54:55]
	v_and_b32_e32 v11, 14, v25
	v_cndmask_b32_e32 v9, v37, v11, vcc
	v_cmp_ne_u32_e64 s[26:27], 0, v9
	s_mov_b64 s[54:55], 0
	v_mov_b32_e32 v18, 0
                                        ; implicit-def: $vgpr5
                                        ; implicit-def: $vgpr10
	s_and_saveexec_b64 s[56:57], s[26:27]
	s_cbranch_execz .LBB2_354
; %bb.353:                              ;   in Loop: Header=BB2_266 Depth=2
	v_sub_u32_e32 v5, v37, v11
	v_cndmask_b32_e32 v5, 0, v5, vcc
	v_cmp_lt_i32_e32 vcc, 0, v36
	v_add3_u32 v18, v31, v19, v5
	s_mov_b64 s[54:55], exec
	v_cndmask_b32_e32 v5, 0, v34, vcc
	v_sub_u32_e32 v5, v5, v36
	v_lshl_add_u32 v5, v5, 6, v30
	v_ashrrev_i32_e32 v10, 31, v5
	v_lshrrev_b32_e32 v10, 26, v10
	v_add_u32_e32 v10, v5, v10
	v_ashrrev_i32_e32 v10, 6, v10
.LBB2_354:                              ;   in Loop: Header=BB2_266 Depth=2
	s_or_b64 exec, exec, s[56:57]
	v_accvgpr_read_b32 v37, a23
	s_and_b64 s[54:55], s[54:55], exec
	v_accvgpr_read_b32 v36, a22
.LBB2_355:                              ;   in Loop: Header=BB2_266 Depth=2
	s_or_b64 exec, exec, s[52:53]
	s_and_saveexec_b64 s[26:27], s[54:55]
	s_cbranch_execz .LBB2_364
.LBB2_356:                              ;   in Loop: Header=BB2_266 Depth=2
	v_ashrrev_i32_e32 v11, 31, v9
	v_lshrrev_b32_e32 v11, 23, v11
	v_add_u32_e32 v11, v9, v11
	v_ashrrev_i32_e32 v30, 9, v11
	v_sub_u32_e32 v19, v30, v10
	v_ashrrev_i32_e32 v11, 31, v5
	v_cmp_lt_i32_e32 vcc, 0, v19
	v_lshrrev_b32_e32 v25, 26, v11
	s_and_saveexec_b64 s[52:53], vcc
	s_cbranch_execz .LBB2_360
; %bb.357:                              ;   in Loop: Header=BB2_266 Depth=2
	v_add_u32_e32 v11, v5, v25
	s_trap 2
	v_and_b32_e32 v11, 0x7fffffc0, v11
	ds_read_b128 v[14:17], v0
	ds_read_b64 v[26:27], v0
	v_sub_u32_e32 v11, v5, v11
	v_lshlrev_b32_e32 v11, 1, v11
	v_lshlrev_b32_e32 v10, 9, v10
	v_add3_u32 v28, v11, v18, v10
	v_ashrrev_i32_e32 v29, 31, v28
	s_waitcnt lgkmcnt(0)
	v_lshl_add_u64 v[10:11], v[14:15], 0, v[28:29]
	v_lshl_add_u64 v[14:15], v[16:17], 0, v[28:29]
	;; [unrolled: 1-line block ×3, first 2 shown]
	s_mov_b64 s[54:55], 0
.LBB2_358:                              ;   Parent Loop BB2_47 Depth=1
                                        ;     Parent Loop BB2_266 Depth=2
                                        ; =>    This Inner Loop Header: Depth=3
	flat_load_ushort v26, v[10:11] nt
	flat_load_ushort v27, v[10:11] offset:128 nt
	flat_load_ushort v28, v[10:11] offset:256 nt
	;; [unrolled: 1-line block ×3, first 2 shown]
	flat_load_ushort v31, v[14:15] nt
	flat_load_ushort v36, v[14:15] offset:128 nt
	flat_load_ushort v37, v[14:15] offset:256 nt
	;; [unrolled: 1-line block ×3, first 2 shown]
	v_sub_u32_e32 v19, v19, v34
	v_cmp_gt_i32_e32 vcc, 1, v19
	v_lshl_add_u64 v[10:11], v[10:11], 0, v[40:41]
	v_lshl_add_u64 v[14:15], v[14:15], 0, v[40:41]
	s_or_b64 s[54:55], vcc, s[54:55]
	s_waitcnt vmcnt(0) lgkmcnt(0)
	v_mul_f16_e32 v26, v26, v31
	v_mul_f16_e32 v27, v27, v36
	;; [unrolled: 1-line block ×4, first 2 shown]
	flat_store_short v[16:17], v26 nt
	flat_store_short v[16:17], v27 offset:128 nt
	flat_store_short v[16:17], v28 offset:256 nt
	;; [unrolled: 1-line block ×3, first 2 shown]
	v_lshl_add_u64 v[16:17], v[16:17], 0, v[40:41]
	s_andn2_b64 exec, exec, s[54:55]
	s_cbranch_execnz .LBB2_358
; %bb.359:                              ;   in Loop: Header=BB2_266 Depth=2
	s_or_b64 exec, exec, s[54:55]
	v_accvgpr_read_b32 v37, a23
	v_accvgpr_read_b32 v39, a15
	;; [unrolled: 1-line block ×3, first 2 shown]
.LBB2_360:                              ;   in Loop: Header=BB2_266 Depth=2
	s_or_b64 exec, exec, s[52:53]
	v_lshlrev_b32_e32 v10, 9, v30
	v_cmp_ne_u32_e32 vcc, v9, v10
	s_and_b64 exec, exec, vcc
	s_cbranch_execz .LBB2_364
; %bb.361:                              ;   in Loop: Header=BB2_266 Depth=2
	v_add_u32_e32 v11, v5, v25
	v_and_b32_e32 v11, 0xffffffc0, v11
	v_sub_u32_e32 v5, v5, v11
	v_lshlrev_b32_e32 v11, 6, v19
	v_sub_u32_e32 v5, v5, v11
	v_ashrrev_i32_e32 v11, 31, v5
	v_lshrrev_b32_e32 v11, 26, v11
	v_add_u32_e32 v11, v5, v11
	v_and_b32_e32 v14, 0x7fffffc0, v11
	v_sub_u32_e32 v5, v5, v14
	v_lshlrev_b32_e32 v11, 1, v11
	v_and_b32_e32 v11, 0xffffff80, v11
	v_lshlrev_b32_e32 v5, 1, v5
	v_add3_u32 v10, v11, v5, v10
	v_sub_u32_e32 v5, v9, v10
	v_cmp_lt_i32_e32 vcc, 1, v5
	s_and_b64 exec, exec, vcc
	s_cbranch_execz .LBB2_364
; %bb.362:                              ;   in Loop: Header=BB2_266 Depth=2
	s_trap 2
	ds_read_b128 v[14:17], v0
	ds_read_b64 v[26:27], v0
	v_add_u32_e32 v18, v10, v18
	v_ashrrev_i32_e32 v19, 31, v18
	s_mov_b64 s[52:53], 0
	s_waitcnt lgkmcnt(0)
	v_lshl_add_u64 v[10:11], v[14:15], 0, v[18:19]
	v_lshl_add_u64 v[14:15], v[16:17], 0, v[18:19]
	;; [unrolled: 1-line block ×3, first 2 shown]
.LBB2_363:                              ;   Parent Loop BB2_47 Depth=1
                                        ;     Parent Loop BB2_266 Depth=2
                                        ; =>    This Inner Loop Header: Depth=3
	flat_load_ushort v9, v[10:11] nt
	flat_load_ushort v18, v[14:15] nt
	v_sub_u32_e32 v5, v5, v4
	v_cmp_gt_i32_e32 vcc, 2, v5
	v_lshl_add_u64 v[10:11], v[10:11], 0, v[44:45]
	v_lshl_add_u64 v[14:15], v[14:15], 0, v[44:45]
	s_or_b64 s[52:53], vcc, s[52:53]
	s_waitcnt vmcnt(0) lgkmcnt(0)
	v_mul_f16_e32 v9, v9, v18
	flat_store_short v[16:17], v9 nt
	v_lshl_add_u64 v[16:17], v[16:17], 0, v[44:45]
	s_andn2_b64 exec, exec, s[52:53]
	s_cbranch_execnz .LBB2_363
.LBB2_364:                              ;   in Loop: Header=BB2_266 Depth=2
	s_or_b64 exec, exec, s[26:27]
	v_cmp_lt_i32_e64 s[26:27], 0, v2
	s_and_saveexec_b64 s[52:53], s[6:7]
	s_cbranch_execz .LBB2_339
.LBB2_365:                              ;   in Loop: Header=BB2_266 Depth=2
	s_and_saveexec_b64 vcc, s[40:41]
	s_xor_b64 s[54:55], exec, vcc
	s_cbranch_execz .LBB2_380
; %bb.366:                              ;   in Loop: Header=BB2_266 Depth=2
	s_and_saveexec_b64 s[56:57], s[14:15]
	s_cbranch_execz .LBB2_379
; %bb.367:                              ;   in Loop: Header=BB2_266 Depth=2
	s_mov_b64 s[60:61], exec
	v_mbcnt_lo_u32_b32 v2, s60, 0
	v_mbcnt_hi_u32_b32 v2, s61, v2
	v_cmp_eq_u32_e32 vcc, 0, v2
	s_waitcnt lgkmcnt(0)
	s_and_saveexec_b64 s[58:59], vcc
	s_cbranch_execz .LBB2_369
; %bb.368:                              ;   in Loop: Header=BB2_266 Depth=2
	s_bcnt1_i32_b64 vcc_lo, s[60:61]
	v_mov_b32_e32 v2, vcc_lo
	ds_add_u64 v0, v[2:3]
	s_trap 2
.LBB2_369:                              ;   in Loop: Header=BB2_266 Depth=2
	s_or_b64 exec, exec, s[58:59]
	s_trap 2
	ds_read_b64 v[10:11], v0
	v_lshl_add_u64 v[12:13], v[12:13], 0, v[34:35]
	s_waitcnt lgkmcnt(0)
	v_cmp_lt_u64_e32 vcc, v[10:11], v[12:13]
	s_and_saveexec_b64 s[58:59], vcc
	s_cbranch_execz .LBB2_378
; %bb.370:                              ;   in Loop: Header=BB2_266 Depth=2
	s_mov_b32 s82, 0
	s_mov_b64 s[60:61], 0
                                        ; implicit-def: $sgpr62_sgpr63
                                        ; implicit-def: $sgpr64_sgpr65
	s_branch .LBB2_372
.LBB2_371:                              ;   in Loop: Header=BB2_372 Depth=3
	s_or_b64 exec, exec, s[68:69]
	s_and_b64 vcc, exec, vcc
	s_or_b64 s[60:61], vcc, s[60:61]
	s_andn2_b64 vcc, s[62:63], exec
	s_and_b64 s[62:63], s[64:65], exec
	s_or_b64 s[62:63], vcc, s[62:63]
	s_andn2_b64 exec, exec, s[60:61]
	s_cbranch_execz .LBB2_376
.LBB2_372:                              ;   Parent Loop BB2_47 Depth=1
                                        ;     Parent Loop BB2_266 Depth=2
                                        ; =>    This Inner Loop Header: Depth=3
	s_add_i32 s82, s82, 1
	s_cmpk_lg_i32 s82, 0x2710
	s_cselect_b64 s[66:67], -1, 0
	s_and_b64 vcc, exec, s[66:67]
                                        ; implicit-def: $sgpr68_sgpr69
	s_cbranch_vccnz .LBB2_374
; %bb.373:                              ;   in Loop: Header=BB2_372 Depth=3
	s_trap 2
	ds_read_b64 v[10:11], v0
	s_andn2_b64 s[66:67], s[66:67], exec
	s_mov_b32 s82, 0
	s_mov_b64 s[68:69], -1
	s_waitcnt vmcnt(0) lgkmcnt(0)
	flat_load_dword v2, v[10:11] sc0 sc1
	s_waitcnt vmcnt(0) lgkmcnt(0)
	buffer_inv sc0 sc1
	v_cmp_eq_u32_e32 vcc, 0, v2
	s_and_b64 vcc, vcc, exec
	s_or_b64 s[66:67], s[66:67], vcc
.LBB2_374:                              ;   in Loop: Header=BB2_372 Depth=3
	s_andn2_b64 s[64:65], s[64:65], exec
	s_and_b64 s[68:69], s[68:69], exec
	s_mov_b64 vcc, -1
	s_or_b64 s[64:65], s[64:65], s[68:69]
	s_and_saveexec_b64 s[68:69], s[66:67]
	s_cbranch_execz .LBB2_371
; %bb.375:                              ;   in Loop: Header=BB2_372 Depth=3
	s_sleep 1
	s_trap 2
	ds_read_b64 v[10:11], v0
	s_andn2_b64 s[64:65], s[64:65], exec
	s_waitcnt lgkmcnt(0)
	v_cmp_ge_u64_e32 vcc, v[10:11], v[12:13]
	s_orn2_b64 vcc, vcc, exec
	s_branch .LBB2_371
.LBB2_376:                              ;   in Loop: Header=BB2_266 Depth=2
	s_or_b64 exec, exec, s[60:61]
	s_and_saveexec_b64 vcc, s[62:63]
	s_xor_b64 vcc, exec, vcc
	s_cbranch_execz .LBB2_378
; %bb.377:                              ;   in Loop: Header=BB2_266 Depth=2
	ds_write_b32 v0, v0
	s_trap 2
.LBB2_378:                              ;   in Loop: Header=BB2_266 Depth=2
	s_or_b64 exec, exec, s[58:59]
	;;#ASMSTART
	s_wakeup
	;;#ASMEND
.LBB2_379:                              ;   in Loop: Header=BB2_266 Depth=2
	s_or_b64 exec, exec, s[56:57]
.LBB2_380:                              ;   in Loop: Header=BB2_266 Depth=2
	s_andn2_saveexec_b64 vcc, s[54:55]
	s_cbranch_execz .LBB2_382
; %bb.381:                              ;   in Loop: Header=BB2_266 Depth=2
	s_waitcnt lgkmcnt(0)
	s_barrier
.LBB2_382:                              ;   in Loop: Header=BB2_266 Depth=2
	s_or_b64 exec, exec, vcc
	s_or_b64 exec, exec, s[52:53]
                                        ; implicit-def: $vgpr2
	s_and_saveexec_b64 vcc, s[22:23]
	s_xor_b64 s[52:53], exec, vcc
	s_cbranch_execnz .LBB2_340
.LBB2_383:                              ;   in Loop: Header=BB2_266 Depth=2
	s_andn2_saveexec_b64 s[26:27], s[52:53]
	s_cbranch_execz .LBB2_402
.LBB2_384:                              ;   in Loop: Header=BB2_266 Depth=2
	s_and_saveexec_b64 vcc, s[40:41]
	s_xor_b64 s[52:53], exec, vcc
	s_cbranch_execz .LBB2_399
; %bb.385:                              ;   in Loop: Header=BB2_266 Depth=2
	s_and_saveexec_b64 s[54:55], s[14:15]
	s_cbranch_execz .LBB2_398
; %bb.386:                              ;   in Loop: Header=BB2_266 Depth=2
	s_mov_b64 s[58:59], exec
	v_mbcnt_lo_u32_b32 v2, s58, 0
	v_mbcnt_hi_u32_b32 v2, s59, v2
	v_cmp_eq_u32_e32 vcc, 0, v2
	;;#ASMSTART
	s_waitcnt lgkmcnt(0) vmcnt(0)
	;;#ASMEND
	s_and_saveexec_b64 s[56:57], vcc
	s_cbranch_execz .LBB2_388
; %bb.387:                              ;   in Loop: Header=BB2_266 Depth=2
	s_bcnt1_i32_b64 vcc_lo, s[58:59]
	v_mov_b32_e32 v2, vcc_lo
	ds_add_u64 v0, v[2:3]
	s_trap 2
.LBB2_388:                              ;   in Loop: Header=BB2_266 Depth=2
	s_or_b64 exec, exec, s[56:57]
	s_trap 2
	ds_read_b64 v[10:11], v0
	v_lshl_add_u64 v[12:13], v[12:13], 0, v[34:35]
	s_waitcnt lgkmcnt(0)
	v_cmp_lt_u64_e32 vcc, v[10:11], v[12:13]
	s_and_saveexec_b64 s[56:57], vcc
	s_cbranch_execz .LBB2_397
; %bb.389:                              ;   in Loop: Header=BB2_266 Depth=2
	s_mov_b32 s68, 0
	s_mov_b64 s[58:59], 0
                                        ; implicit-def: $sgpr60_sgpr61
                                        ; implicit-def: $sgpr62_sgpr63
	s_branch .LBB2_391
.LBB2_390:                              ;   in Loop: Header=BB2_391 Depth=3
	s_or_b64 exec, exec, s[66:67]
	s_and_b64 vcc, exec, vcc
	s_or_b64 s[58:59], vcc, s[58:59]
	s_andn2_b64 vcc, s[60:61], exec
	s_and_b64 s[60:61], s[62:63], exec
	s_or_b64 s[60:61], vcc, s[60:61]
	s_andn2_b64 exec, exec, s[58:59]
	s_cbranch_execz .LBB2_395
.LBB2_391:                              ;   Parent Loop BB2_47 Depth=1
                                        ;     Parent Loop BB2_266 Depth=2
                                        ; =>    This Inner Loop Header: Depth=3
	s_add_i32 s68, s68, 1
	s_cmpk_lg_i32 s68, 0x2710
	s_cselect_b64 s[64:65], -1, 0
	s_and_b64 vcc, exec, s[64:65]
                                        ; implicit-def: $sgpr66_sgpr67
	s_cbranch_vccnz .LBB2_393
; %bb.392:                              ;   in Loop: Header=BB2_391 Depth=3
	s_trap 2
	ds_read_b64 v[10:11], v0
	s_andn2_b64 s[64:65], s[64:65], exec
	s_mov_b32 s68, 0
	s_mov_b64 s[66:67], -1
	s_waitcnt vmcnt(0) lgkmcnt(0)
	flat_load_dword v2, v[10:11] sc0 sc1
	s_waitcnt vmcnt(0) lgkmcnt(0)
	buffer_inv sc0 sc1
	v_cmp_eq_u32_e32 vcc, 0, v2
	s_and_b64 vcc, vcc, exec
	s_or_b64 s[64:65], s[64:65], vcc
.LBB2_393:                              ;   in Loop: Header=BB2_391 Depth=3
	s_andn2_b64 s[62:63], s[62:63], exec
	s_and_b64 s[66:67], s[66:67], exec
	s_mov_b64 vcc, -1
	s_or_b64 s[62:63], s[62:63], s[66:67]
	s_and_saveexec_b64 s[66:67], s[64:65]
	s_cbranch_execz .LBB2_390
; %bb.394:                              ;   in Loop: Header=BB2_391 Depth=3
	s_sleep 1
	s_trap 2
	ds_read_b64 v[10:11], v0
	s_andn2_b64 s[62:63], s[62:63], exec
	s_waitcnt lgkmcnt(0)
	v_cmp_ge_u64_e32 vcc, v[10:11], v[12:13]
	s_orn2_b64 vcc, vcc, exec
	s_branch .LBB2_390
.LBB2_395:                              ;   in Loop: Header=BB2_266 Depth=2
	s_or_b64 exec, exec, s[58:59]
	s_and_saveexec_b64 vcc, s[60:61]
	s_xor_b64 vcc, exec, vcc
	s_cbranch_execz .LBB2_397
; %bb.396:                              ;   in Loop: Header=BB2_266 Depth=2
	ds_write_b32 v0, v0
	s_trap 2
.LBB2_397:                              ;   in Loop: Header=BB2_266 Depth=2
	s_or_b64 exec, exec, s[56:57]
	;;#ASMSTART
	s_wakeup
	;;#ASMEND
.LBB2_398:                              ;   in Loop: Header=BB2_266 Depth=2
	s_or_b64 exec, exec, s[54:55]
.LBB2_399:                              ;   in Loop: Header=BB2_266 Depth=2
	s_andn2_saveexec_b64 vcc, s[52:53]
	s_cbranch_execz .LBB2_401
; %bb.400:                              ;   in Loop: Header=BB2_266 Depth=2
	;;#ASMSTART
	s_waitcnt lgkmcnt(0) vmcnt(0)
	;;#ASMEND
	s_barrier
.LBB2_401:                              ;   in Loop: Header=BB2_266 Depth=2
	s_or_b64 exec, exec, vcc
	v_and_b32_e32 v2, 16, v62
.LBB2_402:                              ;   in Loop: Header=BB2_266 Depth=2
	s_or_b64 exec, exec, s[26:27]
	v_cmp_ne_u32_e32 vcc, 0, v2
	s_xor_b64 s[26:27], s[10:11], -1
	s_and_b64 vcc, vcc, s[26:27]
	s_and_saveexec_b64 s[26:27], vcc
	s_cbranch_execz .LBB2_404
; %bb.403:                              ;   in Loop: Header=BB2_266 Depth=2
	flat_store_dword v[54:55], v0 sc0 sc1
.LBB2_404:                              ;   in Loop: Header=BB2_266 Depth=2
	s_or_b64 exec, exec, s[26:27]
	v_and_b32_e32 v2, 48, v62
	v_cmp_ne_u32_e32 vcc, 0, v2
	s_and_saveexec_b64 s[26:27], vcc
	s_cbranch_execz .LBB2_406
; %bb.405:                              ;   in Loop: Header=BB2_266 Depth=2
	v_lshl_add_u64 v[20:21], v[20:21], 0, 4
	flat_store_dwordx2 v[22:23], v[20:21] sc0 sc1
.LBB2_406:                              ;   in Loop: Header=BB2_266 Depth=2
	s_or_b64 exec, exec, s[26:27]
	v_mov_b32_e32 v5, v8
.LBB2_407:                              ;   in Loop: Header=BB2_266 Depth=2
	s_or_b64 exec, exec, s[30:31]
	s_and_saveexec_b64 s[30:31], s[28:29]
	s_cbranch_execz .LBB2_265
; %bb.408:                              ;   in Loop: Header=BB2_266 Depth=2
	v_and_b32_e32 v2, 12, v62
	v_cmp_ne_u32_e32 vcc, 0, v2
	s_mov_b64 s[28:29], -1
	s_and_saveexec_b64 s[26:27], vcc
	s_cbranch_execz .LBB2_420
; %bb.409:                              ;   in Loop: Header=BB2_266 Depth=2
	v_and_b32_e32 v2, 8, v62
	v_lshl_add_u64 v[14:15], v[32:33], 0, v[2:3]
	v_lshl_add_u64 v[10:11], v[20:21], 0, 4
	v_cmp_lt_u64_e32 vcc, v[14:15], v[10:11]
	v_mov_b32_e32 v9, 1
	s_and_saveexec_b64 s[28:29], vcc
	s_cbranch_execz .LBB2_419
; %bb.410:                              ;   in Loop: Header=BB2_266 Depth=2
	s_mov_b64 s[52:53], 0
	v_mov_b32_e32 v9, 0
                                        ; implicit-def: $sgpr54_sgpr55
	s_branch .LBB2_414
.LBB2_411:                              ;   in Loop: Header=BB2_414 Depth=3
	s_or_b64 exec, exec, s[62:63]
	v_mov_b32_e32 v14, 0
	s_orn2_b64 s[60:61], s[60:61], exec
.LBB2_412:                              ;   in Loop: Header=BB2_414 Depth=3
	s_or_b64 exec, exec, s[58:59]
	s_andn2_b64 vcc, s[54:55], exec
	s_and_b64 s[54:55], s[60:61], exec
	s_or_b64 s[54:55], vcc, s[54:55]
	v_mov_b32_e32 v9, v14
.LBB2_413:                              ;   in Loop: Header=BB2_414 Depth=3
	s_or_b64 exec, exec, s[56:57]
	s_waitcnt vmcnt(0) lgkmcnt(0)
	v_lshl_add_u64 v[14:15], v[32:33], 0, v[2:3]
	v_cmp_ge_u64_e32 vcc, v[14:15], v[10:11]
	s_xor_b64 s[56:57], s[54:55], -1
	s_or_b64 vcc, s[56:57], vcc
	s_and_b64 vcc, exec, vcc
	s_or_b64 s[52:53], vcc, s[52:53]
	s_andn2_b64 exec, exec, s[52:53]
	s_cbranch_execz .LBB2_418
.LBB2_414:                              ;   Parent Loop BB2_47 Depth=1
                                        ;     Parent Loop BB2_266 Depth=2
                                        ; =>    This Inner Loop Header: Depth=3
	s_sleep 1
	flat_load_dwordx2 v[32:33], v[22:23] sc0 sc1
	v_and_b32_e32 v14, 64, v62
	v_cmp_eq_u32_e32 vcc, 0, v14
	s_andn2_b64 s[54:55], s[54:55], exec
	s_and_saveexec_b64 s[56:57], vcc
	s_cbranch_execz .LBB2_413
; %bb.415:                              ;   in Loop: Header=BB2_414 Depth=3
	v_add_u32_e32 v14, 1, v9
	v_cmp_lt_i32_e32 vcc, s72, v9
	s_mov_b64 s[60:61], -1
	s_and_saveexec_b64 s[58:59], vcc
	s_cbranch_execz .LBB2_412
; %bb.416:                              ;   in Loop: Header=BB2_414 Depth=3
	s_trap 2
	ds_read_b64 v[14:15], v0
	s_waitcnt vmcnt(0) lgkmcnt(0)
	flat_load_dword v9, v[14:15] sc0 sc1
	s_waitcnt vmcnt(0) lgkmcnt(0)
	buffer_inv sc0 sc1
	v_cmp_ne_u32_e32 vcc, 0, v9
	s_and_saveexec_b64 s[62:63], vcc
	s_cbranch_execz .LBB2_411
; %bb.417:                              ;   in Loop: Header=BB2_414 Depth=3
	v_or_b32_e32 v62, 64, v62
	s_xor_b64 s[60:61], exec, -1
	ds_write_b32 v0, v9
	s_trap 2
	s_branch .LBB2_411
.LBB2_418:                              ;   in Loop: Header=BB2_266 Depth=2
	s_or_b64 exec, exec, s[52:53]
	v_and_b32_e32 v9, 12, v62
.LBB2_419:                              ;   in Loop: Header=BB2_266 Depth=2
	s_or_b64 exec, exec, s[28:29]
	v_cmp_eq_u32_e32 vcc, 0, v9
	s_orn2_b64 s[28:29], vcc, exec
	;;#ASMSTART
	s_wakeup
	;;#ASMEND
.LBB2_420:                              ;   in Loop: Header=BB2_266 Depth=2
	s_or_b64 exec, exec, s[26:27]
	v_sub_u32_e32 v1, v1, v5
	s_xor_b64 s[26:27], s[28:29], -1
	v_min_i32_e32 v8, v8, v1
	s_and_saveexec_b64 s[28:29], s[26:27]
	s_cbranch_execz .LBB2_444
; %bb.421:                              ;   in Loop: Header=BB2_266 Depth=2
	v_and_b32_e32 v1, 0x108, v62
	v_cmp_ne_u32_e32 vcc, s80, v1
	v_and_b32_e32 v2, 7, v20
	s_and_saveexec_b64 s[26:27], vcc
	s_xor_b64 s[26:27], exec, s[26:27]
	s_andn2_saveexec_b64 s[26:27], s[26:27]
	s_cbranch_execz .LBB2_423
; %bb.422:                              ;   in Loop: Header=BB2_266 Depth=2
	v_ashrrev_i32_e32 v9, 31, v8
	v_mad_u64_u32 v[10:11], vcc, v2, 24, v[6:7]
	v_lshlrev_b64 v[14:15], 1, v[8:9]
	flat_store_dwordx2 v[10:11], v[14:15] offset:8
.LBB2_423:                              ;   in Loop: Header=BB2_266 Depth=2
	s_or_b64 exec, exec, s[26:27]
	v_and_b32_e32 v1, 0x100, v62
	v_cmp_ne_u32_e32 vcc, 0, v1
	s_mov_b64 s[26:27], -1
                                        ; implicit-def: $vgpr10_vgpr11
	s_and_saveexec_b64 s[52:53], vcc
	s_cbranch_execz .LBB2_427
; %bb.424:                              ;   in Loop: Header=BB2_266 Depth=2
	v_mad_u64_u32 v[14:15], s[26:27], v2, 24, v[6:7]
	v_mov_b32_e32 v10, v15
	v_mad_u64_u32 v[10:11], s[26:27], v3, 24, v[10:11]
	v_mov_b32_e32 v15, v10
	flat_load_dword v1, v[14:15]
                                        ; implicit-def: $vgpr10_vgpr11
	s_waitcnt vmcnt(0) lgkmcnt(0)
	v_cmp_ne_u32_e32 vcc, 1, v1
	v_cmp_eq_u32_e64 s[26:27], 1, v1
	s_and_saveexec_b64 s[54:55], s[26:27]
	s_cbranch_execz .LBB2_426
; %bb.425:                              ;   in Loop: Header=BB2_266 Depth=2
	flat_load_dword v10, v[14:15] offset:4 sc0 sc1
	s_waitcnt vmcnt(0) lgkmcnt(0)
	v_ashrrev_i32_e32 v11, 31, v10
	v_lshrrev_b64 v[10:11], 1, v[10:11]
.LBB2_426:                              ;   in Loop: Header=BB2_266 Depth=2
	s_or_b64 exec, exec, s[54:55]
	s_orn2_b64 s[26:27], vcc, exec
.LBB2_427:                              ;   in Loop: Header=BB2_266 Depth=2
	s_or_b64 exec, exec, s[52:53]
	s_and_saveexec_b64 vcc, s[26:27]
; %bb.428:                              ;   in Loop: Header=BB2_266 Depth=2
	v_mul_lo_u32 v1, v3, v24
	v_mul_lo_u32 v5, v2, v39
	v_mad_u64_u32 v[10:11], s[26:27], v2, v24, 0
	v_add3_u32 v11, v11, v5, v1
; %bb.429:                              ;   in Loop: Header=BB2_266 Depth=2
	s_or_b64 exec, exec, vcc
	v_and_b32_e32 v1, 0x2000, v62
	v_lshl_add_u64 v[10:11], v[10:11], 1, v[60:61]
	v_cmp_ne_u32_e32 vcc, 0, v1
	s_trap 2
	ds_write_b64 v0, v[10:11]
	s_and_saveexec_b64 s[26:27], vcc
	s_cbranch_execz .LBB2_431
; %bb.430:                              ;   in Loop: Header=BB2_266 Depth=2
	ds_read_b64 v[10:11], v0 offset:584
	s_waitcnt lgkmcnt(0)
	v_lshl_add_u64 v[10:11], v[10:11], 0, 1
	ds_write_b64 v0, v[10:11] offset:584
.LBB2_431:                              ;   in Loop: Header=BB2_266 Depth=2
	s_or_b64 exec, exec, s[26:27]
	v_lshl_add_u64 v[20:21], v[20:21], 0, 4
	s_or_b64 exec, exec, s[28:29]
	s_and_saveexec_b64 s[26:27], s[6:7]
	s_cbranch_execnz .LBB2_445
.LBB2_432:                              ;   in Loop: Header=BB2_266 Depth=2
	s_or_b64 exec, exec, s[26:27]
                                        ; implicit-def: $vgpr1
	s_and_saveexec_b64 s[26:27], s[50:51]
	s_xor_b64 s[26:27], exec, s[26:27]
	s_cbranch_execz .LBB2_470
.LBB2_433:                              ;   in Loop: Header=BB2_266 Depth=2
	s_and_saveexec_b64 s[28:29], s[40:41]
	s_xor_b64 s[28:29], exec, s[28:29]
	s_cbranch_execz .LBB2_460
; %bb.434:                              ;   in Loop: Header=BB2_266 Depth=2
	s_and_saveexec_b64 s[52:53], s[14:15]
	s_cbranch_execz .LBB2_459
; %bb.435:                              ;   in Loop: Header=BB2_266 Depth=2
	s_mov_b64 s[56:57], exec
	v_mbcnt_lo_u32_b32 v1, s56, 0
	v_mbcnt_hi_u32_b32 v1, s57, v1
	v_cmp_eq_u32_e32 vcc, 0, v1
	;;#ASMSTART
	s_waitcnt lgkmcnt(0) vmcnt(0)
	;;#ASMEND
	s_and_saveexec_b64 s[54:55], vcc
	s_cbranch_execz .LBB2_437
; %bb.436:                              ;   in Loop: Header=BB2_266 Depth=2
	s_bcnt1_i32_b64 vcc_lo, s[56:57]
	v_mov_b32_e32 v2, vcc_lo
	ds_add_u64 v0, v[2:3]
	s_trap 2
.LBB2_437:                              ;   in Loop: Header=BB2_266 Depth=2
	s_or_b64 exec, exec, s[54:55]
	s_trap 2
	ds_read_b64 v[8:9], v0
	v_lshl_add_u64 v[12:13], v[12:13], 0, v[34:35]
	s_waitcnt lgkmcnt(0)
	v_cmp_lt_u64_e32 vcc, v[8:9], v[12:13]
	s_and_saveexec_b64 s[54:55], vcc
	s_cbranch_execz .LBB2_458
; %bb.438:                              ;   in Loop: Header=BB2_266 Depth=2
	s_mov_b32 s66, 0
	s_mov_b64 s[56:57], 0
                                        ; implicit-def: $sgpr58_sgpr59
                                        ; implicit-def: $sgpr60_sgpr61
	s_branch .LBB2_440
.LBB2_439:                              ;   in Loop: Header=BB2_440 Depth=3
	s_or_b64 exec, exec, s[64:65]
	s_and_b64 vcc, exec, vcc
	s_or_b64 s[56:57], vcc, s[56:57]
	s_andn2_b64 vcc, s[58:59], exec
	s_and_b64 s[58:59], s[60:61], exec
	s_or_b64 s[58:59], vcc, s[58:59]
	s_andn2_b64 exec, exec, s[56:57]
	s_cbranch_execz .LBB2_456
.LBB2_440:                              ;   Parent Loop BB2_47 Depth=1
                                        ;     Parent Loop BB2_266 Depth=2
                                        ; =>    This Inner Loop Header: Depth=3
	s_add_i32 s66, s66, 1
	s_cmpk_lg_i32 s66, 0x2710
	s_cselect_b64 s[62:63], -1, 0
	s_and_b64 vcc, exec, s[62:63]
                                        ; implicit-def: $sgpr64_sgpr65
	s_cbranch_vccnz .LBB2_442
; %bb.441:                              ;   in Loop: Header=BB2_440 Depth=3
	s_trap 2
	ds_read_b64 v[8:9], v0
	s_andn2_b64 s[62:63], s[62:63], exec
	s_mov_b32 s66, 0
	s_mov_b64 s[64:65], -1
	s_waitcnt vmcnt(0) lgkmcnt(0)
	flat_load_dword v1, v[8:9] sc0 sc1
	s_waitcnt vmcnt(0) lgkmcnt(0)
	buffer_inv sc0 sc1
	v_cmp_eq_u32_e32 vcc, 0, v1
	s_and_b64 vcc, vcc, exec
	s_or_b64 s[62:63], s[62:63], vcc
.LBB2_442:                              ;   in Loop: Header=BB2_440 Depth=3
	s_andn2_b64 s[60:61], s[60:61], exec
	s_and_b64 s[64:65], s[64:65], exec
	s_mov_b64 vcc, -1
	s_or_b64 s[60:61], s[60:61], s[64:65]
	s_and_saveexec_b64 s[64:65], s[62:63]
	s_cbranch_execz .LBB2_439
; %bb.443:                              ;   in Loop: Header=BB2_440 Depth=3
	s_sleep 1
	s_trap 2
	ds_read_b64 v[8:9], v0
	s_andn2_b64 s[60:61], s[60:61], exec
	s_waitcnt lgkmcnt(0)
	v_cmp_ge_u64_e32 vcc, v[8:9], v[12:13]
	s_orn2_b64 vcc, vcc, exec
	s_branch .LBB2_439
.LBB2_444:                              ;   in Loop: Header=BB2_266 Depth=2
	s_or_b64 exec, exec, s[28:29]
	s_and_saveexec_b64 s[26:27], s[6:7]
	s_cbranch_execz .LBB2_432
.LBB2_445:                              ;   in Loop: Header=BB2_266 Depth=2
	s_and_saveexec_b64 s[28:29], s[40:41]
	s_xor_b64 s[28:29], exec, s[28:29]
	s_cbranch_execz .LBB2_467
; %bb.446:                              ;   in Loop: Header=BB2_266 Depth=2
	s_and_saveexec_b64 s[52:53], s[14:15]
	s_cbranch_execz .LBB2_466
; %bb.447:                              ;   in Loop: Header=BB2_266 Depth=2
	s_mov_b64 s[56:57], exec
	v_mbcnt_lo_u32_b32 v1, s56, 0
	v_mbcnt_hi_u32_b32 v1, s57, v1
	v_cmp_eq_u32_e32 vcc, 0, v1
	s_waitcnt lgkmcnt(0)
	s_and_saveexec_b64 s[54:55], vcc
	s_cbranch_execz .LBB2_449
; %bb.448:                              ;   in Loop: Header=BB2_266 Depth=2
	s_bcnt1_i32_b64 vcc_lo, s[56:57]
	v_mov_b32_e32 v2, vcc_lo
	ds_add_u64 v0, v[2:3]
	s_trap 2
.LBB2_449:                              ;   in Loop: Header=BB2_266 Depth=2
	s_or_b64 exec, exec, s[54:55]
	s_trap 2
	ds_read_b64 v[10:11], v0
	v_lshl_add_u64 v[12:13], v[12:13], 0, v[34:35]
	s_waitcnt lgkmcnt(0)
	v_cmp_lt_u64_e32 vcc, v[10:11], v[12:13]
	s_and_saveexec_b64 s[54:55], vcc
	s_cbranch_execz .LBB2_465
; %bb.450:                              ;   in Loop: Header=BB2_266 Depth=2
	s_mov_b32 s66, 0
	s_mov_b64 s[56:57], 0
                                        ; implicit-def: $sgpr58_sgpr59
                                        ; implicit-def: $sgpr60_sgpr61
	s_branch .LBB2_452
.LBB2_451:                              ;   in Loop: Header=BB2_452 Depth=3
	s_or_b64 exec, exec, s[64:65]
	s_and_b64 vcc, exec, vcc
	s_or_b64 s[56:57], vcc, s[56:57]
	s_andn2_b64 vcc, s[58:59], exec
	s_and_b64 s[58:59], s[60:61], exec
	s_or_b64 s[58:59], vcc, s[58:59]
	s_andn2_b64 exec, exec, s[56:57]
	s_cbranch_execz .LBB2_463
.LBB2_452:                              ;   Parent Loop BB2_47 Depth=1
                                        ;     Parent Loop BB2_266 Depth=2
                                        ; =>    This Inner Loop Header: Depth=3
	s_add_i32 s66, s66, 1
	s_cmpk_lg_i32 s66, 0x2710
	s_cselect_b64 s[62:63], -1, 0
	s_and_b64 vcc, exec, s[62:63]
                                        ; implicit-def: $sgpr64_sgpr65
	s_cbranch_vccnz .LBB2_454
; %bb.453:                              ;   in Loop: Header=BB2_452 Depth=3
	s_trap 2
	ds_read_b64 v[10:11], v0
	s_andn2_b64 s[62:63], s[62:63], exec
	s_mov_b32 s66, 0
	s_mov_b64 s[64:65], -1
	s_waitcnt vmcnt(0) lgkmcnt(0)
	flat_load_dword v1, v[10:11] sc0 sc1
	s_waitcnt vmcnt(0) lgkmcnt(0)
	buffer_inv sc0 sc1
	v_cmp_eq_u32_e32 vcc, 0, v1
	s_and_b64 vcc, vcc, exec
	s_or_b64 s[62:63], s[62:63], vcc
.LBB2_454:                              ;   in Loop: Header=BB2_452 Depth=3
	s_andn2_b64 s[60:61], s[60:61], exec
	s_and_b64 s[64:65], s[64:65], exec
	s_mov_b64 vcc, -1
	s_or_b64 s[60:61], s[60:61], s[64:65]
	s_and_saveexec_b64 s[64:65], s[62:63]
	s_cbranch_execz .LBB2_451
; %bb.455:                              ;   in Loop: Header=BB2_452 Depth=3
	s_sleep 1
	s_trap 2
	ds_read_b64 v[10:11], v0
	s_andn2_b64 s[60:61], s[60:61], exec
	s_waitcnt lgkmcnt(0)
	v_cmp_ge_u64_e32 vcc, v[10:11], v[12:13]
	s_orn2_b64 vcc, vcc, exec
	s_branch .LBB2_451
.LBB2_456:                              ;   in Loop: Header=BB2_266 Depth=2
	s_or_b64 exec, exec, s[56:57]
	s_and_saveexec_b64 vcc, s[58:59]
	s_xor_b64 vcc, exec, vcc
	s_cbranch_execz .LBB2_458
; %bb.457:                              ;   in Loop: Header=BB2_266 Depth=2
	ds_write_b32 v0, v0
	s_trap 2
.LBB2_458:                              ;   in Loop: Header=BB2_266 Depth=2
	s_or_b64 exec, exec, s[54:55]
	;;#ASMSTART
	s_wakeup
	;;#ASMEND
.LBB2_459:                              ;   in Loop: Header=BB2_266 Depth=2
	s_or_b64 exec, exec, s[52:53]
.LBB2_460:                              ;   in Loop: Header=BB2_266 Depth=2
	s_andn2_saveexec_b64 s[28:29], s[28:29]
	s_cbranch_execz .LBB2_462
; %bb.461:                              ;   in Loop: Header=BB2_266 Depth=2
	;;#ASMSTART
	s_waitcnt lgkmcnt(0) vmcnt(0)
	;;#ASMEND
	s_barrier
.LBB2_462:                              ;   in Loop: Header=BB2_266 Depth=2
	s_or_b64 exec, exec, s[28:29]
	v_and_b32_e32 v1, 16, v62
                                        ; implicit-def: $vgpr8
	s_andn2_saveexec_b64 s[26:27], s[26:27]
	s_cbranch_execz .LBB2_474
	s_branch .LBB2_471
.LBB2_463:                              ;   in Loop: Header=BB2_266 Depth=2
	s_or_b64 exec, exec, s[56:57]
	s_and_saveexec_b64 vcc, s[58:59]
	s_xor_b64 vcc, exec, vcc
	s_cbranch_execz .LBB2_465
; %bb.464:                              ;   in Loop: Header=BB2_266 Depth=2
	ds_write_b32 v0, v0
	s_trap 2
.LBB2_465:                              ;   in Loop: Header=BB2_266 Depth=2
	s_or_b64 exec, exec, s[54:55]
	;;#ASMSTART
	s_wakeup
	;;#ASMEND
.LBB2_466:                              ;   in Loop: Header=BB2_266 Depth=2
	s_or_b64 exec, exec, s[52:53]
.LBB2_467:                              ;   in Loop: Header=BB2_266 Depth=2
	s_andn2_saveexec_b64 s[28:29], s[28:29]
	s_cbranch_execz .LBB2_469
; %bb.468:                              ;   in Loop: Header=BB2_266 Depth=2
	s_waitcnt lgkmcnt(0)
	s_barrier
.LBB2_469:                              ;   in Loop: Header=BB2_266 Depth=2
	s_or_b64 exec, exec, s[28:29]
	s_or_b64 exec, exec, s[26:27]
                                        ; implicit-def: $vgpr1
	s_and_saveexec_b64 s[26:27], s[50:51]
	s_xor_b64 s[26:27], exec, s[26:27]
	s_cbranch_execnz .LBB2_433
.LBB2_470:                              ;   in Loop: Header=BB2_266 Depth=2
	s_andn2_saveexec_b64 s[26:27], s[26:27]
	s_cbranch_execz .LBB2_474
.LBB2_471:                              ;   in Loop: Header=BB2_266 Depth=2
	s_trap 2
	ds_read_b32 v2, v0
	v_cmp_lt_i32_e32 vcc, 0, v8
	v_and_b32_e32 v5, 16, v62
	v_and_b32_e32 v1, 16, v62
	s_waitcnt lgkmcnt(0)
	v_readfirstlane_b32 s28, v2
	s_cmp_eq_u32 s28, 0
	s_cselect_b64 s[28:29], -1, 0
	s_and_b64 s[28:29], vcc, s[28:29]
	v_cmp_ne_u32_e32 vcc, 0, v5
	s_and_b64 vcc, vcc, s[28:29]
	s_and_saveexec_b64 s[28:29], vcc
	s_cbranch_execz .LBB2_473
; %bb.472:                              ;   in Loop: Header=BB2_266 Depth=2
	v_mov_b32_e32 v1, 1
	buffer_wbl2 sc1
	s_waitcnt vmcnt(0)
	buffer_inv sc1
.LBB2_473:                              ;   in Loop: Header=BB2_266 Depth=2
	s_or_b64 exec, exec, s[28:29]
.LBB2_474:                              ;   in Loop: Header=BB2_266 Depth=2
	s_or_b64 exec, exec, s[26:27]
	v_cmp_ne_u32_e32 vcc, 0, v1
	s_xor_b64 s[26:27], s[10:11], -1
	s_and_b64 s[28:29], vcc, s[26:27]
	s_and_saveexec_b64 s[26:27], s[28:29]
	s_cbranch_execz .LBB2_476
; %bb.475:                              ;   in Loop: Header=BB2_266 Depth=2
	flat_store_dword v[54:55], v0 sc0 sc1
.LBB2_476:                              ;   in Loop: Header=BB2_266 Depth=2
	s_or_b64 exec, exec, s[26:27]
	v_and_b32_e32 v1, 48, v62
	v_cmp_ne_u32_e32 vcc, 0, v1
	s_and_saveexec_b64 s[26:27], vcc
	s_cbranch_execz .LBB2_264
; %bb.477:                              ;   in Loop: Header=BB2_266 Depth=2
	v_lshl_add_u64 v[20:21], v[20:21], 0, 4
	flat_store_dwordx2 v[22:23], v[20:21] sc0 sc1
	s_branch .LBB2_264
.LBB2_478:                              ;   in Loop: Header=BB2_47 Depth=1
	v_mul_lo_u32 v1, v57, s70
	v_mul_lo_u32 v2, v56, s71
	v_mad_u64_u32 v[8:9], s[26:27], v56, s70, 0
	v_add3_u32 v9, v9, v2, v1
	v_sub_co_u32_e32 v10, vcc, v58, v8
	s_nop 1
	v_subb_co_u32_e32 v11, vcc, v59, v9, vcc
	v_cmp_lt_i64_e32 vcc, v[56:57], v[10:11]
	s_nop 1
	v_cndmask_b32_e32 v2, v10, v56, vcc
	v_max_i32_e32 v1, 0, v2
	v_add_u32_e32 v5, 15, v1
	v_ashrrev_i32_e32 v10, 31, v5
	v_lshrrev_b32_e32 v10, 28, v10
	v_add_u32_e32 v5, v5, v10
	v_cmp_gt_i32_e32 vcc, 1, v2
	v_and_b32_e32 v5, -16, v5
	s_or_b64 s[52:53], s[2:3], vcc
	v_max_i32_e32 v16, s76, v5
	s_xor_b64 s[26:27], s[52:53], -1
	v_mov_b32_e32 v5, 0
	s_and_saveexec_b64 s[54:55], s[26:27]
	s_cbranch_execz .LBB2_484
; %bb.479:                              ;   in Loop: Header=BB2_47 Depth=1
	s_and_saveexec_b64 s[26:27], s[0:1]
	s_cbranch_execz .LBB2_481
; %bb.480:                              ;   in Loop: Header=BB2_47 Depth=1
	v_accvgpr_read_b32 v10, a30
	s_trap 2
	ds_read2_b64 v[36:39], v0 offset1:1
	v_accvgpr_read_b32 v11, a31
	v_lshl_add_u64 v[8:9], v[8:9], 0, v[10:11]
	ds_read_b64 v[10:11], v0
	v_lshlrev_b64 v[8:9], 1, v[8:9]
	s_waitcnt lgkmcnt(0)
	v_lshl_add_u64 v[14:15], v[36:37], 0, v[8:9]
	v_accvgpr_read_b32 v37, a23
	ds_write_b64 v0, v[14:15]
	v_lshl_add_u64 v[14:15], v[38:39], 0, v[8:9]
	v_lshl_add_u64 v[8:9], v[10:11], 0, v[8:9]
	v_cmp_ne_u64_e32 vcc, 0, v[10:11]
	v_accvgpr_read_b32 v36, a22
	v_accvgpr_read_b32 v39, a15
	v_cndmask_b32_e32 v9, 0, v9, vcc
	v_cndmask_b32_e32 v8, 0, v8, vcc
	ds_write_b64 v0, v[14:15]
	ds_write_b64 v0, v[8:9]
.LBB2_481:                              ;   in Loop: Header=BB2_47 Depth=1
	s_or_b64 exec, exec, s[26:27]
	v_and_b32_e32 v2, 12, v62
	v_cmp_ne_u32_e32 vcc, 0, v2
	s_mov_b64 s[28:29], -1
	s_and_saveexec_b64 s[26:27], vcc
	s_cbranch_execz .LBB2_504
; %bb.482:                              ;   in Loop: Header=BB2_47 Depth=1
	v_and_b32_e32 v2, 8, v62
	v_lshl_add_u64 v[10:11], v[32:33], 0, v[2:3]
	v_lshl_add_u64 v[8:9], v[20:21], 0, 4
	v_cmp_lt_u64_e32 vcc, v[10:11], v[8:9]
	v_mov_b32_e32 v5, 1
	s_and_saveexec_b64 s[28:29], vcc
	s_cbranch_execz .LBB2_503
; %bb.483:                              ;   in Loop: Header=BB2_47 Depth=1
	s_mov_b64 s[30:31], 0
	v_mov_b32_e32 v5, 0
                                        ; implicit-def: $sgpr56_sgpr57
	s_branch .LBB2_491
.LBB2_484:                              ;   in Loop: Header=BB2_47 Depth=1
	s_or_b64 exec, exec, s[54:55]
	s_and_saveexec_b64 s[28:29], s[52:53]
	s_cbranch_execz .LBB2_728
.LBB2_485:                              ;   in Loop: Header=BB2_47 Depth=1
	v_and_b32_e32 v2, 12, v62
	v_cmp_ne_u32_e32 vcc, 0, v2
	s_mov_b64 s[30:31], -1
	s_and_saveexec_b64 s[26:27], vcc
	s_cbranch_execz .LBB2_530
; %bb.486:                              ;   in Loop: Header=BB2_47 Depth=1
	v_and_b32_e32 v2, 8, v62
	v_lshl_add_u64 v[10:11], v[32:33], 0, v[2:3]
	v_lshl_add_u64 v[8:9], v[20:21], 0, 4
	v_cmp_lt_u64_e32 vcc, v[10:11], v[8:9]
	v_mov_b32_e32 v10, 1
	s_and_saveexec_b64 s[30:31], vcc
	s_cbranch_execz .LBB2_529
; %bb.487:                              ;   in Loop: Header=BB2_47 Depth=1
	s_mov_b64 s[52:53], 0
	v_mov_b32_e32 v10, 0
                                        ; implicit-def: $sgpr54_sgpr55
	s_branch .LBB2_498
.LBB2_488:                              ;   in Loop: Header=BB2_491 Depth=2
	s_or_b64 exec, exec, s[64:65]
	v_mov_b32_e32 v10, 0
	s_orn2_b64 s[62:63], s[62:63], exec
.LBB2_489:                              ;   in Loop: Header=BB2_491 Depth=2
	s_or_b64 exec, exec, s[60:61]
	s_andn2_b64 vcc, s[56:57], exec
	s_and_b64 s[56:57], s[62:63], exec
	s_or_b64 s[56:57], vcc, s[56:57]
	v_mov_b32_e32 v5, v10
.LBB2_490:                              ;   in Loop: Header=BB2_491 Depth=2
	s_or_b64 exec, exec, s[58:59]
	s_waitcnt vmcnt(0) lgkmcnt(0)
	v_lshl_add_u64 v[10:11], v[32:33], 0, v[2:3]
	v_cmp_ge_u64_e32 vcc, v[10:11], v[8:9]
	s_xor_b64 s[58:59], s[56:57], -1
	s_or_b64 vcc, s[58:59], vcc
	s_and_b64 vcc, exec, vcc
	s_or_b64 s[30:31], vcc, s[30:31]
	s_andn2_b64 exec, exec, s[30:31]
	s_cbranch_execz .LBB2_502
.LBB2_491:                              ;   Parent Loop BB2_47 Depth=1
                                        ; =>  This Inner Loop Header: Depth=2
	s_sleep 1
	flat_load_dwordx2 v[32:33], v[22:23] sc0 sc1
	v_and_b32_e32 v10, 64, v62
	v_cmp_eq_u32_e32 vcc, 0, v10
	s_andn2_b64 s[56:57], s[56:57], exec
	s_and_saveexec_b64 s[58:59], vcc
	s_cbranch_execz .LBB2_490
; %bb.492:                              ;   in Loop: Header=BB2_491 Depth=2
	v_add_u32_e32 v10, 1, v5
	v_cmp_lt_i32_e32 vcc, s72, v5
	s_mov_b64 s[62:63], -1
	s_and_saveexec_b64 s[60:61], vcc
	s_cbranch_execz .LBB2_489
; %bb.493:                              ;   in Loop: Header=BB2_491 Depth=2
	s_trap 2
	ds_read_b64 v[10:11], v0
	s_waitcnt vmcnt(0) lgkmcnt(0)
	flat_load_dword v5, v[10:11] sc0 sc1
	s_waitcnt vmcnt(0) lgkmcnt(0)
	buffer_inv sc0 sc1
	v_cmp_ne_u32_e32 vcc, 0, v5
	s_and_saveexec_b64 s[64:65], vcc
	s_cbranch_execz .LBB2_488
; %bb.494:                              ;   in Loop: Header=BB2_491 Depth=2
	v_or_b32_e32 v62, 64, v62
	s_xor_b64 s[62:63], exec, -1
	ds_write_b32 v0, v5
	s_trap 2
	s_branch .LBB2_488
.LBB2_495:                              ;   in Loop: Header=BB2_498 Depth=2
	s_or_b64 exec, exec, s[62:63]
	v_mov_b32_e32 v11, 0
	s_orn2_b64 s[60:61], s[60:61], exec
.LBB2_496:                              ;   in Loop: Header=BB2_498 Depth=2
	s_or_b64 exec, exec, s[58:59]
	s_andn2_b64 vcc, s[54:55], exec
	s_and_b64 s[54:55], s[60:61], exec
	s_or_b64 s[54:55], vcc, s[54:55]
	v_mov_b32_e32 v10, v11
.LBB2_497:                              ;   in Loop: Header=BB2_498 Depth=2
	s_or_b64 exec, exec, s[56:57]
	s_waitcnt vmcnt(0) lgkmcnt(0)
	v_lshl_add_u64 v[14:15], v[32:33], 0, v[2:3]
	v_cmp_ge_u64_e32 vcc, v[14:15], v[8:9]
	s_xor_b64 s[56:57], s[54:55], -1
	s_or_b64 vcc, s[56:57], vcc
	s_and_b64 vcc, exec, vcc
	s_or_b64 s[52:53], vcc, s[52:53]
	s_andn2_b64 exec, exec, s[52:53]
	s_cbranch_execz .LBB2_528
.LBB2_498:                              ;   Parent Loop BB2_47 Depth=1
                                        ; =>  This Inner Loop Header: Depth=2
	s_sleep 1
	flat_load_dwordx2 v[32:33], v[22:23] sc0 sc1
	v_and_b32_e32 v11, 64, v62
	v_cmp_eq_u32_e32 vcc, 0, v11
	s_andn2_b64 s[54:55], s[54:55], exec
	s_and_saveexec_b64 s[56:57], vcc
	s_cbranch_execz .LBB2_497
; %bb.499:                              ;   in Loop: Header=BB2_498 Depth=2
	v_add_u32_e32 v11, 1, v10
	v_cmp_lt_i32_e32 vcc, s72, v10
	s_mov_b64 s[60:61], -1
	s_and_saveexec_b64 s[58:59], vcc
	s_cbranch_execz .LBB2_496
; %bb.500:                              ;   in Loop: Header=BB2_498 Depth=2
	s_trap 2
	ds_read_b64 v[10:11], v0
	s_waitcnt vmcnt(0) lgkmcnt(0)
	flat_load_dword v10, v[10:11] sc0 sc1
	s_waitcnt vmcnt(0) lgkmcnt(0)
	buffer_inv sc0 sc1
	v_cmp_ne_u32_e32 vcc, 0, v10
	s_and_saveexec_b64 s[62:63], vcc
	s_cbranch_execz .LBB2_495
; %bb.501:                              ;   in Loop: Header=BB2_498 Depth=2
	v_or_b32_e32 v62, 64, v62
	s_xor_b64 s[60:61], exec, -1
	ds_write_b32 v0, v10
	s_trap 2
	s_branch .LBB2_495
.LBB2_502:                              ;   in Loop: Header=BB2_47 Depth=1
	s_or_b64 exec, exec, s[30:31]
	v_and_b32_e32 v5, 12, v62
.LBB2_503:                              ;   in Loop: Header=BB2_47 Depth=1
	s_or_b64 exec, exec, s[28:29]
	v_cmp_eq_u32_e32 vcc, 0, v5
	s_orn2_b64 s[28:29], vcc, exec
	;;#ASMSTART
	s_wakeup
	;;#ASMEND
.LBB2_504:                              ;   in Loop: Header=BB2_47 Depth=1
	s_or_b64 exec, exec, s[26:27]
	s_xor_b64 s[26:27], s[28:29], -1
	v_min_i32_e32 v16, v16, v1
	s_and_saveexec_b64 s[28:29], s[26:27]
	s_cbranch_execz .LBB2_516
; %bb.505:                              ;   in Loop: Header=BB2_47 Depth=1
	v_and_b32_e32 v2, 0x108, v62
	v_cmp_ne_u32_e32 vcc, s80, v2
	v_and_b32_e32 v2, 7, v20
	s_and_saveexec_b64 s[26:27], vcc
	s_xor_b64 s[26:27], exec, s[26:27]
	s_andn2_saveexec_b64 s[26:27], s[26:27]
	s_cbranch_execz .LBB2_507
; %bb.506:                              ;   in Loop: Header=BB2_47 Depth=1
	v_ashrrev_i32_e32 v17, 31, v16
	v_mad_u64_u32 v[8:9], vcc, v2, 24, v[6:7]
	v_lshlrev_b64 v[10:11], 1, v[16:17]
	flat_store_dwordx2 v[8:9], v[10:11] offset:8
.LBB2_507:                              ;   in Loop: Header=BB2_47 Depth=1
	s_or_b64 exec, exec, s[26:27]
	v_and_b32_e32 v5, 0x100, v62
	v_cmp_ne_u32_e32 vcc, 0, v5
	s_mov_b64 s[26:27], -1
                                        ; implicit-def: $vgpr8_vgpr9
	s_and_saveexec_b64 s[30:31], vcc
	s_cbranch_execz .LBB2_511
; %bb.508:                              ;   in Loop: Header=BB2_47 Depth=1
	v_mad_u64_u32 v[10:11], s[26:27], v2, 24, v[6:7]
	v_mov_b32_e32 v8, v11
	v_mad_u64_u32 v[8:9], s[26:27], v3, 24, v[8:9]
	v_mov_b32_e32 v11, v8
	flat_load_dword v5, v[10:11]
                                        ; implicit-def: $vgpr8_vgpr9
	s_waitcnt vmcnt(0) lgkmcnt(0)
	v_cmp_ne_u32_e32 vcc, 1, v5
	v_cmp_eq_u32_e64 s[26:27], 1, v5
	s_and_saveexec_b64 s[56:57], s[26:27]
	s_cbranch_execz .LBB2_510
; %bb.509:                              ;   in Loop: Header=BB2_47 Depth=1
	flat_load_dword v8, v[10:11] offset:4 sc0 sc1
	s_waitcnt vmcnt(0) lgkmcnt(0)
	v_ashrrev_i32_e32 v9, 31, v8
	v_lshrrev_b64 v[8:9], 1, v[8:9]
.LBB2_510:                              ;   in Loop: Header=BB2_47 Depth=1
	s_or_b64 exec, exec, s[56:57]
	s_orn2_b64 s[26:27], vcc, exec
.LBB2_511:                              ;   in Loop: Header=BB2_47 Depth=1
	s_or_b64 exec, exec, s[30:31]
	s_and_saveexec_b64 vcc, s[26:27]
; %bb.512:                              ;   in Loop: Header=BB2_47 Depth=1
	v_mul_lo_u32 v5, v3, v24
	v_mul_lo_u32 v10, v2, v39
	v_mad_u64_u32 v[8:9], s[26:27], v2, v24, 0
	v_add3_u32 v9, v9, v10, v5
; %bb.513:                              ;   in Loop: Header=BB2_47 Depth=1
	s_or_b64 exec, exec, vcc
	v_and_b32_e32 v2, 0x2000, v62
	v_lshl_add_u64 v[8:9], v[8:9], 1, v[60:61]
	v_cmp_ne_u32_e32 vcc, 0, v2
	s_trap 2
	ds_write_b64 v0, v[8:9]
	s_and_saveexec_b64 s[26:27], vcc
	s_cbranch_execz .LBB2_515
; %bb.514:                              ;   in Loop: Header=BB2_47 Depth=1
	ds_read_b64 v[8:9], v0 offset:584
	s_waitcnt lgkmcnt(0)
	v_lshl_add_u64 v[8:9], v[8:9], 0, 1
	ds_write_b64 v0, v[8:9] offset:584
.LBB2_515:                              ;   in Loop: Header=BB2_47 Depth=1
	s_or_b64 exec, exec, s[26:27]
	v_lshl_add_u64 v[20:21], v[20:21], 0, 4
.LBB2_516:                              ;   in Loop: Header=BB2_47 Depth=1
	s_or_b64 exec, exec, s[28:29]
	s_and_saveexec_b64 s[26:27], s[6:7]
	s_cbranch_execz .LBB2_565
; %bb.517:                              ;   in Loop: Header=BB2_47 Depth=1
	s_and_saveexec_b64 s[28:29], s[40:41]
	s_xor_b64 s[28:29], exec, s[28:29]
	s_cbranch_execz .LBB2_562
; %bb.518:                              ;   in Loop: Header=BB2_47 Depth=1
	s_and_saveexec_b64 s[30:31], s[14:15]
	s_cbranch_execz .LBB2_561
; %bb.519:                              ;   in Loop: Header=BB2_47 Depth=1
	s_mov_b64 s[58:59], exec
	v_mbcnt_lo_u32_b32 v2, s58, 0
	v_mbcnt_hi_u32_b32 v2, s59, v2
	v_cmp_eq_u32_e32 vcc, 0, v2
	s_waitcnt lgkmcnt(0)
	s_and_saveexec_b64 s[56:57], vcc
	s_cbranch_execz .LBB2_521
; %bb.520:                              ;   in Loop: Header=BB2_47 Depth=1
	s_bcnt1_i32_b64 vcc_lo, s[58:59]
	v_mov_b32_e32 v2, vcc_lo
	ds_add_u64 v0, v[2:3]
	s_trap 2
.LBB2_521:                              ;   in Loop: Header=BB2_47 Depth=1
	s_or_b64 exec, exec, s[56:57]
	s_trap 2
	ds_read_b64 v[8:9], v0
	v_lshl_add_u64 v[12:13], v[12:13], 0, v[34:35]
	s_waitcnt lgkmcnt(0)
	v_cmp_lt_u64_e32 vcc, v[8:9], v[12:13]
	s_and_saveexec_b64 s[56:57], vcc
	s_cbranch_execz .LBB2_560
; %bb.522:                              ;   in Loop: Header=BB2_47 Depth=1
	s_mov_b32 s68, 0
	s_mov_b64 s[58:59], 0
                                        ; implicit-def: $sgpr60_sgpr61
                                        ; implicit-def: $sgpr62_sgpr63
	s_branch .LBB2_524
.LBB2_523:                              ;   in Loop: Header=BB2_524 Depth=2
	s_or_b64 exec, exec, s[66:67]
	s_and_b64 vcc, exec, vcc
	s_or_b64 s[58:59], vcc, s[58:59]
	s_andn2_b64 vcc, s[60:61], exec
	s_and_b64 s[60:61], s[62:63], exec
	s_or_b64 s[60:61], vcc, s[60:61]
	s_andn2_b64 exec, exec, s[58:59]
	s_cbranch_execz .LBB2_558
.LBB2_524:                              ;   Parent Loop BB2_47 Depth=1
                                        ; =>  This Inner Loop Header: Depth=2
	s_add_i32 s68, s68, 1
	s_cmpk_lg_i32 s68, 0x2710
	s_cselect_b64 s[64:65], -1, 0
	s_and_b64 vcc, exec, s[64:65]
                                        ; implicit-def: $sgpr66_sgpr67
	s_cbranch_vccnz .LBB2_526
; %bb.525:                              ;   in Loop: Header=BB2_524 Depth=2
	s_trap 2
	ds_read_b64 v[8:9], v0
	s_andn2_b64 s[64:65], s[64:65], exec
	s_mov_b32 s68, 0
	s_mov_b64 s[66:67], -1
	s_waitcnt vmcnt(0) lgkmcnt(0)
	flat_load_dword v2, v[8:9] sc0 sc1
	s_waitcnt vmcnt(0) lgkmcnt(0)
	buffer_inv sc0 sc1
	v_cmp_eq_u32_e32 vcc, 0, v2
	s_and_b64 vcc, vcc, exec
	s_or_b64 s[64:65], s[64:65], vcc
.LBB2_526:                              ;   in Loop: Header=BB2_524 Depth=2
	s_andn2_b64 s[62:63], s[62:63], exec
	s_and_b64 s[66:67], s[66:67], exec
	s_mov_b64 vcc, -1
	s_or_b64 s[62:63], s[62:63], s[66:67]
	s_and_saveexec_b64 s[66:67], s[64:65]
	s_cbranch_execz .LBB2_523
; %bb.527:                              ;   in Loop: Header=BB2_524 Depth=2
	s_sleep 1
	s_trap 2
	ds_read_b64 v[8:9], v0
	s_andn2_b64 s[62:63], s[62:63], exec
	s_waitcnt lgkmcnt(0)
	v_cmp_ge_u64_e32 vcc, v[8:9], v[12:13]
	s_orn2_b64 vcc, vcc, exec
	s_branch .LBB2_523
.LBB2_528:                              ;   in Loop: Header=BB2_47 Depth=1
	s_or_b64 exec, exec, s[52:53]
	v_and_b32_e32 v10, 12, v62
.LBB2_529:                              ;   in Loop: Header=BB2_47 Depth=1
	s_or_b64 exec, exec, s[30:31]
	v_cmp_eq_u32_e32 vcc, 0, v10
	s_orn2_b64 s[30:31], vcc, exec
	;;#ASMSTART
	s_wakeup
	;;#ASMEND
.LBB2_530:                              ;   in Loop: Header=BB2_47 Depth=1
	s_or_b64 exec, exec, s[26:27]
	v_sub_u32_e32 v1, v1, v5
	s_xor_b64 s[26:27], s[30:31], -1
	v_min_i32_e32 v8, v16, v1
	s_and_saveexec_b64 s[30:31], s[26:27]
	s_cbranch_execz .LBB2_546
; %bb.531:                              ;   in Loop: Header=BB2_47 Depth=1
	v_and_b32_e32 v1, 0x108, v62
	v_cmp_ne_u32_e32 vcc, s80, v1
	v_and_b32_e32 v2, 7, v20
	s_and_saveexec_b64 s[26:27], vcc
	s_xor_b64 s[26:27], exec, s[26:27]
	s_andn2_saveexec_b64 s[26:27], s[26:27]
	s_cbranch_execz .LBB2_533
; %bb.532:                              ;   in Loop: Header=BB2_47 Depth=1
	v_ashrrev_i32_e32 v9, 31, v8
	v_mad_u64_u32 v[10:11], vcc, v2, 24, v[6:7]
	v_lshlrev_b64 v[14:15], 1, v[8:9]
	flat_store_dwordx2 v[10:11], v[14:15] offset:8
.LBB2_533:                              ;   in Loop: Header=BB2_47 Depth=1
	s_or_b64 exec, exec, s[26:27]
	v_and_b32_e32 v1, 0x100, v62
	v_cmp_ne_u32_e32 vcc, 0, v1
	s_mov_b64 s[26:27], -1
                                        ; implicit-def: $vgpr10_vgpr11
	s_and_saveexec_b64 s[52:53], vcc
	s_cbranch_execz .LBB2_537
; %bb.534:                              ;   in Loop: Header=BB2_47 Depth=1
	v_mad_u64_u32 v[14:15], s[26:27], v2, 24, v[6:7]
	v_mov_b32_e32 v10, v15
	v_mad_u64_u32 v[10:11], s[26:27], v3, 24, v[10:11]
	v_mov_b32_e32 v15, v10
	flat_load_dword v1, v[14:15]
                                        ; implicit-def: $vgpr10_vgpr11
	s_waitcnt vmcnt(0) lgkmcnt(0)
	v_cmp_ne_u32_e32 vcc, 1, v1
	v_cmp_eq_u32_e64 s[26:27], 1, v1
	s_and_saveexec_b64 s[54:55], s[26:27]
	s_cbranch_execz .LBB2_536
; %bb.535:                              ;   in Loop: Header=BB2_47 Depth=1
	flat_load_dword v10, v[14:15] offset:4 sc0 sc1
	s_waitcnt vmcnt(0) lgkmcnt(0)
	v_ashrrev_i32_e32 v11, 31, v10
	v_lshrrev_b64 v[10:11], 1, v[10:11]
.LBB2_536:                              ;   in Loop: Header=BB2_47 Depth=1
	s_or_b64 exec, exec, s[54:55]
	s_orn2_b64 s[26:27], vcc, exec
.LBB2_537:                              ;   in Loop: Header=BB2_47 Depth=1
	s_or_b64 exec, exec, s[52:53]
	s_and_saveexec_b64 vcc, s[26:27]
; %bb.538:                              ;   in Loop: Header=BB2_47 Depth=1
	v_mul_lo_u32 v1, v3, v24
	v_mul_lo_u32 v5, v2, v39
	v_mad_u64_u32 v[10:11], s[26:27], v2, v24, 0
	v_add3_u32 v11, v11, v5, v1
; %bb.539:                              ;   in Loop: Header=BB2_47 Depth=1
	s_or_b64 exec, exec, vcc
	v_and_b32_e32 v1, 0x2000, v62
	v_lshl_add_u64 v[10:11], v[10:11], 1, v[60:61]
	v_cmp_ne_u32_e32 vcc, 0, v1
	s_trap 2
	ds_write_b64 v0, v[10:11]
	s_and_saveexec_b64 s[26:27], vcc
	s_cbranch_execz .LBB2_541
; %bb.540:                              ;   in Loop: Header=BB2_47 Depth=1
	ds_read_b64 v[10:11], v0 offset:584
	s_waitcnt lgkmcnt(0)
	v_lshl_add_u64 v[10:11], v[10:11], 0, 1
	ds_write_b64 v0, v[10:11] offset:584
.LBB2_541:                              ;   in Loop: Header=BB2_47 Depth=1
	s_or_b64 exec, exec, s[26:27]
	v_lshl_add_u64 v[20:21], v[20:21], 0, 4
	s_or_b64 exec, exec, s[30:31]
	s_and_saveexec_b64 s[26:27], s[6:7]
	s_cbranch_execnz .LBB2_547
.LBB2_542:                              ;   in Loop: Header=BB2_47 Depth=1
	s_or_b64 exec, exec, s[26:27]
                                        ; implicit-def: $vgpr1
	s_and_saveexec_b64 s[26:27], s[22:23]
	s_xor_b64 s[26:27], exec, s[26:27]
	s_cbranch_execz .LBB2_584
.LBB2_543:                              ;   in Loop: Header=BB2_47 Depth=1
	s_trap 2
	ds_read_b32 v2, v0
	v_cmp_lt_i32_e32 vcc, 0, v8
	v_and_b32_e32 v5, 16, v62
	v_and_b32_e32 v1, 16, v62
	s_waitcnt lgkmcnt(0)
	v_readfirstlane_b32 s30, v2
	s_cmp_eq_u32 s30, 0
	s_cselect_b64 s[30:31], -1, 0
	s_and_b64 s[30:31], vcc, s[30:31]
	v_cmp_ne_u32_e32 vcc, 0, v5
	s_and_b64 s[30:31], vcc, s[30:31]
	s_and_saveexec_b64 vcc, s[30:31]
	s_cbranch_execz .LBB2_545
; %bb.544:                              ;   in Loop: Header=BB2_47 Depth=1
	v_mov_b32_e32 v1, 1
	buffer_wbl2 sc1
	s_waitcnt vmcnt(0)
	buffer_inv sc1
.LBB2_545:                              ;   in Loop: Header=BB2_47 Depth=1
	s_or_b64 exec, exec, vcc
	s_andn2_saveexec_b64 s[26:27], s[26:27]
	s_cbranch_execz .LBB2_692
	s_branch .LBB2_585
.LBB2_546:                              ;   in Loop: Header=BB2_47 Depth=1
	s_or_b64 exec, exec, s[30:31]
	s_and_saveexec_b64 s[26:27], s[6:7]
	s_cbranch_execz .LBB2_542
.LBB2_547:                              ;   in Loop: Header=BB2_47 Depth=1
	s_and_saveexec_b64 vcc, s[40:41]
	s_xor_b64 s[30:31], exec, vcc
	s_cbranch_execz .LBB2_581
; %bb.548:                              ;   in Loop: Header=BB2_47 Depth=1
	s_and_saveexec_b64 s[52:53], s[14:15]
	s_cbranch_execz .LBB2_580
; %bb.549:                              ;   in Loop: Header=BB2_47 Depth=1
	s_mov_b64 s[56:57], exec
	v_mbcnt_lo_u32_b32 v1, s56, 0
	v_mbcnt_hi_u32_b32 v1, s57, v1
	v_cmp_eq_u32_e32 vcc, 0, v1
	s_waitcnt lgkmcnt(0)
	s_and_saveexec_b64 s[54:55], vcc
	s_cbranch_execz .LBB2_551
; %bb.550:                              ;   in Loop: Header=BB2_47 Depth=1
	s_bcnt1_i32_b64 vcc_lo, s[56:57]
	v_mov_b32_e32 v2, vcc_lo
	ds_add_u64 v0, v[2:3]
	s_trap 2
.LBB2_551:                              ;   in Loop: Header=BB2_47 Depth=1
	s_or_b64 exec, exec, s[54:55]
	s_trap 2
	ds_read_b64 v[10:11], v0
	v_lshl_add_u64 v[12:13], v[12:13], 0, v[34:35]
	s_waitcnt lgkmcnt(0)
	v_cmp_lt_u64_e32 vcc, v[10:11], v[12:13]
	s_and_saveexec_b64 s[54:55], vcc
	s_cbranch_execz .LBB2_579
; %bb.552:                              ;   in Loop: Header=BB2_47 Depth=1
	s_mov_b32 s66, 0
	s_mov_b64 s[56:57], 0
                                        ; implicit-def: $sgpr58_sgpr59
                                        ; implicit-def: $sgpr60_sgpr61
	s_branch .LBB2_554
.LBB2_553:                              ;   in Loop: Header=BB2_554 Depth=2
	s_or_b64 exec, exec, s[64:65]
	s_and_b64 vcc, exec, vcc
	s_or_b64 s[56:57], vcc, s[56:57]
	s_andn2_b64 vcc, s[58:59], exec
	s_and_b64 s[58:59], s[60:61], exec
	s_or_b64 s[58:59], vcc, s[58:59]
	s_andn2_b64 exec, exec, s[56:57]
	s_cbranch_execz .LBB2_577
.LBB2_554:                              ;   Parent Loop BB2_47 Depth=1
                                        ; =>  This Inner Loop Header: Depth=2
	s_add_i32 s66, s66, 1
	s_cmpk_lg_i32 s66, 0x2710
	s_cselect_b64 s[62:63], -1, 0
	s_and_b64 vcc, exec, s[62:63]
                                        ; implicit-def: $sgpr64_sgpr65
	s_cbranch_vccnz .LBB2_556
; %bb.555:                              ;   in Loop: Header=BB2_554 Depth=2
	s_trap 2
	ds_read_b64 v[10:11], v0
	s_andn2_b64 s[62:63], s[62:63], exec
	s_mov_b32 s66, 0
	s_mov_b64 s[64:65], -1
	s_waitcnt vmcnt(0) lgkmcnt(0)
	flat_load_dword v1, v[10:11] sc0 sc1
	s_waitcnt vmcnt(0) lgkmcnt(0)
	buffer_inv sc0 sc1
	v_cmp_eq_u32_e32 vcc, 0, v1
	s_and_b64 vcc, vcc, exec
	s_or_b64 s[62:63], s[62:63], vcc
.LBB2_556:                              ;   in Loop: Header=BB2_554 Depth=2
	s_andn2_b64 s[60:61], s[60:61], exec
	s_and_b64 s[64:65], s[64:65], exec
	s_mov_b64 vcc, -1
	s_or_b64 s[60:61], s[60:61], s[64:65]
	s_and_saveexec_b64 s[64:65], s[62:63]
	s_cbranch_execz .LBB2_553
; %bb.557:                              ;   in Loop: Header=BB2_554 Depth=2
	s_sleep 1
	s_trap 2
	ds_read_b64 v[10:11], v0
	s_andn2_b64 s[60:61], s[60:61], exec
	s_waitcnt lgkmcnt(0)
	v_cmp_ge_u64_e32 vcc, v[10:11], v[12:13]
	s_orn2_b64 vcc, vcc, exec
	s_branch .LBB2_553
.LBB2_558:                              ;   in Loop: Header=BB2_47 Depth=1
	s_or_b64 exec, exec, s[58:59]
	s_and_saveexec_b64 vcc, s[60:61]
	s_xor_b64 vcc, exec, vcc
	s_cbranch_execz .LBB2_560
; %bb.559:                              ;   in Loop: Header=BB2_47 Depth=1
	ds_write_b32 v0, v0
	s_trap 2
.LBB2_560:                              ;   in Loop: Header=BB2_47 Depth=1
	s_or_b64 exec, exec, s[56:57]
	;;#ASMSTART
	s_wakeup
	;;#ASMEND
.LBB2_561:                              ;   in Loop: Header=BB2_47 Depth=1
	s_or_b64 exec, exec, s[30:31]
.LBB2_562:                              ;   in Loop: Header=BB2_47 Depth=1
	s_andn2_saveexec_b64 s[28:29], s[28:29]
	s_cbranch_execz .LBB2_564
; %bb.563:                              ;   in Loop: Header=BB2_47 Depth=1
	s_waitcnt lgkmcnt(0)
	s_barrier
.LBB2_564:                              ;   in Loop: Header=BB2_47 Depth=1
	s_or_b64 exec, exec, s[28:29]
.LBB2_565:                              ;   in Loop: Header=BB2_47 Depth=1
	s_or_b64 exec, exec, s[26:27]
	s_trap 2
	ds_read_b32 v8, v0
	v_and_b32_e32 v2, 0x4000, v62
	v_cmp_ne_u32_e32 vcc, 0, v2
	s_xor_b64 s[26:27], s[4:5], -1
	s_and_b64 s[28:29], s[26:27], vcc
	s_and_saveexec_b64 s[26:27], s[28:29]
	s_cbranch_execz .LBB2_603
; %bb.566:                              ;   in Loop: Header=BB2_47 Depth=1
	s_and_saveexec_b64 s[28:29], s[40:41]
	s_xor_b64 s[28:29], exec, s[28:29]
	s_cbranch_execz .LBB2_600
; %bb.567:                              ;   in Loop: Header=BB2_47 Depth=1
	s_and_saveexec_b64 s[30:31], s[14:15]
	s_cbranch_execz .LBB2_599
; %bb.568:                              ;   in Loop: Header=BB2_47 Depth=1
	s_mov_b64 s[58:59], exec
	v_mbcnt_lo_u32_b32 v2, s58, 0
	v_mbcnt_hi_u32_b32 v2, s59, v2
	v_cmp_eq_u32_e32 vcc, 0, v2
	s_waitcnt lgkmcnt(0)
	s_and_saveexec_b64 s[56:57], vcc
	s_cbranch_execz .LBB2_570
; %bb.569:                              ;   in Loop: Header=BB2_47 Depth=1
	s_bcnt1_i32_b64 vcc_lo, s[58:59]
	v_mov_b32_e32 v2, vcc_lo
	ds_add_u64 v0, v[2:3]
	s_trap 2
.LBB2_570:                              ;   in Loop: Header=BB2_47 Depth=1
	s_or_b64 exec, exec, s[56:57]
	s_trap 2
	ds_read_b64 v[10:11], v0
	v_lshl_add_u64 v[12:13], v[12:13], 0, v[34:35]
	s_waitcnt lgkmcnt(0)
	v_cmp_lt_u64_e32 vcc, v[10:11], v[12:13]
	s_and_saveexec_b64 s[56:57], vcc
	s_cbranch_execz .LBB2_598
; %bb.571:                              ;   in Loop: Header=BB2_47 Depth=1
	s_mov_b32 s68, 0
	s_mov_b64 s[58:59], 0
                                        ; implicit-def: $sgpr60_sgpr61
                                        ; implicit-def: $sgpr62_sgpr63
	s_branch .LBB2_573
.LBB2_572:                              ;   in Loop: Header=BB2_573 Depth=2
	s_or_b64 exec, exec, s[66:67]
	s_and_b64 vcc, exec, vcc
	s_or_b64 s[58:59], vcc, s[58:59]
	s_andn2_b64 vcc, s[60:61], exec
	s_and_b64 s[60:61], s[62:63], exec
	s_or_b64 s[60:61], vcc, s[60:61]
	s_andn2_b64 exec, exec, s[58:59]
	s_cbranch_execz .LBB2_596
.LBB2_573:                              ;   Parent Loop BB2_47 Depth=1
                                        ; =>  This Inner Loop Header: Depth=2
	s_add_i32 s68, s68, 1
	s_cmpk_lg_i32 s68, 0x2710
	s_cselect_b64 s[64:65], -1, 0
	s_and_b64 vcc, exec, s[64:65]
                                        ; implicit-def: $sgpr66_sgpr67
	s_cbranch_vccnz .LBB2_575
; %bb.574:                              ;   in Loop: Header=BB2_573 Depth=2
	s_trap 2
	ds_read_b64 v[10:11], v0
	s_andn2_b64 s[64:65], s[64:65], exec
	s_mov_b32 s68, 0
	s_mov_b64 s[66:67], -1
	s_waitcnt vmcnt(0) lgkmcnt(0)
	flat_load_dword v2, v[10:11] sc0 sc1
	s_waitcnt vmcnt(0) lgkmcnt(0)
	buffer_inv sc0 sc1
	v_cmp_eq_u32_e32 vcc, 0, v2
	s_and_b64 vcc, vcc, exec
	s_or_b64 s[64:65], s[64:65], vcc
.LBB2_575:                              ;   in Loop: Header=BB2_573 Depth=2
	s_andn2_b64 s[62:63], s[62:63], exec
	s_and_b64 s[66:67], s[66:67], exec
	s_mov_b64 vcc, -1
	s_or_b64 s[62:63], s[62:63], s[66:67]
	s_and_saveexec_b64 s[66:67], s[64:65]
	s_cbranch_execz .LBB2_572
; %bb.576:                              ;   in Loop: Header=BB2_573 Depth=2
	s_sleep 1
	s_trap 2
	ds_read_b64 v[10:11], v0
	s_andn2_b64 s[62:63], s[62:63], exec
	s_waitcnt lgkmcnt(0)
	v_cmp_ge_u64_e32 vcc, v[10:11], v[12:13]
	s_orn2_b64 vcc, vcc, exec
	s_branch .LBB2_572
.LBB2_577:                              ;   in Loop: Header=BB2_47 Depth=1
	s_or_b64 exec, exec, s[56:57]
	s_and_saveexec_b64 vcc, s[58:59]
	s_xor_b64 vcc, exec, vcc
	s_cbranch_execz .LBB2_579
; %bb.578:                              ;   in Loop: Header=BB2_47 Depth=1
	ds_write_b32 v0, v0
	s_trap 2
.LBB2_579:                              ;   in Loop: Header=BB2_47 Depth=1
	s_or_b64 exec, exec, s[54:55]
	;;#ASMSTART
	s_wakeup
	;;#ASMEND
.LBB2_580:                              ;   in Loop: Header=BB2_47 Depth=1
	s_or_b64 exec, exec, s[52:53]
.LBB2_581:                              ;   in Loop: Header=BB2_47 Depth=1
	s_andn2_saveexec_b64 vcc, s[30:31]
	s_cbranch_execz .LBB2_583
; %bb.582:                              ;   in Loop: Header=BB2_47 Depth=1
	s_waitcnt lgkmcnt(0)
	s_barrier
.LBB2_583:                              ;   in Loop: Header=BB2_47 Depth=1
	s_or_b64 exec, exec, vcc
	s_or_b64 exec, exec, s[26:27]
                                        ; implicit-def: $vgpr1
	s_and_saveexec_b64 s[26:27], s[22:23]
	s_xor_b64 s[26:27], exec, s[26:27]
	s_cbranch_execnz .LBB2_543
.LBB2_584:                              ;   in Loop: Header=BB2_47 Depth=1
	s_andn2_saveexec_b64 s[26:27], s[26:27]
	s_cbranch_execz .LBB2_692
.LBB2_585:                              ;   in Loop: Header=BB2_47 Depth=1
	s_and_saveexec_b64 vcc, s[40:41]
	s_xor_b64 s[30:31], exec, vcc
	s_cbranch_execz .LBB2_689
; %bb.586:                              ;   in Loop: Header=BB2_47 Depth=1
	s_and_saveexec_b64 s[52:53], s[14:15]
	s_cbranch_execz .LBB2_688
; %bb.587:                              ;   in Loop: Header=BB2_47 Depth=1
	s_mov_b64 s[56:57], exec
	v_mbcnt_lo_u32_b32 v1, s56, 0
	v_mbcnt_hi_u32_b32 v1, s57, v1
	v_cmp_eq_u32_e32 vcc, 0, v1
	;;#ASMSTART
	s_waitcnt lgkmcnt(0) vmcnt(0)
	;;#ASMEND
	s_and_saveexec_b64 s[54:55], vcc
	s_cbranch_execz .LBB2_589
; %bb.588:                              ;   in Loop: Header=BB2_47 Depth=1
	s_bcnt1_i32_b64 vcc_lo, s[56:57]
	v_mov_b32_e32 v2, vcc_lo
	ds_add_u64 v0, v[2:3]
	s_trap 2
.LBB2_589:                              ;   in Loop: Header=BB2_47 Depth=1
	s_or_b64 exec, exec, s[54:55]
	s_trap 2
	ds_read_b64 v[8:9], v0
	v_lshl_add_u64 v[12:13], v[12:13], 0, v[34:35]
	s_waitcnt lgkmcnt(0)
	v_cmp_lt_u64_e32 vcc, v[8:9], v[12:13]
	s_and_saveexec_b64 s[54:55], vcc
	s_cbranch_execz .LBB2_687
; %bb.590:                              ;   in Loop: Header=BB2_47 Depth=1
	s_mov_b32 s66, 0
	s_mov_b64 s[56:57], 0
                                        ; implicit-def: $sgpr58_sgpr59
                                        ; implicit-def: $sgpr60_sgpr61
	s_branch .LBB2_592
.LBB2_591:                              ;   in Loop: Header=BB2_592 Depth=2
	s_or_b64 exec, exec, s[64:65]
	s_and_b64 vcc, exec, vcc
	s_or_b64 s[56:57], vcc, s[56:57]
	s_andn2_b64 vcc, s[58:59], exec
	s_and_b64 s[58:59], s[60:61], exec
	s_or_b64 s[58:59], vcc, s[58:59]
	s_andn2_b64 exec, exec, s[56:57]
	s_cbranch_execz .LBB2_685
.LBB2_592:                              ;   Parent Loop BB2_47 Depth=1
                                        ; =>  This Inner Loop Header: Depth=2
	s_add_i32 s66, s66, 1
	s_cmpk_lg_i32 s66, 0x2710
	s_cselect_b64 s[62:63], -1, 0
	s_and_b64 vcc, exec, s[62:63]
                                        ; implicit-def: $sgpr64_sgpr65
	s_cbranch_vccnz .LBB2_594
; %bb.593:                              ;   in Loop: Header=BB2_592 Depth=2
	s_trap 2
	ds_read_b64 v[8:9], v0
	s_andn2_b64 s[62:63], s[62:63], exec
	s_mov_b32 s66, 0
	s_mov_b64 s[64:65], -1
	s_waitcnt vmcnt(0) lgkmcnt(0)
	flat_load_dword v1, v[8:9] sc0 sc1
	s_waitcnt vmcnt(0) lgkmcnt(0)
	buffer_inv sc0 sc1
	v_cmp_eq_u32_e32 vcc, 0, v1
	s_and_b64 vcc, vcc, exec
	s_or_b64 s[62:63], s[62:63], vcc
.LBB2_594:                              ;   in Loop: Header=BB2_592 Depth=2
	s_andn2_b64 s[60:61], s[60:61], exec
	s_and_b64 s[64:65], s[64:65], exec
	s_mov_b64 vcc, -1
	s_or_b64 s[60:61], s[60:61], s[64:65]
	s_and_saveexec_b64 s[64:65], s[62:63]
	s_cbranch_execz .LBB2_591
; %bb.595:                              ;   in Loop: Header=BB2_592 Depth=2
	s_sleep 1
	s_trap 2
	ds_read_b64 v[8:9], v0
	s_andn2_b64 s[60:61], s[60:61], exec
	s_waitcnt lgkmcnt(0)
	v_cmp_ge_u64_e32 vcc, v[8:9], v[12:13]
	s_orn2_b64 vcc, vcc, exec
	s_branch .LBB2_591
.LBB2_596:                              ;   in Loop: Header=BB2_47 Depth=1
	s_or_b64 exec, exec, s[58:59]
	s_and_saveexec_b64 vcc, s[60:61]
	s_xor_b64 vcc, exec, vcc
	s_cbranch_execz .LBB2_598
; %bb.597:                              ;   in Loop: Header=BB2_47 Depth=1
	ds_write_b32 v0, v0
	s_trap 2
.LBB2_598:                              ;   in Loop: Header=BB2_47 Depth=1
	s_or_b64 exec, exec, s[56:57]
	;;#ASMSTART
	s_wakeup
	;;#ASMEND
.LBB2_599:                              ;   in Loop: Header=BB2_47 Depth=1
	s_or_b64 exec, exec, s[30:31]
.LBB2_600:                              ;   in Loop: Header=BB2_47 Depth=1
	s_andn2_saveexec_b64 s[28:29], s[28:29]
	s_cbranch_execz .LBB2_602
; %bb.601:                              ;   in Loop: Header=BB2_47 Depth=1
	s_waitcnt lgkmcnt(0)
	s_barrier
.LBB2_602:                              ;   in Loop: Header=BB2_47 Depth=1
	s_or_b64 exec, exec, s[28:29]
.LBB2_603:                              ;   in Loop: Header=BB2_47 Depth=1
	s_or_b64 exec, exec, s[26:27]
	s_trap 2
	ds_read_b64 v[10:11], v0
	s_waitcnt lgkmcnt(0)
	v_readfirstlane_b32 s26, v10
	v_readfirstlane_b32 s27, v11
	s_cmp_eq_u64 s[26:27], 0
	s_cselect_b64 s[26:27], -1, 0
	s_or_b64 s[28:29], s[26:27], s[26:27]
	s_mov_b64 s[26:27], 0
	s_and_b64 vcc, exec, s[28:29]
	s_cbranch_vccnz .LBB2_611
; %bb.604:                              ;   in Loop: Header=BB2_47 Depth=1
	s_trap 2
	ds_read_b64 v[10:11], v0
	v_cmp_eq_u32_e32 vcc, 0, v8
	s_mov_b64 s[26:27], -1
	s_nop 0
	v_cndmask_b32_e32 v38, 0, v16, vcc
	s_waitcnt lgkmcnt(0)
	v_cmp_ne_u64_e32 vcc, 0, v[10:11]
	v_lshlrev_b32_e32 v17, 1, v38
	s_cbranch_vccz .LBB2_644
; %bb.605:                              ;   in Loop: Header=BB2_47 Depth=1
	s_and_saveexec_b64 s[28:29], s[20:21]
	s_cbranch_execz .LBB2_607
; %bb.606:                              ;   in Loop: Header=BB2_47 Depth=1
	ds_read_b32 v2, v0 offset:720
	s_waitcnt lgkmcnt(0)
	v_and_b32_e32 v2, 15, v2
	v_cmp_eq_u32_e32 vcc, 0, v2
	s_orn2_b64 s[26:27], vcc, exec
.LBB2_607:                              ;   in Loop: Header=BB2_47 Depth=1
	s_or_b64 exec, exec, s[28:29]
	s_and_saveexec_b64 s[28:29], s[20:21]
	s_cbranch_execz .LBB2_609
; %bb.608:                              ;   in Loop: Header=BB2_47 Depth=1
	ds_read_b32 v2, v0 offset:784
	s_waitcnt lgkmcnt(0)
	v_and_b32_e32 v2, 15, v2
	v_cmp_eq_u32_e32 vcc, 0, v2
	s_and_b64 vcc, s[26:27], vcc
	s_andn2_b64 s[26:27], s[26:27], exec
	s_and_b64 vcc, vcc, exec
	s_or_b64 s[26:27], s[26:27], vcc
.LBB2_609:                              ;   in Loop: Header=BB2_47 Depth=1
	s_or_b64 exec, exec, s[28:29]
	s_xor_b64 s[26:27], s[26:27], -1
	v_cndmask_b32_e64 v2, 0, 1, s[26:27]
	s_mov_b64 s[28:29], -1
	;;#ASMSTART
	;;#ASMEND
	v_mov_b32_e32 v30, 0
	v_cmp_ne_u32_e32 vcc, 0, v2
	v_mov_b32_e32 v31, v17
	v_mov_b32_e32 v46, v48
	;; [unrolled: 1-line block ×3, first 2 shown]
	s_cbranch_vccz .LBB2_616
; %bb.610:                              ;   in Loop: Header=BB2_47 Depth=1
	s_and_saveexec_b64 s[30:31], s[28:29]
	s_cbranch_execnz .LBB2_633
	s_branch .LBB2_643
.LBB2_611:                              ;   in Loop: Header=BB2_47 Depth=1
	s_and_saveexec_b64 s[28:29], s[6:7]
	s_cbranch_execnz .LBB2_674
.LBB2_612:                              ;   in Loop: Header=BB2_47 Depth=1
	s_or_b64 exec, exec, s[28:29]
                                        ; implicit-def: $vgpr2
	s_and_saveexec_b64 s[28:29], s[22:23]
	s_xor_b64 s[28:29], exec, s[28:29]
	s_cbranch_execz .LBB2_704
.LBB2_613:                              ;   in Loop: Header=BB2_47 Depth=1
	v_and_b32_e32 v5, 16, v62
	v_cmp_ne_u32_e32 vcc, 0, v5
	v_and_b32_e32 v2, 16, v62
	s_and_b64 vcc, vcc, s[26:27]
	s_and_saveexec_b64 s[26:27], vcc
	s_cbranch_execz .LBB2_615
; %bb.614:                              ;   in Loop: Header=BB2_47 Depth=1
	v_mov_b32_e32 v2, 1
	buffer_wbl2 sc1
	s_waitcnt vmcnt(0) lgkmcnt(0)
	buffer_inv sc1
.LBB2_615:                              ;   in Loop: Header=BB2_47 Depth=1
	s_or_b64 exec, exec, s[26:27]
	s_andn2_saveexec_b64 s[26:27], s[28:29]
	s_cbranch_execz .LBB2_723
	s_branch .LBB2_705
.LBB2_616:                              ;   in Loop: Header=BB2_47 Depth=1
	v_ashrrev_i32_e32 v2, 31, v17
	v_lshrrev_b32_e32 v2, 22, v2
	v_add_u32_e32 v2, v17, v2
	v_and_b32_e32 v37, 0xfffffc00, v2
	v_accvgpr_read_b32 v8, a16
	v_sub_u32_e32 v5, v17, v37
	v_sub_u32_e32 v25, v17, v8
	v_ashrrev_i32_e32 v8, 10, v2
	v_cmp_lt_i32_e64 s[26:27], 15, v5
	v_accvgpr_read_b32 v2, a27
	v_accvgpr_read_b32 v9, a17
	v_addc_co_u32_e64 v2, vcc, v8, v2, s[26:27]
	v_cmp_lt_i32_e32 vcc, 15, v25
	s_and_saveexec_b64 s[56:57], vcc
	s_cbranch_execz .LBB2_622
; %bb.617:                              ;   in Loop: Header=BB2_47 Depth=1
	s_trap 2
	ds_read_b128 v[8:11], v0
	v_accvgpr_read_b32 v14, a16
	v_accvgpr_read_b32 v15, a17
	s_mov_b64 s[58:59], 0
	s_waitcnt lgkmcnt(0)
	v_lshl_add_u64 v[30:31], v[8:9], 0, v[14:15]
	v_lshl_add_u64 v[46:47], v[10:11], 0, v[14:15]
	v_mov_b64_e32 v[18:19], v[30:31]
	v_mov_b64_e32 v[14:15], v[46:47]
.LBB2_618:                              ;   Parent Loop BB2_47 Depth=1
                                        ; =>  This Loop Header: Depth=2
                                        ;       Child Loop BB2_619 Depth 3
	global_load_dwordx4 v[8:11], v[18:19], off nt
	global_load_dwordx4 v[52:55], v[14:15], off nt
	s_mov_b64 s[62:63], -1
	s_mov_b64 s[60:61], 0
	s_waitcnt vmcnt(0)
	v_mul_f16_e32 v26, v8, v52
	v_mul_f16_sdwa v8, v8, v52 dst_sel:WORD_1 dst_unused:UNUSED_PAD src0_sel:WORD_1 src1_sel:WORD_1
	v_mul_f16_e32 v27, v9, v53
	v_mul_f16_sdwa v9, v9, v53 dst_sel:WORD_1 dst_unused:UNUSED_PAD src0_sel:WORD_1 src1_sel:WORD_1
	;; [unrolled: 2-line block ×4, first 2 shown]
	v_or_b32_e32 v9, v9, v27
	v_or_b32_e32 v8, v8, v26
	;; [unrolled: 1-line block ×4, first 2 shown]
.LBB2_619:                              ;   Parent Loop BB2_47 Depth=1
                                        ;     Parent Loop BB2_618 Depth=2
                                        ; =>    This Inner Loop Header: Depth=3
	s_cmp_eq_u32 s60, 0
	s_cselect_b64 s[28:29], -1, 0
	s_cmp_eq_u32 s60, 1
	v_cndmask_b32_e64 v26, 0, 1, s[62:63]
	s_cselect_b64 s[30:31], -1, 0
	v_cmp_ne_u32_e32 vcc, 1, v26
	v_cndmask_b32_e64 v27, v31, v47, s[30:31]
	v_cndmask_b32_e64 v26, v30, v46, s[30:31]
	global_store_dwordx4 v[26:27], v[8:11], off nt
	v_lshl_add_u64 v[26:27], v[26:27], 0, s[42:43]
	s_mov_b64 s[62:63], 0
	s_mov_b64 s[60:61], 1
	s_and_b64 vcc, exec, vcc
	v_cndmask_b32_e64 v47, v47, v27, s[30:31]
	v_cndmask_b32_e64 v46, v46, v26, s[30:31]
	;; [unrolled: 1-line block ×4, first 2 shown]
	s_cbranch_vccz .LBB2_619
; %bb.620:                              ;   in Loop: Header=BB2_618 Depth=2
	v_sub_u32_e32 v25, v25, v49
	v_cmp_gt_i32_e32 vcc, 16, v25
	v_lshl_add_u64 v[18:19], v[18:19], 0, v[42:43]
	v_lshl_add_u64 v[14:15], v[14:15], 0, v[42:43]
	;; [unrolled: 1-line block ×4, first 2 shown]
	s_or_b64 s[58:59], vcc, s[58:59]
	v_sub_u32_e32 v2, v2, v34
	s_andn2_b64 exec, exec, s[58:59]
	s_cbranch_execnz .LBB2_618
; %bb.621:                              ;   in Loop: Header=BB2_47 Depth=1
	s_or_b64 exec, exec, s[58:59]
	v_accvgpr_read_b32 v53, a7
	v_accvgpr_read_b32 v55, a13
	;; [unrolled: 1-line block ×5, first 2 shown]
.LBB2_622:                              ;   in Loop: Header=BB2_47 Depth=1
	s_or_b64 exec, exec, s[56:57]
	v_and_b32_e32 v9, 14, v17
	v_cndmask_b32_e64 v36, v5, v9, s[26:27]
	v_cmp_ne_u32_e32 vcc, 0, v36
	s_mov_b64 s[28:29], 0
	v_mov_b32_e32 v30, 0
                                        ; implicit-def: $vgpr31
                                        ; implicit-def: $vgpr46
                                        ; implicit-def: $vgpr8
	s_and_saveexec_b64 s[56:57], vcc
	s_cbranch_execz .LBB2_632
; %bb.623:                              ;   in Loop: Header=BB2_47 Depth=1
	v_sub_u32_e32 v5, v5, v9
	v_cndmask_b32_e64 v5, 0, v5, s[26:27]
	v_cmp_lt_i32_e32 vcc, 0, v2
	v_add_u32_e32 v28, v5, v37
	v_ashrrev_i32_e32 v9, 31, v36
	v_cndmask_b32_e32 v5, 0, v34, vcc
	v_sub_u32_e32 v2, v5, v2
	v_accvgpr_read_b32 v5, a26
	v_lshl_add_u32 v2, v2, 6, v5
	v_ashrrev_i32_e32 v5, 31, v2
	v_lshrrev_b32_e32 v5, 26, v5
	v_add_u32_e32 v5, v2, v5
	v_lshrrev_b32_e32 v9, 22, v9
	v_ashrrev_i32_e32 v8, 6, v5
	v_and_b32_e32 v5, 0xffffffc0, v5
	v_add_u32_e32 v9, v36, v9
	v_sub_u32_e32 v29, v2, v5
	v_and_b32_e32 v11, 0xfffffc00, v9
	v_lshlrev_b32_e32 v2, 4, v29
	v_sub_u32_e32 v14, v36, v11
	v_lshl_add_u32 v5, v8, 10, v2
	v_ashrrev_i32_e32 v10, 10, v9
	v_cmp_lt_i32_e64 s[26:27], 15, v14
	v_sub_u32_e32 v2, v36, v5
	s_nop 0
	v_addc_co_u32_e64 v9, vcc, 0, v10, s[26:27]
	v_sub_u32_e32 v37, v9, v8
	v_cmp_lt_i32_e32 vcc, 15, v2
	s_and_saveexec_b64 s[58:59], vcc
	s_cbranch_execz .LBB2_629
; %bb.624:                              ;   in Loop: Header=BB2_47 Depth=1
	v_accvgpr_write_b32 a3, v11
	s_trap 2
	ds_read_b128 v[8:11], v0
	v_accvgpr_write_b32 a32, v14
	v_add_u32_e32 v14, v5, v28
	v_ashrrev_i32_e32 v15, 31, v14
	s_mov_b64 s[60:61], 0
	s_waitcnt lgkmcnt(0)
	v_lshl_add_u64 v[46:47], v[8:9], 0, v[14:15]
	v_lshl_add_u64 v[30:31], v[10:11], 0, v[14:15]
	v_mov_b64_e32 v[18:19], v[46:47]
	v_mov_b64_e32 v[14:15], v[30:31]
.LBB2_625:                              ;   Parent Loop BB2_47 Depth=1
                                        ; =>  This Loop Header: Depth=2
                                        ;       Child Loop BB2_626 Depth 3
	global_load_dwordx4 v[8:11], v[18:19], off nt
	global_load_dwordx4 v[52:55], v[14:15], off nt
	s_mov_b64 s[64:65], -1
	s_mov_b64 s[62:63], 0
	s_waitcnt vmcnt(0)
	v_mul_f16_e32 v5, v8, v52
	v_mul_f16_sdwa v8, v8, v52 dst_sel:WORD_1 dst_unused:UNUSED_PAD src0_sel:WORD_1 src1_sel:WORD_1
	v_mul_f16_e32 v25, v9, v53
	v_mul_f16_sdwa v9, v9, v53 dst_sel:WORD_1 dst_unused:UNUSED_PAD src0_sel:WORD_1 src1_sel:WORD_1
	;; [unrolled: 2-line block ×4, first 2 shown]
	v_or_b32_e32 v9, v9, v25
	v_or_b32_e32 v8, v8, v5
	;; [unrolled: 1-line block ×4, first 2 shown]
.LBB2_626:                              ;   Parent Loop BB2_47 Depth=1
                                        ;     Parent Loop BB2_625 Depth=2
                                        ; =>    This Inner Loop Header: Depth=3
	s_cmp_eq_u32 s62, 0
	s_cselect_b64 s[28:29], -1, 0
	s_cmp_eq_u32 s62, 1
	s_cselect_b64 s[30:31], -1, 0
	v_cndmask_b32_e64 v5, 0, 1, s[64:65]
	v_cndmask_b32_e64 v27, v47, v31, s[30:31]
	;; [unrolled: 1-line block ×3, first 2 shown]
	v_cmp_ne_u32_e32 vcc, 1, v5
	global_store_dwordx4 v[26:27], v[8:11], off nt
	v_lshl_add_u64 v[26:27], v[26:27], 0, s[42:43]
	s_mov_b64 s[64:65], 0
	s_mov_b64 s[62:63], 1
	s_and_b64 vcc, exec, vcc
	v_cndmask_b32_e64 v31, v31, v27, s[30:31]
	v_cndmask_b32_e64 v30, v30, v26, s[30:31]
	;; [unrolled: 1-line block ×4, first 2 shown]
	s_cbranch_vccz .LBB2_626
; %bb.627:                              ;   in Loop: Header=BB2_625 Depth=2
	v_sub_u32_e32 v2, v2, v49
	v_cmp_gt_i32_e32 vcc, 16, v2
	v_lshl_add_u64 v[18:19], v[18:19], 0, v[42:43]
	v_lshl_add_u64 v[14:15], v[14:15], 0, v[42:43]
	v_lshl_add_u64 v[46:47], v[46:47], 0, v[50:51]
	v_lshl_add_u64 v[30:31], v[30:31], 0, v[50:51]
	s_or_b64 s[60:61], vcc, s[60:61]
	v_sub_u32_e32 v37, v37, v34
	s_andn2_b64 exec, exec, s[60:61]
	s_cbranch_execnz .LBB2_625
; %bb.628:                              ;   in Loop: Header=BB2_47 Depth=1
	s_or_b64 exec, exec, s[60:61]
	v_accvgpr_read_b32 v53, a7
	v_accvgpr_read_b32 v55, a13
	;; [unrolled: 1-line block ×7, first 2 shown]
.LBB2_629:                              ;   in Loop: Header=BB2_47 Depth=1
	s_or_b64 exec, exec, s[58:59]
	v_and_b32_e32 v2, 14, v36
	v_cndmask_b32_e64 v31, v14, v2, s[26:27]
	v_cmp_ne_u32_e32 vcc, 0, v31
	s_mov_b64 s[28:29], 0
	v_mov_b32_e32 v30, 0
                                        ; implicit-def: $vgpr46
                                        ; implicit-def: $vgpr8
	s_and_saveexec_b64 s[30:31], vcc
	s_cbranch_execz .LBB2_631
; %bb.630:                              ;   in Loop: Header=BB2_47 Depth=1
	v_sub_u32_e32 v2, v14, v2
	v_cndmask_b32_e64 v2, 0, v2, s[26:27]
	v_cmp_lt_i32_e32 vcc, 0, v37
	v_add3_u32 v30, v11, v28, v2
	s_mov_b64 s[28:29], exec
	v_cndmask_b32_e32 v2, 0, v34, vcc
	v_sub_u32_e32 v2, v2, v37
	v_lshl_add_u32 v46, v2, 6, v29
	v_ashrrev_i32_e32 v2, 31, v46
	v_lshrrev_b32_e32 v2, 26, v2
	v_add_u32_e32 v2, v46, v2
	v_ashrrev_i32_e32 v8, 6, v2
.LBB2_631:                              ;   in Loop: Header=BB2_47 Depth=1
	s_or_b64 exec, exec, s[30:31]
	s_and_b64 s[28:29], s[28:29], exec
.LBB2_632:                              ;   in Loop: Header=BB2_47 Depth=1
	s_or_b64 exec, exec, s[56:57]
	v_accvgpr_read_b32 v37, a23
	v_accvgpr_read_b32 v36, a22
	s_and_saveexec_b64 s[30:31], s[28:29]
	s_cbranch_execz .LBB2_643
.LBB2_633:                              ;   in Loop: Header=BB2_47 Depth=1
	v_ashrrev_i32_e32 v2, 31, v31
	v_lshrrev_b32_e32 v2, 23, v2
	v_add_u32_e32 v2, v31, v2
	v_ashrrev_i32_e32 v25, 9, v2
	v_sub_u32_e32 v2, v25, v8
	v_ashrrev_i32_e32 v5, 31, v46
	v_cmp_lt_i32_e32 vcc, 0, v2
	v_lshrrev_b32_e32 v5, 26, v5
	s_and_saveexec_b64 s[26:27], vcc
	s_cbranch_execz .LBB2_637
; %bb.634:                              ;   in Loop: Header=BB2_47 Depth=1
	v_add_u32_e32 v9, v46, v5
	v_accvgpr_write_b32 a3, v38
	s_trap 2
	v_and_b32_e32 v9, 0x7fffffc0, v9
	ds_read_b128 v[36:39], v0
	v_sub_u32_e32 v9, v46, v9
	v_lshlrev_b32_e32 v9, 1, v9
	v_lshlrev_b32_e32 v8, 9, v8
	v_add3_u32 v10, v9, v30, v8
	v_ashrrev_i32_e32 v11, 31, v10
	s_waitcnt lgkmcnt(0)
	v_lshl_add_u64 v[8:9], v[36:37], 0, v[10:11]
	v_lshl_add_u64 v[10:11], v[38:39], 0, v[10:11]
	s_mov_b64 s[28:29], 0
	v_mov_b64_e32 v[14:15], v[8:9]
	v_mov_b64_e32 v[18:19], v[10:11]
.LBB2_635:                              ;   Parent Loop BB2_47 Depth=1
                                        ; =>  This Inner Loop Header: Depth=2
	flat_load_ushort v26, v[8:9] nt
	flat_load_ushort v27, v[8:9] offset:128 nt
	flat_load_ushort v28, v[8:9] offset:256 nt
	;; [unrolled: 1-line block ×3, first 2 shown]
	flat_load_ushort v36, v[10:11] nt
	flat_load_ushort v37, v[10:11] offset:128 nt
	flat_load_ushort v38, v[10:11] offset:256 nt
	;; [unrolled: 1-line block ×3, first 2 shown]
	v_sub_u32_e32 v2, v2, v34
	v_cmp_gt_i32_e32 vcc, 1, v2
	v_lshl_add_u64 v[8:9], v[8:9], 0, v[40:41]
	v_lshl_add_u64 v[10:11], v[10:11], 0, v[40:41]
	s_or_b64 s[28:29], vcc, s[28:29]
	s_waitcnt vmcnt(0) lgkmcnt(0)
	v_mul_f16_e32 v26, v26, v36
	v_mul_f16_e32 v27, v27, v37
	;; [unrolled: 1-line block ×4, first 2 shown]
	flat_store_short v[14:15], v26 nt
	flat_store_short v[14:15], v27 offset:128 nt
	flat_store_short v[14:15], v28 offset:256 nt
	;; [unrolled: 1-line block ×3, first 2 shown]
	flat_store_short v[18:19], v26 nt
	flat_store_short v[18:19], v27 offset:128 nt
	flat_store_short v[18:19], v28 offset:256 nt
	flat_store_short v[18:19], v29 offset:384 nt
	v_lshl_add_u64 v[14:15], v[14:15], 0, v[40:41]
	v_lshl_add_u64 v[18:19], v[18:19], 0, v[40:41]
	s_andn2_b64 exec, exec, s[28:29]
	s_cbranch_execnz .LBB2_635
; %bb.636:                              ;   in Loop: Header=BB2_47 Depth=1
	s_or_b64 exec, exec, s[28:29]
	v_accvgpr_read_b32 v37, a23
	v_accvgpr_read_b32 v39, a15
	;; [unrolled: 1-line block ×4, first 2 shown]
.LBB2_637:                              ;   in Loop: Header=BB2_47 Depth=1
	s_or_b64 exec, exec, s[26:27]
	v_lshlrev_b32_e32 v8, 9, v25
	v_cmp_ne_u32_e32 vcc, v31, v8
	s_and_b64 exec, exec, vcc
	s_cbranch_execz .LBB2_643
; %bb.638:                              ;   in Loop: Header=BB2_47 Depth=1
	v_add_u32_e32 v5, v46, v5
	v_and_b32_e32 v5, 0xffffffc0, v5
	v_sub_u32_e32 v5, v46, v5
	v_lshlrev_b32_e32 v2, 6, v2
	v_sub_u32_e32 v2, v5, v2
	v_ashrrev_i32_e32 v5, 31, v2
	v_lshrrev_b32_e32 v5, 26, v5
	v_add_u32_e32 v5, v2, v5
	v_and_b32_e32 v9, 0x7fffffc0, v5
	v_sub_u32_e32 v2, v2, v9
	v_lshlrev_b32_e32 v5, 1, v5
	v_and_b32_e32 v5, 0xffffff80, v5
	v_lshlrev_b32_e32 v2, 1, v2
	v_add3_u32 v5, v5, v2, v8
	v_sub_u32_e32 v2, v31, v5
	v_cmp_lt_i32_e32 vcc, 1, v2
	s_and_b64 exec, exec, vcc
	s_cbranch_execz .LBB2_643
; %bb.639:                              ;   in Loop: Header=BB2_47 Depth=1
	s_trap 2
	ds_read_b128 v[8:11], v0
	v_add_u32_e32 v14, v5, v30
	v_ashrrev_i32_e32 v15, 31, v14
	s_mov_b64 s[56:57], 0
	s_waitcnt lgkmcnt(0)
	v_lshl_add_u64 v[8:9], v[8:9], 0, v[14:15]
	v_lshl_add_u64 v[10:11], v[10:11], 0, v[14:15]
	v_mov_b64_e32 v[14:15], v[8:9]
	v_mov_b64_e32 v[18:19], v[10:11]
.LBB2_640:                              ;   Parent Loop BB2_47 Depth=1
                                        ; =>  This Loop Header: Depth=2
                                        ;       Child Loop BB2_641 Depth 3
	flat_load_ushort v5, v[14:15] nt
	flat_load_ushort v25, v[18:19] nt
	s_mov_b64 s[60:61], -1
	s_mov_b64 s[58:59], 0
	s_waitcnt vmcnt(0) lgkmcnt(0)
	v_mul_f16_e32 v5, v5, v25
.LBB2_641:                              ;   Parent Loop BB2_47 Depth=1
                                        ;     Parent Loop BB2_640 Depth=2
                                        ; =>    This Inner Loop Header: Depth=3
	s_cmp_eq_u32 s58, 0
	s_cselect_b64 s[26:27], -1, 0
	s_cmp_eq_u32 s58, 1
	s_cselect_b64 s[28:29], -1, 0
	v_cndmask_b32_e64 v25, 0, 1, s[60:61]
	v_cndmask_b32_e64 v27, v9, v11, s[28:29]
	;; [unrolled: 1-line block ×3, first 2 shown]
	v_cmp_ne_u32_e32 vcc, 1, v25
	flat_store_short v[26:27], v5 nt
	v_lshl_add_u64 v[26:27], v[26:27], 0, s[44:45]
	s_mov_b64 s[60:61], 0
	s_mov_b64 s[58:59], 1
	s_and_b64 vcc, exec, vcc
	v_cndmask_b32_e64 v11, v11, v27, s[28:29]
	v_cndmask_b32_e64 v10, v10, v26, s[28:29]
	;; [unrolled: 1-line block ×4, first 2 shown]
	s_cbranch_vccz .LBB2_641
; %bb.642:                              ;   in Loop: Header=BB2_640 Depth=2
	v_sub_u32_e32 v2, v2, v4
	v_cmp_gt_i32_e32 vcc, 2, v2
	v_lshl_add_u64 v[14:15], v[14:15], 0, v[44:45]
	v_lshl_add_u64 v[18:19], v[18:19], 0, v[44:45]
	;; [unrolled: 1-line block ×3, first 2 shown]
	s_or_b64 s[56:57], vcc, s[56:57]
	v_lshl_add_u64 v[10:11], v[10:11], 0, v[36:37]
	s_andn2_b64 exec, exec, s[56:57]
	s_cbranch_execnz .LBB2_640
.LBB2_643:                              ;   in Loop: Header=BB2_47 Depth=1
	s_or_b64 exec, exec, s[30:31]
	s_mov_b64 s[26:27], 0
.LBB2_644:                              ;   in Loop: Header=BB2_47 Depth=1
	s_and_b64 vcc, exec, s[26:27]
	s_cbranch_vccz .LBB2_673
; %bb.645:                              ;   in Loop: Header=BB2_47 Depth=1
	s_mov_b64 s[26:27], -1
	s_and_saveexec_b64 s[28:29], s[20:21]
	s_cbranch_execz .LBB2_647
; %bb.646:                              ;   in Loop: Header=BB2_47 Depth=1
	ds_read_b32 v2, v0 offset:720
	s_waitcnt lgkmcnt(0)
	v_and_b32_e32 v2, 15, v2
	v_cmp_eq_u32_e32 vcc, 0, v2
	s_orn2_b64 s[26:27], vcc, exec
.LBB2_647:                              ;   in Loop: Header=BB2_47 Depth=1
	s_or_b64 exec, exec, s[28:29]
	s_and_saveexec_b64 s[28:29], s[16:17]
	s_cbranch_execz .LBB2_649
; %bb.648:                              ;   in Loop: Header=BB2_47 Depth=1
	ds_read_b32 v2, v0 offset:784
	s_waitcnt lgkmcnt(0)
	v_and_b32_e32 v2, 15, v2
	v_cmp_eq_u32_e32 vcc, 0, v2
	s_and_b64 vcc, s[26:27], vcc
	s_andn2_b64 s[26:27], s[26:27], exec
	s_and_b64 vcc, vcc, exec
	s_or_b64 s[26:27], s[26:27], vcc
.LBB2_649:                              ;   in Loop: Header=BB2_47 Depth=1
	s_or_b64 exec, exec, s[28:29]
	s_xor_b64 s[26:27], s[26:27], -1
	v_cndmask_b32_e64 v2, 0, 1, s[26:27]
	s_mov_b64 s[30:31], -1
	;;#ASMSTART
	;;#ASMEND
	v_mov_b32_e32 v18, 0
	v_cmp_ne_u32_e32 vcc, 0, v2
	s_cbranch_vccz .LBB2_651
; %bb.650:                              ;   in Loop: Header=BB2_47 Depth=1
	v_mov_b32_e32 v2, v48
	v_mov_b32_e32 v8, v47
	s_and_saveexec_b64 s[26:27], s[30:31]
	s_cbranch_execnz .LBB2_664
	s_branch .LBB2_672
.LBB2_651:                              ;   in Loop: Header=BB2_47 Depth=1
	v_ashrrev_i32_e32 v5, 31, v17
	v_lshrrev_b32_e32 v5, 22, v5
	v_accvgpr_read_b32 v8, a16
	v_add_u32_e32 v5, v17, v5
	v_sub_u32_e32 v2, v17, v8
	v_ashrrev_i32_e32 v8, 10, v5
	v_and_b32_e32 v5, 0xfffffc00, v5
	v_accvgpr_read_b32 v9, a17
	v_sub_u32_e32 v30, v17, v5
	v_cmp_lt_i32_e32 vcc, 15, v30
	v_accvgpr_read_b32 v9, a27
	s_nop 0
	v_addc_co_u32_e64 v25, s[26:27], v8, v9, vcc
	v_cmp_lt_i32_e64 s[26:27], 15, v2
	s_and_saveexec_b64 s[28:29], s[26:27]
	s_cbranch_execz .LBB2_655
; %bb.652:                              ;   in Loop: Header=BB2_47 Depth=1
	s_trap 2
	ds_read_b128 v[8:11], v0
	ds_read_b64 v[14:15], v0
	v_accvgpr_read_b32 v19, a17
	v_accvgpr_read_b32 v18, a16
	v_accvgpr_write_b32 a3, v38
	s_waitcnt lgkmcnt(0)
	v_lshl_add_u64 v[8:9], v[8:9], 0, v[18:19]
	v_lshl_add_u64 v[10:11], v[10:11], 0, v[18:19]
	;; [unrolled: 1-line block ×3, first 2 shown]
	s_mov_b64 s[30:31], 0
.LBB2_653:                              ;   Parent Loop BB2_47 Depth=1
                                        ; =>  This Inner Loop Header: Depth=2
	global_load_dwordx4 v[36:39], v[8:9], off nt
	global_load_dwordx4 v[52:55], v[10:11], off nt
	v_sub_u32_e32 v2, v2, v49
	v_cmp_gt_i32_e64 s[26:27], 16, v2
	v_lshl_add_u64 v[8:9], v[8:9], 0, v[42:43]
	v_lshl_add_u64 v[10:11], v[10:11], 0, v[42:43]
	v_sub_u32_e32 v25, v25, v34
	s_or_b64 s[30:31], s[26:27], s[30:31]
	s_waitcnt vmcnt(0)
	v_mul_f16_e32 v18, v36, v52
	v_mul_f16_sdwa v19, v36, v52 dst_sel:WORD_1 dst_unused:UNUSED_PAD src0_sel:WORD_1 src1_sel:WORD_1
	v_mul_f16_e32 v26, v37, v53
	v_mul_f16_sdwa v27, v37, v53 dst_sel:WORD_1 dst_unused:UNUSED_PAD src0_sel:WORD_1 src1_sel:WORD_1
	;; [unrolled: 2-line block ×4, first 2 shown]
	v_or_b32_e32 v37, v27, v26
	v_or_b32_e32 v36, v19, v18
	;; [unrolled: 1-line block ×4, first 2 shown]
	global_store_dwordx4 v[14:15], v[36:39], off nt
	v_lshl_add_u64 v[14:15], v[14:15], 0, v[42:43]
	s_andn2_b64 exec, exec, s[30:31]
	s_cbranch_execnz .LBB2_653
; %bb.654:                              ;   in Loop: Header=BB2_47 Depth=1
	s_or_b64 exec, exec, s[30:31]
	v_accvgpr_read_b32 v53, a7
	v_accvgpr_read_b32 v55, a13
	;; [unrolled: 1-line block ×8, first 2 shown]
.LBB2_655:                              ;   in Loop: Header=BB2_47 Depth=1
	s_or_b64 exec, exec, s[28:29]
	v_and_b32_e32 v9, 14, v17
	v_cndmask_b32_e32 v19, v30, v9, vcc
	v_cmp_ne_u32_e64 s[26:27], 0, v19
	s_mov_b64 s[30:31], 0
	v_mov_b32_e32 v18, 0
                                        ; implicit-def: $vgpr17
                                        ; implicit-def: $vgpr2
                                        ; implicit-def: $vgpr8
	s_and_saveexec_b64 s[28:29], s[26:27]
	s_cbranch_execz .LBB2_663
; %bb.656:                              ;   in Loop: Header=BB2_47 Depth=1
	v_sub_u32_e32 v2, v30, v9
	v_cndmask_b32_e32 v2, 0, v2, vcc
	v_cmp_lt_i32_e32 vcc, 0, v25
	v_add_u32_e32 v5, v2, v5
	v_accvgpr_read_b32 v8, a26
	v_cndmask_b32_e32 v2, 0, v34, vcc
	v_sub_u32_e32 v2, v2, v25
	v_lshl_add_u32 v2, v2, 6, v8
	v_ashrrev_i32_e32 v8, 31, v2
	v_lshrrev_b32_e32 v8, 26, v8
	v_ashrrev_i32_e32 v10, 31, v19
	v_add_u32_e32 v8, v2, v8
	v_lshrrev_b32_e32 v10, 22, v10
	v_ashrrev_i32_e32 v9, 6, v8
	v_and_b32_e32 v8, 0xffffffc0, v8
	v_add_u32_e32 v10, v19, v10
	v_sub_u32_e32 v25, v2, v8
	v_and_b32_e32 v30, 0xfffffc00, v10
	v_accvgpr_write_b32 a3, v48
	v_lshlrev_b32_e32 v2, 4, v25
	v_sub_u32_e32 v48, v19, v30
	v_lshl_add_u32 v8, v9, 10, v2
	v_ashrrev_i32_e32 v11, 10, v10
	v_cmp_lt_i32_e32 vcc, 15, v48
	v_sub_u32_e32 v2, v19, v8
	s_nop 0
	v_addc_co_u32_e64 v10, s[26:27], 0, v11, vcc
	v_sub_u32_e32 v31, v10, v9
	v_cmp_lt_i32_e64 s[26:27], 15, v2
	s_and_saveexec_b64 s[30:31], s[26:27]
	s_cbranch_execz .LBB2_660
; %bb.657:                              ;   in Loop: Header=BB2_47 Depth=1
	s_trap 2
	ds_read_b128 v[52:55], v0
	ds_read_b64 v[14:15], v0
	v_add_u32_e32 v26, v8, v5
	v_ashrrev_i32_e32 v27, 31, v26
	v_mov_b32_e32 v46, v38
	s_waitcnt lgkmcnt(0)
	v_lshl_add_u64 v[8:9], v[52:53], 0, v[26:27]
	v_lshl_add_u64 v[10:11], v[54:55], 0, v[26:27]
	;; [unrolled: 1-line block ×3, first 2 shown]
	s_mov_b64 s[56:57], 0
.LBB2_658:                              ;   Parent Loop BB2_47 Depth=1
                                        ; =>  This Inner Loop Header: Depth=2
	global_load_dwordx4 v[52:55], v[8:9], off nt
	global_load_dwordx4 v[36:39], v[10:11], off nt
	v_sub_u32_e32 v2, v2, v49
	v_cmp_gt_i32_e64 s[26:27], 16, v2
	v_lshl_add_u64 v[8:9], v[8:9], 0, v[42:43]
	v_lshl_add_u64 v[10:11], v[10:11], 0, v[42:43]
	v_sub_u32_e32 v31, v31, v34
	s_or_b64 s[56:57], s[26:27], s[56:57]
	s_waitcnt vmcnt(0)
	v_mul_f16_e32 v17, v52, v36
	v_mul_f16_sdwa v18, v52, v36 dst_sel:WORD_1 dst_unused:UNUSED_PAD src0_sel:WORD_1 src1_sel:WORD_1
	v_mul_f16_e32 v26, v53, v37
	v_mul_f16_sdwa v27, v53, v37 dst_sel:WORD_1 dst_unused:UNUSED_PAD src0_sel:WORD_1 src1_sel:WORD_1
	;; [unrolled: 2-line block ×4, first 2 shown]
	v_or_b32_e32 v37, v27, v26
	v_or_b32_e32 v36, v18, v17
	;; [unrolled: 1-line block ×4, first 2 shown]
	global_store_dwordx4 v[14:15], v[36:39], off nt
	v_lshl_add_u64 v[14:15], v[14:15], 0, v[42:43]
	s_andn2_b64 exec, exec, s[56:57]
	s_cbranch_execnz .LBB2_658
; %bb.659:                              ;   in Loop: Header=BB2_47 Depth=1
	s_or_b64 exec, exec, s[56:57]
	v_accvgpr_read_b32 v53, a7
	v_accvgpr_read_b32 v55, a13
	;; [unrolled: 1-line block ×7, first 2 shown]
	v_mov_b32_e32 v38, v46
.LBB2_660:                              ;   in Loop: Header=BB2_47 Depth=1
	s_or_b64 exec, exec, s[30:31]
	v_and_b32_e32 v9, 14, v19
	v_cndmask_b32_e32 v17, v48, v9, vcc
	v_cmp_ne_u32_e64 s[26:27], 0, v17
	s_mov_b64 s[30:31], 0
	v_mov_b32_e32 v18, 0
                                        ; implicit-def: $vgpr2
                                        ; implicit-def: $vgpr8
	s_and_saveexec_b64 s[56:57], s[26:27]
	s_cbranch_execz .LBB2_662
; %bb.661:                              ;   in Loop: Header=BB2_47 Depth=1
	v_sub_u32_e32 v2, v48, v9
	v_cndmask_b32_e32 v2, 0, v2, vcc
	v_cmp_lt_i32_e32 vcc, 0, v31
	v_add3_u32 v18, v30, v5, v2
	s_mov_b64 s[30:31], exec
	v_cndmask_b32_e32 v2, 0, v34, vcc
	v_sub_u32_e32 v2, v2, v31
	v_lshl_add_u32 v2, v2, 6, v25
	v_ashrrev_i32_e32 v5, 31, v2
	v_lshrrev_b32_e32 v5, 26, v5
	v_add_u32_e32 v5, v2, v5
	v_ashrrev_i32_e32 v8, 6, v5
.LBB2_662:                              ;   in Loop: Header=BB2_47 Depth=1
	s_or_b64 exec, exec, s[56:57]
	s_and_b64 s[30:31], s[30:31], exec
	v_accvgpr_read_b32 v48, a3
.LBB2_663:                              ;   in Loop: Header=BB2_47 Depth=1
	s_or_b64 exec, exec, s[28:29]
	s_and_saveexec_b64 s[26:27], s[30:31]
	s_cbranch_execz .LBB2_672
.LBB2_664:                              ;   in Loop: Header=BB2_47 Depth=1
	v_ashrrev_i32_e32 v5, 31, v17
	v_lshrrev_b32_e32 v5, 23, v5
	v_add_u32_e32 v5, v17, v5
	v_ashrrev_i32_e32 v25, 9, v5
	v_sub_u32_e32 v5, v25, v8
	v_ashrrev_i32_e32 v9, 31, v2
	v_cmp_lt_i32_e32 vcc, 0, v5
	v_lshrrev_b32_e32 v19, 26, v9
	s_and_saveexec_b64 s[28:29], vcc
	s_cbranch_execz .LBB2_668
; %bb.665:                              ;   in Loop: Header=BB2_47 Depth=1
	v_add_u32_e32 v9, v2, v19
	v_accvgpr_write_b32 a3, v38
	s_trap 2
	v_and_b32_e32 v9, 0x7fffffc0, v9
	ds_read_b128 v[36:39], v0
	ds_read_b64 v[14:15], v0
	v_sub_u32_e32 v9, v2, v9
	v_lshlrev_b32_e32 v9, 1, v9
	v_lshlrev_b32_e32 v8, 9, v8
	v_add3_u32 v26, v9, v18, v8
	v_ashrrev_i32_e32 v27, 31, v26
	s_waitcnt lgkmcnt(0)
	v_lshl_add_u64 v[8:9], v[36:37], 0, v[26:27]
	v_lshl_add_u64 v[10:11], v[38:39], 0, v[26:27]
	;; [unrolled: 1-line block ×3, first 2 shown]
	s_mov_b64 s[30:31], 0
.LBB2_666:                              ;   Parent Loop BB2_47 Depth=1
                                        ; =>  This Inner Loop Header: Depth=2
	flat_load_ushort v26, v[8:9] nt
	flat_load_ushort v27, v[8:9] offset:128 nt
	flat_load_ushort v28, v[8:9] offset:256 nt
	flat_load_ushort v29, v[8:9] offset:384 nt
	flat_load_ushort v30, v[10:11] nt
	flat_load_ushort v31, v[10:11] offset:128 nt
	flat_load_ushort v36, v[10:11] offset:256 nt
	;; [unrolled: 1-line block ×3, first 2 shown]
	v_sub_u32_e32 v5, v5, v34
	v_cmp_gt_i32_e32 vcc, 1, v5
	v_lshl_add_u64 v[8:9], v[8:9], 0, v[40:41]
	v_lshl_add_u64 v[10:11], v[10:11], 0, v[40:41]
	s_or_b64 s[30:31], vcc, s[30:31]
	s_waitcnt vmcnt(0) lgkmcnt(0)
	v_mul_f16_e32 v26, v26, v30
	v_mul_f16_e32 v27, v27, v31
	;; [unrolled: 1-line block ×4, first 2 shown]
	flat_store_short v[14:15], v26 nt
	flat_store_short v[14:15], v27 offset:128 nt
	flat_store_short v[14:15], v28 offset:256 nt
	;; [unrolled: 1-line block ×3, first 2 shown]
	v_lshl_add_u64 v[14:15], v[14:15], 0, v[40:41]
	s_andn2_b64 exec, exec, s[30:31]
	s_cbranch_execnz .LBB2_666
; %bb.667:                              ;   in Loop: Header=BB2_47 Depth=1
	s_or_b64 exec, exec, s[30:31]
	v_accvgpr_read_b32 v37, a23
	v_accvgpr_read_b32 v39, a15
	;; [unrolled: 1-line block ×4, first 2 shown]
.LBB2_668:                              ;   in Loop: Header=BB2_47 Depth=1
	s_or_b64 exec, exec, s[28:29]
	v_lshlrev_b32_e32 v8, 9, v25
	v_cmp_ne_u32_e32 vcc, v17, v8
	s_and_b64 exec, exec, vcc
	s_cbranch_execz .LBB2_672
; %bb.669:                              ;   in Loop: Header=BB2_47 Depth=1
	v_add_u32_e32 v9, v2, v19
	v_and_b32_e32 v9, 0xffffffc0, v9
	v_sub_u32_e32 v2, v2, v9
	v_lshlrev_b32_e32 v5, 6, v5
	v_sub_u32_e32 v2, v2, v5
	v_ashrrev_i32_e32 v5, 31, v2
	v_lshrrev_b32_e32 v5, 26, v5
	v_add_u32_e32 v5, v2, v5
	v_and_b32_e32 v9, 0x7fffffc0, v5
	v_sub_u32_e32 v2, v2, v9
	v_lshlrev_b32_e32 v5, 1, v5
	v_and_b32_e32 v5, 0xffffff80, v5
	v_lshlrev_b32_e32 v2, 1, v2
	v_add3_u32 v5, v5, v2, v8
	v_sub_u32_e32 v2, v17, v5
	v_cmp_lt_i32_e32 vcc, 1, v2
	s_and_b64 exec, exec, vcc
	s_cbranch_execz .LBB2_672
; %bb.670:                              ;   in Loop: Header=BB2_47 Depth=1
	s_trap 2
	ds_read_b128 v[8:11], v0
	ds_read_b64 v[14:15], v0
	v_add_u32_e32 v18, v5, v18
	v_ashrrev_i32_e32 v19, 31, v18
	s_mov_b64 s[28:29], 0
	s_waitcnt lgkmcnt(0)
	v_lshl_add_u64 v[8:9], v[8:9], 0, v[18:19]
	v_lshl_add_u64 v[10:11], v[10:11], 0, v[18:19]
	;; [unrolled: 1-line block ×3, first 2 shown]
.LBB2_671:                              ;   Parent Loop BB2_47 Depth=1
                                        ; =>  This Inner Loop Header: Depth=2
	flat_load_ushort v5, v[8:9] nt
	flat_load_ushort v17, v[10:11] nt
	v_sub_u32_e32 v2, v2, v4
	v_cmp_gt_i32_e32 vcc, 2, v2
	v_lshl_add_u64 v[8:9], v[8:9], 0, v[44:45]
	v_lshl_add_u64 v[10:11], v[10:11], 0, v[44:45]
	s_or_b64 s[28:29], vcc, s[28:29]
	s_waitcnt vmcnt(0) lgkmcnt(0)
	v_mul_f16_e32 v5, v5, v17
	flat_store_short v[14:15], v5 nt
	v_lshl_add_u64 v[14:15], v[14:15], 0, v[44:45]
	s_andn2_b64 exec, exec, s[28:29]
	s_cbranch_execnz .LBB2_671
.LBB2_672:                              ;   in Loop: Header=BB2_47 Depth=1
	s_or_b64 exec, exec, s[26:27]
.LBB2_673:                              ;   in Loop: Header=BB2_47 Depth=1
	v_cmp_lt_i32_e64 s[26:27], 0, v38
	s_and_saveexec_b64 s[28:29], s[6:7]
	s_cbranch_execz .LBB2_612
.LBB2_674:                              ;   in Loop: Header=BB2_47 Depth=1
	s_and_saveexec_b64 vcc, s[40:41]
	s_xor_b64 s[30:31], exec, vcc
	s_cbranch_execz .LBB2_701
; %bb.675:                              ;   in Loop: Header=BB2_47 Depth=1
	s_and_saveexec_b64 s[56:57], s[14:15]
	s_cbranch_execz .LBB2_700
; %bb.676:                              ;   in Loop: Header=BB2_47 Depth=1
	s_mov_b64 s[60:61], exec
	v_mbcnt_lo_u32_b32 v2, s60, 0
	v_mbcnt_hi_u32_b32 v2, s61, v2
	v_cmp_eq_u32_e32 vcc, 0, v2
	s_waitcnt lgkmcnt(0)
	s_and_saveexec_b64 s[58:59], vcc
	s_cbranch_execz .LBB2_678
; %bb.677:                              ;   in Loop: Header=BB2_47 Depth=1
	s_bcnt1_i32_b64 vcc_lo, s[60:61]
	v_mov_b32_e32 v2, vcc_lo
	ds_add_u64 v0, v[2:3]
	s_trap 2
.LBB2_678:                              ;   in Loop: Header=BB2_47 Depth=1
	s_or_b64 exec, exec, s[58:59]
	s_trap 2
	ds_read_b64 v[8:9], v0
	v_lshl_add_u64 v[12:13], v[12:13], 0, v[34:35]
	s_waitcnt lgkmcnt(0)
	v_cmp_lt_u64_e32 vcc, v[8:9], v[12:13]
	s_and_saveexec_b64 s[58:59], vcc
	s_cbranch_execz .LBB2_699
; %bb.679:                              ;   in Loop: Header=BB2_47 Depth=1
	s_mov_b32 s81, 0
	s_mov_b64 s[60:61], 0
                                        ; implicit-def: $sgpr62_sgpr63
                                        ; implicit-def: $sgpr64_sgpr65
	s_branch .LBB2_681
.LBB2_680:                              ;   in Loop: Header=BB2_681 Depth=2
	s_or_b64 exec, exec, s[68:69]
	s_and_b64 vcc, exec, vcc
	s_or_b64 s[60:61], vcc, s[60:61]
	s_andn2_b64 vcc, s[62:63], exec
	s_and_b64 s[62:63], s[64:65], exec
	s_or_b64 s[62:63], vcc, s[62:63]
	s_andn2_b64 exec, exec, s[60:61]
	s_cbranch_execz .LBB2_697
.LBB2_681:                              ;   Parent Loop BB2_47 Depth=1
                                        ; =>  This Inner Loop Header: Depth=2
	s_add_i32 s81, s81, 1
	s_cmpk_lg_i32 s81, 0x2710
	s_cselect_b64 s[66:67], -1, 0
	s_and_b64 vcc, exec, s[66:67]
                                        ; implicit-def: $sgpr68_sgpr69
	s_cbranch_vccnz .LBB2_683
; %bb.682:                              ;   in Loop: Header=BB2_681 Depth=2
	s_trap 2
	ds_read_b64 v[8:9], v0
	s_andn2_b64 s[66:67], s[66:67], exec
	s_mov_b32 s81, 0
	s_mov_b64 s[68:69], -1
	s_waitcnt vmcnt(0) lgkmcnt(0)
	flat_load_dword v2, v[8:9] sc0 sc1
	s_waitcnt vmcnt(0) lgkmcnt(0)
	buffer_inv sc0 sc1
	v_cmp_eq_u32_e32 vcc, 0, v2
	s_and_b64 vcc, vcc, exec
	s_or_b64 s[66:67], s[66:67], vcc
.LBB2_683:                              ;   in Loop: Header=BB2_681 Depth=2
	s_andn2_b64 s[64:65], s[64:65], exec
	s_and_b64 s[68:69], s[68:69], exec
	s_mov_b64 vcc, -1
	s_or_b64 s[64:65], s[64:65], s[68:69]
	s_and_saveexec_b64 s[68:69], s[66:67]
	s_cbranch_execz .LBB2_680
; %bb.684:                              ;   in Loop: Header=BB2_681 Depth=2
	s_sleep 1
	s_trap 2
	ds_read_b64 v[8:9], v0
	s_andn2_b64 s[64:65], s[64:65], exec
	s_waitcnt lgkmcnt(0)
	v_cmp_ge_u64_e32 vcc, v[8:9], v[12:13]
	s_orn2_b64 vcc, vcc, exec
	s_branch .LBB2_680
.LBB2_685:                              ;   in Loop: Header=BB2_47 Depth=1
	s_or_b64 exec, exec, s[56:57]
	s_and_saveexec_b64 vcc, s[58:59]
	s_xor_b64 vcc, exec, vcc
	s_cbranch_execz .LBB2_687
; %bb.686:                              ;   in Loop: Header=BB2_47 Depth=1
	ds_write_b32 v0, v0
	s_trap 2
.LBB2_687:                              ;   in Loop: Header=BB2_47 Depth=1
	s_or_b64 exec, exec, s[54:55]
	;;#ASMSTART
	s_wakeup
	;;#ASMEND
.LBB2_688:                              ;   in Loop: Header=BB2_47 Depth=1
	s_or_b64 exec, exec, s[52:53]
.LBB2_689:                              ;   in Loop: Header=BB2_47 Depth=1
	s_andn2_saveexec_b64 vcc, s[30:31]
	s_cbranch_execz .LBB2_691
; %bb.690:                              ;   in Loop: Header=BB2_47 Depth=1
	;;#ASMSTART
	s_waitcnt lgkmcnt(0) vmcnt(0)
	;;#ASMEND
	s_barrier
.LBB2_691:                              ;   in Loop: Header=BB2_47 Depth=1
	s_or_b64 exec, exec, vcc
	v_and_b32_e32 v1, 16, v62
.LBB2_692:                              ;   in Loop: Header=BB2_47 Depth=1
	s_or_b64 exec, exec, s[26:27]
	v_cmp_ne_u32_e32 vcc, 0, v1
	s_xor_b64 s[26:27], s[10:11], -1
	s_and_b64 vcc, vcc, s[26:27]
	s_and_saveexec_b64 s[26:27], vcc
	s_cbranch_execz .LBB2_694
; %bb.693:                              ;   in Loop: Header=BB2_47 Depth=1
	flat_store_dword v[54:55], v0 sc0 sc1
.LBB2_694:                              ;   in Loop: Header=BB2_47 Depth=1
	s_or_b64 exec, exec, s[26:27]
	v_and_b32_e32 v1, 48, v62
	v_cmp_ne_u32_e32 vcc, 0, v1
	s_and_saveexec_b64 s[26:27], vcc
	s_cbranch_execz .LBB2_696
; %bb.695:                              ;   in Loop: Header=BB2_47 Depth=1
	v_lshl_add_u64 v[20:21], v[20:21], 0, 4
	flat_store_dwordx2 v[22:23], v[20:21] sc0 sc1
.LBB2_696:                              ;   in Loop: Header=BB2_47 Depth=1
	s_or_b64 exec, exec, s[26:27]
	s_or_b64 exec, exec, s[28:29]
	s_and_b64 vcc, exec, s[24:25]
	s_cbranch_vccnz .LBB2_982
	s_branch .LBB2_729
.LBB2_697:                              ;   in Loop: Header=BB2_47 Depth=1
	s_or_b64 exec, exec, s[60:61]
	s_and_saveexec_b64 vcc, s[62:63]
	s_xor_b64 vcc, exec, vcc
	s_cbranch_execz .LBB2_699
; %bb.698:                              ;   in Loop: Header=BB2_47 Depth=1
	ds_write_b32 v0, v0
	s_trap 2
.LBB2_699:                              ;   in Loop: Header=BB2_47 Depth=1
	s_or_b64 exec, exec, s[58:59]
	;;#ASMSTART
	s_wakeup
	;;#ASMEND
.LBB2_700:                              ;   in Loop: Header=BB2_47 Depth=1
	s_or_b64 exec, exec, s[56:57]
.LBB2_701:                              ;   in Loop: Header=BB2_47 Depth=1
	s_andn2_saveexec_b64 vcc, s[30:31]
	s_cbranch_execz .LBB2_703
; %bb.702:                              ;   in Loop: Header=BB2_47 Depth=1
	s_waitcnt lgkmcnt(0)
	s_barrier
.LBB2_703:                              ;   in Loop: Header=BB2_47 Depth=1
	s_or_b64 exec, exec, vcc
	s_or_b64 exec, exec, s[28:29]
                                        ; implicit-def: $vgpr2
	s_and_saveexec_b64 s[28:29], s[22:23]
	s_xor_b64 s[28:29], exec, s[28:29]
	s_cbranch_execnz .LBB2_613
.LBB2_704:                              ;   in Loop: Header=BB2_47 Depth=1
	s_andn2_saveexec_b64 s[26:27], s[28:29]
	s_cbranch_execz .LBB2_723
.LBB2_705:                              ;   in Loop: Header=BB2_47 Depth=1
	s_and_saveexec_b64 s[28:29], s[40:41]
	s_xor_b64 s[28:29], exec, s[28:29]
	s_cbranch_execz .LBB2_720
; %bb.706:                              ;   in Loop: Header=BB2_47 Depth=1
	s_and_saveexec_b64 s[30:31], s[14:15]
	s_cbranch_execz .LBB2_719
; %bb.707:                              ;   in Loop: Header=BB2_47 Depth=1
	s_mov_b64 s[58:59], exec
	v_mbcnt_lo_u32_b32 v2, s58, 0
	v_mbcnt_hi_u32_b32 v2, s59, v2
	v_cmp_eq_u32_e32 vcc, 0, v2
	;;#ASMSTART
	s_waitcnt lgkmcnt(0) vmcnt(0)
	;;#ASMEND
	s_and_saveexec_b64 s[56:57], vcc
	s_cbranch_execz .LBB2_709
; %bb.708:                              ;   in Loop: Header=BB2_47 Depth=1
	s_bcnt1_i32_b64 vcc_lo, s[58:59]
	v_mov_b32_e32 v2, vcc_lo
	ds_add_u64 v0, v[2:3]
	s_trap 2
.LBB2_709:                              ;   in Loop: Header=BB2_47 Depth=1
	s_or_b64 exec, exec, s[56:57]
	s_trap 2
	ds_read_b64 v[8:9], v0
	v_lshl_add_u64 v[12:13], v[12:13], 0, v[34:35]
	s_waitcnt lgkmcnt(0)
	v_cmp_lt_u64_e32 vcc, v[8:9], v[12:13]
	s_and_saveexec_b64 s[56:57], vcc
	s_cbranch_execz .LBB2_718
; %bb.710:                              ;   in Loop: Header=BB2_47 Depth=1
	s_mov_b32 s68, 0
	s_mov_b64 s[58:59], 0
                                        ; implicit-def: $sgpr60_sgpr61
                                        ; implicit-def: $sgpr62_sgpr63
	s_branch .LBB2_712
.LBB2_711:                              ;   in Loop: Header=BB2_712 Depth=2
	s_or_b64 exec, exec, s[66:67]
	s_and_b64 vcc, exec, vcc
	s_or_b64 s[58:59], vcc, s[58:59]
	s_andn2_b64 vcc, s[60:61], exec
	s_and_b64 s[60:61], s[62:63], exec
	s_or_b64 s[60:61], vcc, s[60:61]
	s_andn2_b64 exec, exec, s[58:59]
	s_cbranch_execz .LBB2_716
.LBB2_712:                              ;   Parent Loop BB2_47 Depth=1
                                        ; =>  This Inner Loop Header: Depth=2
	s_add_i32 s68, s68, 1
	s_cmpk_lg_i32 s68, 0x2710
	s_cselect_b64 s[64:65], -1, 0
	s_and_b64 vcc, exec, s[64:65]
                                        ; implicit-def: $sgpr66_sgpr67
	s_cbranch_vccnz .LBB2_714
; %bb.713:                              ;   in Loop: Header=BB2_712 Depth=2
	s_trap 2
	ds_read_b64 v[8:9], v0
	s_andn2_b64 s[64:65], s[64:65], exec
	s_mov_b32 s68, 0
	s_mov_b64 s[66:67], -1
	s_waitcnt vmcnt(0) lgkmcnt(0)
	flat_load_dword v2, v[8:9] sc0 sc1
	s_waitcnt vmcnt(0) lgkmcnt(0)
	buffer_inv sc0 sc1
	v_cmp_eq_u32_e32 vcc, 0, v2
	s_and_b64 vcc, vcc, exec
	s_or_b64 s[64:65], s[64:65], vcc
.LBB2_714:                              ;   in Loop: Header=BB2_712 Depth=2
	s_andn2_b64 s[62:63], s[62:63], exec
	s_and_b64 s[66:67], s[66:67], exec
	s_mov_b64 vcc, -1
	s_or_b64 s[62:63], s[62:63], s[66:67]
	s_and_saveexec_b64 s[66:67], s[64:65]
	s_cbranch_execz .LBB2_711
; %bb.715:                              ;   in Loop: Header=BB2_712 Depth=2
	s_sleep 1
	s_trap 2
	ds_read_b64 v[8:9], v0
	s_andn2_b64 s[62:63], s[62:63], exec
	s_waitcnt lgkmcnt(0)
	v_cmp_ge_u64_e32 vcc, v[8:9], v[12:13]
	s_orn2_b64 vcc, vcc, exec
	s_branch .LBB2_711
.LBB2_716:                              ;   in Loop: Header=BB2_47 Depth=1
	s_or_b64 exec, exec, s[58:59]
	s_and_saveexec_b64 vcc, s[60:61]
	s_xor_b64 vcc, exec, vcc
	s_cbranch_execz .LBB2_718
; %bb.717:                              ;   in Loop: Header=BB2_47 Depth=1
	ds_write_b32 v0, v0
	s_trap 2
.LBB2_718:                              ;   in Loop: Header=BB2_47 Depth=1
	s_or_b64 exec, exec, s[56:57]
	;;#ASMSTART
	s_wakeup
	;;#ASMEND
.LBB2_719:                              ;   in Loop: Header=BB2_47 Depth=1
	s_or_b64 exec, exec, s[30:31]
.LBB2_720:                              ;   in Loop: Header=BB2_47 Depth=1
	s_andn2_saveexec_b64 s[28:29], s[28:29]
	s_cbranch_execz .LBB2_722
; %bb.721:                              ;   in Loop: Header=BB2_47 Depth=1
	;;#ASMSTART
	s_waitcnt lgkmcnt(0) vmcnt(0)
	;;#ASMEND
	s_barrier
.LBB2_722:                              ;   in Loop: Header=BB2_47 Depth=1
	s_or_b64 exec, exec, s[28:29]
	v_and_b32_e32 v2, 16, v62
.LBB2_723:                              ;   in Loop: Header=BB2_47 Depth=1
	s_or_b64 exec, exec, s[26:27]
	v_cmp_ne_u32_e32 vcc, 0, v2
	s_xor_b64 s[26:27], s[10:11], -1
	s_and_b64 s[28:29], vcc, s[26:27]
	s_and_saveexec_b64 s[26:27], s[28:29]
	s_cbranch_execz .LBB2_725
; %bb.724:                              ;   in Loop: Header=BB2_47 Depth=1
	flat_store_dword v[54:55], v0 sc0 sc1
.LBB2_725:                              ;   in Loop: Header=BB2_47 Depth=1
	s_or_b64 exec, exec, s[26:27]
	v_and_b32_e32 v2, 48, v62
	v_cmp_ne_u32_e32 vcc, 0, v2
	s_and_saveexec_b64 s[26:27], vcc
	s_cbranch_execz .LBB2_727
; %bb.726:                              ;   in Loop: Header=BB2_47 Depth=1
	v_lshl_add_u64 v[20:21], v[20:21], 0, 4
	flat_store_dwordx2 v[22:23], v[20:21] sc0 sc1
.LBB2_727:                              ;   in Loop: Header=BB2_47 Depth=1
	s_or_b64 exec, exec, s[26:27]
	v_mov_b32_e32 v5, v16
	s_or_b64 exec, exec, s[54:55]
	s_and_saveexec_b64 s[28:29], s[52:53]
	s_cbranch_execnz .LBB2_485
.LBB2_728:                              ;   in Loop: Header=BB2_47 Depth=1
	s_or_b64 exec, exec, s[28:29]
	s_and_b64 vcc, exec, s[24:25]
	s_cbranch_vccnz .LBB2_982
.LBB2_729:                              ;   in Loop: Header=BB2_47 Depth=1
	s_mov_b32 s68, 1
.LBB2_730:                              ;   Parent Loop BB2_47 Depth=1
                                        ; =>  This Loop Header: Depth=2
                                        ;       Child Loop BB2_743 Depth 3
                                        ;       Child Loop BB2_776 Depth 3
	;; [unrolled: 1-line block ×4, first 2 shown]
                                        ;         Child Loop BB2_871 Depth 4
                                        ;       Child Loop BB2_877 Depth 3
                                        ;         Child Loop BB2_878 Depth 4
                                        ;       Child Loop BB2_887 Depth 3
                                        ;       Child Loop BB2_892 Depth 3
                                        ;         Child Loop BB2_893 Depth 4
                                        ;       Child Loop BB2_905 Depth 3
                                        ;       Child Loop BB2_910 Depth 3
	;; [unrolled: 1-line block ×9, first 2 shown]
	s_sub_i32 s24, s73, s68
	s_cmp_le_i32 s70, s24
	s_cselect_b32 s25, s70, 0
	s_sub_i32 s24, s24, s25
	s_ashr_i32 s25, s24, 31
	v_mul_lo_u32 v1, v56, s25
	v_mul_lo_u32 v2, v57, s24
	v_mad_u64_u32 v[8:9], s[24:25], v56, s24, 0
	v_add3_u32 v9, v9, v1, v2
	v_sub_co_u32_e32 v10, vcc, v58, v8
	s_nop 1
	v_subb_co_u32_e32 v11, vcc, v59, v9, vcc
	v_cmp_lt_i64_e32 vcc, v[56:57], v[10:11]
	s_nop 1
	v_cndmask_b32_e32 v2, v10, v56, vcc
	v_max_i32_e32 v1, 0, v2
	v_add_u32_e32 v5, 15, v1
	v_ashrrev_i32_e32 v10, 31, v5
	v_lshrrev_b32_e32 v10, 28, v10
	v_add_u32_e32 v5, v5, v10
	v_cmp_gt_i32_e32 vcc, 1, v2
	v_and_b32_e32 v5, -16, v5
	s_or_b64 s[30:31], s[2:3], vcc
	v_max_i32_e32 v16, s76, v5
	s_xor_b64 s[24:25], s[30:31], -1
	v_mov_b32_e32 v5, 0
	s_and_saveexec_b64 s[52:53], s[24:25]
	s_cbranch_execz .LBB2_736
; %bb.731:                              ;   in Loop: Header=BB2_730 Depth=2
	s_and_saveexec_b64 s[24:25], s[0:1]
	s_cbranch_execz .LBB2_733
; %bb.732:                              ;   in Loop: Header=BB2_730 Depth=2
	s_trap 2
	ds_read_b128 v[26:29], v0
	v_accvgpr_read_b32 v10, a30
	v_accvgpr_read_b32 v11, a31
	v_lshl_add_u64 v[8:9], v[8:9], 0, v[10:11]
	v_lshlrev_b64 v[8:9], 1, v[8:9]
	s_waitcnt lgkmcnt(0)
	v_lshl_add_u64 v[10:11], v[26:27], 0, v[8:9]
	v_lshl_add_u64 v[8:9], v[28:29], 0, v[8:9]
	v_cmp_ne_u64_e32 vcc, 0, v[28:29]
	ds_write_b64 v0, v[10:11]
	s_nop 0
	v_cndmask_b32_e32 v9, 0, v9, vcc
	v_cndmask_b32_e32 v8, 0, v8, vcc
	ds_write_b64 v0, v[8:9]
.LBB2_733:                              ;   in Loop: Header=BB2_730 Depth=2
	s_or_b64 exec, exec, s[24:25]
	v_and_b32_e32 v2, 12, v62
	v_cmp_ne_u32_e32 vcc, 0, v2
	s_mov_b64 s[26:27], -1
	s_and_saveexec_b64 s[24:25], vcc
	s_cbranch_execz .LBB2_756
; %bb.734:                              ;   in Loop: Header=BB2_730 Depth=2
	v_and_b32_e32 v2, 8, v62
	v_lshl_add_u64 v[10:11], v[32:33], 0, v[2:3]
	v_lshl_add_u64 v[8:9], v[20:21], 0, 4
	v_cmp_lt_u64_e32 vcc, v[10:11], v[8:9]
	v_mov_b32_e32 v5, 1
	s_and_saveexec_b64 s[26:27], vcc
	s_cbranch_execz .LBB2_755
; %bb.735:                              ;   in Loop: Header=BB2_730 Depth=2
	s_mov_b64 s[28:29], 0
	v_mov_b32_e32 v5, 0
                                        ; implicit-def: $sgpr54_sgpr55
	s_branch .LBB2_743
.LBB2_736:                              ;   in Loop: Header=BB2_730 Depth=2
	s_or_b64 exec, exec, s[52:53]
	s_and_saveexec_b64 s[26:27], s[30:31]
	s_cbranch_execz .LBB2_980
.LBB2_737:                              ;   in Loop: Header=BB2_730 Depth=2
	v_and_b32_e32 v2, 12, v62
	v_cmp_ne_u32_e32 vcc, 0, v2
	s_mov_b64 s[28:29], -1
	s_and_saveexec_b64 s[24:25], vcc
	s_cbranch_execz .LBB2_782
; %bb.738:                              ;   in Loop: Header=BB2_730 Depth=2
	v_and_b32_e32 v2, 8, v62
	v_lshl_add_u64 v[10:11], v[32:33], 0, v[2:3]
	v_lshl_add_u64 v[8:9], v[20:21], 0, 4
	v_cmp_lt_u64_e32 vcc, v[10:11], v[8:9]
	v_mov_b32_e32 v10, 1
	s_and_saveexec_b64 s[28:29], vcc
	s_cbranch_execz .LBB2_781
; %bb.739:                              ;   in Loop: Header=BB2_730 Depth=2
	s_mov_b64 s[30:31], 0
	v_mov_b32_e32 v10, 0
                                        ; implicit-def: $sgpr52_sgpr53
	s_branch .LBB2_750
.LBB2_740:                              ;   in Loop: Header=BB2_743 Depth=3
	s_or_b64 exec, exec, s[62:63]
	v_mov_b32_e32 v10, 0
	s_orn2_b64 s[60:61], s[60:61], exec
.LBB2_741:                              ;   in Loop: Header=BB2_743 Depth=3
	s_or_b64 exec, exec, s[58:59]
	s_andn2_b64 vcc, s[54:55], exec
	s_and_b64 s[54:55], s[60:61], exec
	s_or_b64 s[54:55], vcc, s[54:55]
	v_mov_b32_e32 v5, v10
.LBB2_742:                              ;   in Loop: Header=BB2_743 Depth=3
	s_or_b64 exec, exec, s[56:57]
	s_waitcnt vmcnt(0) lgkmcnt(0)
	v_lshl_add_u64 v[10:11], v[32:33], 0, v[2:3]
	v_cmp_ge_u64_e32 vcc, v[10:11], v[8:9]
	s_xor_b64 s[56:57], s[54:55], -1
	s_or_b64 vcc, s[56:57], vcc
	s_and_b64 vcc, exec, vcc
	s_or_b64 s[28:29], vcc, s[28:29]
	s_andn2_b64 exec, exec, s[28:29]
	s_cbranch_execz .LBB2_754
.LBB2_743:                              ;   Parent Loop BB2_47 Depth=1
                                        ;     Parent Loop BB2_730 Depth=2
                                        ; =>    This Inner Loop Header: Depth=3
	s_sleep 1
	flat_load_dwordx2 v[32:33], v[22:23] sc0 sc1
	v_and_b32_e32 v10, 64, v62
	v_cmp_eq_u32_e32 vcc, 0, v10
	s_andn2_b64 s[54:55], s[54:55], exec
	s_and_saveexec_b64 s[56:57], vcc
	s_cbranch_execz .LBB2_742
; %bb.744:                              ;   in Loop: Header=BB2_743 Depth=3
	v_add_u32_e32 v10, 1, v5
	v_cmp_lt_i32_e32 vcc, s72, v5
	s_mov_b64 s[60:61], -1
	s_and_saveexec_b64 s[58:59], vcc
	s_cbranch_execz .LBB2_741
; %bb.745:                              ;   in Loop: Header=BB2_743 Depth=3
	s_trap 2
	ds_read_b64 v[10:11], v0
	s_waitcnt vmcnt(0) lgkmcnt(0)
	flat_load_dword v5, v[10:11] sc0 sc1
	s_waitcnt vmcnt(0) lgkmcnt(0)
	buffer_inv sc0 sc1
	v_cmp_ne_u32_e32 vcc, 0, v5
	s_and_saveexec_b64 s[62:63], vcc
	s_cbranch_execz .LBB2_740
; %bb.746:                              ;   in Loop: Header=BB2_743 Depth=3
	v_or_b32_e32 v62, 64, v62
	s_xor_b64 s[60:61], exec, -1
	ds_write_b32 v0, v5
	s_trap 2
	s_branch .LBB2_740
.LBB2_747:                              ;   in Loop: Header=BB2_750 Depth=3
	s_or_b64 exec, exec, s[60:61]
	v_mov_b32_e32 v11, 0
	s_orn2_b64 s[58:59], s[58:59], exec
.LBB2_748:                              ;   in Loop: Header=BB2_750 Depth=3
	s_or_b64 exec, exec, s[56:57]
	s_andn2_b64 vcc, s[52:53], exec
	s_and_b64 s[52:53], s[58:59], exec
	s_or_b64 s[52:53], vcc, s[52:53]
	v_mov_b32_e32 v10, v11
.LBB2_749:                              ;   in Loop: Header=BB2_750 Depth=3
	s_or_b64 exec, exec, s[54:55]
	s_waitcnt vmcnt(0) lgkmcnt(0)
	v_lshl_add_u64 v[14:15], v[32:33], 0, v[2:3]
	v_cmp_ge_u64_e32 vcc, v[14:15], v[8:9]
	s_xor_b64 s[54:55], s[52:53], -1
	s_or_b64 vcc, s[54:55], vcc
	s_and_b64 vcc, exec, vcc
	s_or_b64 s[30:31], vcc, s[30:31]
	s_andn2_b64 exec, exec, s[30:31]
	s_cbranch_execz .LBB2_780
.LBB2_750:                              ;   Parent Loop BB2_47 Depth=1
                                        ;     Parent Loop BB2_730 Depth=2
                                        ; =>    This Inner Loop Header: Depth=3
	s_sleep 1
	flat_load_dwordx2 v[32:33], v[22:23] sc0 sc1
	v_and_b32_e32 v11, 64, v62
	v_cmp_eq_u32_e32 vcc, 0, v11
	s_andn2_b64 s[52:53], s[52:53], exec
	s_and_saveexec_b64 s[54:55], vcc
	s_cbranch_execz .LBB2_749
; %bb.751:                              ;   in Loop: Header=BB2_750 Depth=3
	v_add_u32_e32 v11, 1, v10
	v_cmp_lt_i32_e32 vcc, s72, v10
	s_mov_b64 s[58:59], -1
	s_and_saveexec_b64 s[56:57], vcc
	s_cbranch_execz .LBB2_748
; %bb.752:                              ;   in Loop: Header=BB2_750 Depth=3
	s_trap 2
	ds_read_b64 v[10:11], v0
	s_waitcnt vmcnt(0) lgkmcnt(0)
	flat_load_dword v10, v[10:11] sc0 sc1
	s_waitcnt vmcnt(0) lgkmcnt(0)
	buffer_inv sc0 sc1
	v_cmp_ne_u32_e32 vcc, 0, v10
	s_and_saveexec_b64 s[60:61], vcc
	s_cbranch_execz .LBB2_747
; %bb.753:                              ;   in Loop: Header=BB2_750 Depth=3
	v_or_b32_e32 v62, 64, v62
	s_xor_b64 s[58:59], exec, -1
	ds_write_b32 v0, v10
	s_trap 2
	s_branch .LBB2_747
.LBB2_754:                              ;   in Loop: Header=BB2_730 Depth=2
	s_or_b64 exec, exec, s[28:29]
	v_and_b32_e32 v5, 12, v62
.LBB2_755:                              ;   in Loop: Header=BB2_730 Depth=2
	s_or_b64 exec, exec, s[26:27]
	v_cmp_eq_u32_e32 vcc, 0, v5
	s_orn2_b64 s[26:27], vcc, exec
	;;#ASMSTART
	s_wakeup
	;;#ASMEND
.LBB2_756:                              ;   in Loop: Header=BB2_730 Depth=2
	s_or_b64 exec, exec, s[24:25]
	s_xor_b64 s[24:25], s[26:27], -1
	v_min_i32_e32 v16, v16, v1
	s_and_saveexec_b64 s[26:27], s[24:25]
	s_cbranch_execz .LBB2_768
; %bb.757:                              ;   in Loop: Header=BB2_730 Depth=2
	v_and_b32_e32 v2, 0x108, v62
	v_cmp_ne_u32_e32 vcc, s80, v2
	v_and_b32_e32 v2, 7, v20
	s_and_saveexec_b64 s[24:25], vcc
	s_xor_b64 s[24:25], exec, s[24:25]
	s_andn2_saveexec_b64 s[24:25], s[24:25]
	s_cbranch_execz .LBB2_759
; %bb.758:                              ;   in Loop: Header=BB2_730 Depth=2
	v_ashrrev_i32_e32 v17, 31, v16
	v_mad_u64_u32 v[8:9], s[28:29], v2, 24, v[6:7]
	v_lshlrev_b64 v[10:11], 1, v[16:17]
	flat_store_dwordx2 v[8:9], v[10:11] offset:8
.LBB2_759:                              ;   in Loop: Header=BB2_730 Depth=2
	s_or_b64 exec, exec, s[24:25]
	v_and_b32_e32 v5, 0x100, v62
	v_cmp_ne_u32_e32 vcc, 0, v5
	s_mov_b64 s[24:25], -1
                                        ; implicit-def: $vgpr8_vgpr9
	s_and_saveexec_b64 s[28:29], vcc
	s_cbranch_execz .LBB2_763
; %bb.760:                              ;   in Loop: Header=BB2_730 Depth=2
	v_mad_u64_u32 v[10:11], s[24:25], v2, 24, v[6:7]
	v_mov_b32_e32 v8, v11
	v_mad_u64_u32 v[8:9], s[24:25], v3, 24, v[8:9]
	v_mov_b32_e32 v11, v8
	flat_load_dword v5, v[10:11]
                                        ; implicit-def: $vgpr8_vgpr9
	s_waitcnt vmcnt(0) lgkmcnt(0)
	v_cmp_ne_u32_e32 vcc, 1, v5
	v_cmp_eq_u32_e64 s[24:25], 1, v5
	s_and_saveexec_b64 s[54:55], s[24:25]
	s_cbranch_execz .LBB2_762
; %bb.761:                              ;   in Loop: Header=BB2_730 Depth=2
	flat_load_dword v8, v[10:11] offset:4 sc0 sc1
	s_waitcnt vmcnt(0) lgkmcnt(0)
	v_ashrrev_i32_e32 v9, 31, v8
	v_lshrrev_b64 v[8:9], 1, v[8:9]
.LBB2_762:                              ;   in Loop: Header=BB2_730 Depth=2
	s_or_b64 exec, exec, s[54:55]
	s_orn2_b64 s[24:25], vcc, exec
.LBB2_763:                              ;   in Loop: Header=BB2_730 Depth=2
	s_or_b64 exec, exec, s[28:29]
	s_and_saveexec_b64 s[28:29], s[24:25]
; %bb.764:                              ;   in Loop: Header=BB2_730 Depth=2
	v_mul_lo_u32 v5, v3, v24
	v_mul_lo_u32 v10, v2, v39
	v_mad_u64_u32 v[8:9], s[24:25], v2, v24, 0
	v_add3_u32 v9, v9, v10, v5
; %bb.765:                              ;   in Loop: Header=BB2_730 Depth=2
	s_or_b64 exec, exec, s[28:29]
	v_and_b32_e32 v2, 0x2000, v62
	v_lshl_add_u64 v[8:9], v[8:9], 1, v[60:61]
	v_cmp_ne_u32_e32 vcc, 0, v2
	s_trap 2
	ds_write_b64 v0, v[8:9]
	s_and_saveexec_b64 s[24:25], vcc
	s_cbranch_execz .LBB2_767
; %bb.766:                              ;   in Loop: Header=BB2_730 Depth=2
	ds_read_b64 v[8:9], v0 offset:584
	s_waitcnt lgkmcnt(0)
	v_lshl_add_u64 v[8:9], v[8:9], 0, 1
	ds_write_b64 v0, v[8:9] offset:584
.LBB2_767:                              ;   in Loop: Header=BB2_730 Depth=2
	s_or_b64 exec, exec, s[24:25]
	v_lshl_add_u64 v[20:21], v[20:21], 0, 4
.LBB2_768:                              ;   in Loop: Header=BB2_730 Depth=2
	s_or_b64 exec, exec, s[26:27]
	s_and_saveexec_b64 s[24:25], s[6:7]
	s_cbranch_execz .LBB2_817
; %bb.769:                              ;   in Loop: Header=BB2_730 Depth=2
	s_and_saveexec_b64 s[26:27], s[40:41]
	s_xor_b64 s[26:27], exec, s[26:27]
	s_cbranch_execz .LBB2_814
; %bb.770:                              ;   in Loop: Header=BB2_730 Depth=2
	s_and_saveexec_b64 s[28:29], s[14:15]
	s_cbranch_execz .LBB2_813
; %bb.771:                              ;   in Loop: Header=BB2_730 Depth=2
	s_mov_b64 s[56:57], exec
	v_mbcnt_lo_u32_b32 v2, s56, 0
	v_mbcnt_hi_u32_b32 v2, s57, v2
	v_cmp_eq_u32_e32 vcc, 0, v2
	s_waitcnt lgkmcnt(0)
	s_and_saveexec_b64 s[54:55], vcc
	s_cbranch_execz .LBB2_773
; %bb.772:                              ;   in Loop: Header=BB2_730 Depth=2
	s_bcnt1_i32_b64 vcc_lo, s[56:57]
	v_mov_b32_e32 v2, vcc_lo
	ds_add_u64 v0, v[2:3]
	s_trap 2
.LBB2_773:                              ;   in Loop: Header=BB2_730 Depth=2
	s_or_b64 exec, exec, s[54:55]
	s_trap 2
	ds_read_b64 v[8:9], v0
	v_lshl_add_u64 v[12:13], v[12:13], 0, v[34:35]
	s_waitcnt lgkmcnt(0)
	v_cmp_lt_u64_e32 vcc, v[8:9], v[12:13]
	s_and_saveexec_b64 s[54:55], vcc
	s_cbranch_execz .LBB2_812
; %bb.774:                              ;   in Loop: Header=BB2_730 Depth=2
	s_mov_b32 s66, 0
	s_mov_b64 s[56:57], 0
                                        ; implicit-def: $sgpr58_sgpr59
                                        ; implicit-def: $sgpr60_sgpr61
	s_branch .LBB2_776
.LBB2_775:                              ;   in Loop: Header=BB2_776 Depth=3
	s_or_b64 exec, exec, s[64:65]
	s_and_b64 vcc, exec, vcc
	s_or_b64 s[56:57], vcc, s[56:57]
	s_andn2_b64 vcc, s[58:59], exec
	s_and_b64 s[58:59], s[60:61], exec
	s_or_b64 s[58:59], vcc, s[58:59]
	s_andn2_b64 exec, exec, s[56:57]
	s_cbranch_execz .LBB2_810
.LBB2_776:                              ;   Parent Loop BB2_47 Depth=1
                                        ;     Parent Loop BB2_730 Depth=2
                                        ; =>    This Inner Loop Header: Depth=3
	s_add_i32 s66, s66, 1
	s_cmpk_lg_i32 s66, 0x2710
	s_cselect_b64 s[62:63], -1, 0
	s_and_b64 vcc, exec, s[62:63]
                                        ; implicit-def: $sgpr64_sgpr65
	s_cbranch_vccnz .LBB2_778
; %bb.777:                              ;   in Loop: Header=BB2_776 Depth=3
	s_trap 2
	ds_read_b64 v[8:9], v0
	s_andn2_b64 s[62:63], s[62:63], exec
	s_mov_b32 s66, 0
	s_mov_b64 s[64:65], -1
	s_waitcnt vmcnt(0) lgkmcnt(0)
	flat_load_dword v2, v[8:9] sc0 sc1
	s_waitcnt vmcnt(0) lgkmcnt(0)
	buffer_inv sc0 sc1
	v_cmp_eq_u32_e32 vcc, 0, v2
	s_and_b64 vcc, vcc, exec
	s_or_b64 s[62:63], s[62:63], vcc
.LBB2_778:                              ;   in Loop: Header=BB2_776 Depth=3
	s_andn2_b64 s[60:61], s[60:61], exec
	s_and_b64 s[64:65], s[64:65], exec
	s_mov_b64 vcc, -1
	s_or_b64 s[60:61], s[60:61], s[64:65]
	s_and_saveexec_b64 s[64:65], s[62:63]
	s_cbranch_execz .LBB2_775
; %bb.779:                              ;   in Loop: Header=BB2_776 Depth=3
	s_sleep 1
	s_trap 2
	ds_read_b64 v[8:9], v0
	s_andn2_b64 s[60:61], s[60:61], exec
	s_waitcnt lgkmcnt(0)
	v_cmp_ge_u64_e32 vcc, v[8:9], v[12:13]
	s_orn2_b64 vcc, vcc, exec
	s_branch .LBB2_775
.LBB2_780:                              ;   in Loop: Header=BB2_730 Depth=2
	s_or_b64 exec, exec, s[30:31]
	v_and_b32_e32 v10, 12, v62
.LBB2_781:                              ;   in Loop: Header=BB2_730 Depth=2
	s_or_b64 exec, exec, s[28:29]
	v_cmp_eq_u32_e32 vcc, 0, v10
	s_orn2_b64 s[28:29], vcc, exec
	;;#ASMSTART
	s_wakeup
	;;#ASMEND
.LBB2_782:                              ;   in Loop: Header=BB2_730 Depth=2
	s_or_b64 exec, exec, s[24:25]
	v_sub_u32_e32 v1, v1, v5
	s_xor_b64 s[24:25], s[28:29], -1
	v_min_i32_e32 v8, v16, v1
	s_and_saveexec_b64 s[28:29], s[24:25]
	s_cbranch_execz .LBB2_798
; %bb.783:                              ;   in Loop: Header=BB2_730 Depth=2
	v_and_b32_e32 v1, 0x108, v62
	v_cmp_ne_u32_e32 vcc, s80, v1
	v_and_b32_e32 v2, 7, v20
	s_and_saveexec_b64 s[24:25], vcc
	s_xor_b64 s[24:25], exec, s[24:25]
	s_andn2_saveexec_b64 s[24:25], s[24:25]
	s_cbranch_execz .LBB2_785
; %bb.784:                              ;   in Loop: Header=BB2_730 Depth=2
	v_ashrrev_i32_e32 v9, 31, v8
	v_mad_u64_u32 v[10:11], vcc, v2, 24, v[6:7]
	v_lshlrev_b64 v[14:15], 1, v[8:9]
	flat_store_dwordx2 v[10:11], v[14:15] offset:8
.LBB2_785:                              ;   in Loop: Header=BB2_730 Depth=2
	s_or_b64 exec, exec, s[24:25]
	v_and_b32_e32 v1, 0x100, v62
	v_cmp_ne_u32_e32 vcc, 0, v1
	s_mov_b64 s[24:25], -1
                                        ; implicit-def: $vgpr10_vgpr11
	s_and_saveexec_b64 s[30:31], vcc
	s_cbranch_execz .LBB2_789
; %bb.786:                              ;   in Loop: Header=BB2_730 Depth=2
	v_mad_u64_u32 v[14:15], s[24:25], v2, 24, v[6:7]
	v_mov_b32_e32 v10, v15
	v_mad_u64_u32 v[10:11], s[24:25], v3, 24, v[10:11]
	v_mov_b32_e32 v15, v10
	flat_load_dword v1, v[14:15]
                                        ; implicit-def: $vgpr10_vgpr11
	s_waitcnt vmcnt(0) lgkmcnt(0)
	v_cmp_ne_u32_e32 vcc, 1, v1
	v_cmp_eq_u32_e64 s[24:25], 1, v1
	s_and_saveexec_b64 s[52:53], s[24:25]
	s_cbranch_execz .LBB2_788
; %bb.787:                              ;   in Loop: Header=BB2_730 Depth=2
	flat_load_dword v10, v[14:15] offset:4 sc0 sc1
	s_waitcnt vmcnt(0) lgkmcnt(0)
	v_ashrrev_i32_e32 v11, 31, v10
	v_lshrrev_b64 v[10:11], 1, v[10:11]
.LBB2_788:                              ;   in Loop: Header=BB2_730 Depth=2
	s_or_b64 exec, exec, s[52:53]
	s_orn2_b64 s[24:25], vcc, exec
.LBB2_789:                              ;   in Loop: Header=BB2_730 Depth=2
	s_or_b64 exec, exec, s[30:31]
	s_and_saveexec_b64 vcc, s[24:25]
; %bb.790:                              ;   in Loop: Header=BB2_730 Depth=2
	v_mul_lo_u32 v1, v3, v24
	v_mul_lo_u32 v5, v2, v39
	v_mad_u64_u32 v[10:11], s[24:25], v2, v24, 0
	v_add3_u32 v11, v11, v5, v1
; %bb.791:                              ;   in Loop: Header=BB2_730 Depth=2
	s_or_b64 exec, exec, vcc
	v_and_b32_e32 v1, 0x2000, v62
	v_lshl_add_u64 v[10:11], v[10:11], 1, v[60:61]
	v_cmp_ne_u32_e32 vcc, 0, v1
	s_trap 2
	ds_write_b64 v0, v[10:11]
	s_and_saveexec_b64 s[24:25], vcc
	s_cbranch_execz .LBB2_793
; %bb.792:                              ;   in Loop: Header=BB2_730 Depth=2
	ds_read_b64 v[10:11], v0 offset:584
	s_waitcnt lgkmcnt(0)
	v_lshl_add_u64 v[10:11], v[10:11], 0, 1
	ds_write_b64 v0, v[10:11] offset:584
.LBB2_793:                              ;   in Loop: Header=BB2_730 Depth=2
	s_or_b64 exec, exec, s[24:25]
	v_lshl_add_u64 v[20:21], v[20:21], 0, 4
	s_or_b64 exec, exec, s[28:29]
	s_and_saveexec_b64 s[24:25], s[6:7]
	s_cbranch_execnz .LBB2_799
.LBB2_794:                              ;   in Loop: Header=BB2_730 Depth=2
	s_or_b64 exec, exec, s[24:25]
                                        ; implicit-def: $vgpr1
	s_and_saveexec_b64 s[24:25], s[22:23]
	s_xor_b64 s[24:25], exec, s[24:25]
	s_cbranch_execz .LBB2_836
.LBB2_795:                              ;   in Loop: Header=BB2_730 Depth=2
	s_trap 2
	ds_read_b32 v2, v0
	v_cmp_lt_i32_e32 vcc, 0, v8
	v_and_b32_e32 v5, 16, v62
	v_and_b32_e32 v1, 16, v62
	s_waitcnt lgkmcnt(0)
	v_readfirstlane_b32 s28, v2
	s_cmp_eq_u32 s28, 0
	s_cselect_b64 s[28:29], -1, 0
	s_and_b64 s[28:29], vcc, s[28:29]
	v_cmp_ne_u32_e32 vcc, 0, v5
	s_and_b64 vcc, vcc, s[28:29]
	s_and_saveexec_b64 s[28:29], vcc
	s_cbranch_execz .LBB2_797
; %bb.796:                              ;   in Loop: Header=BB2_730 Depth=2
	v_mov_b32_e32 v1, 1
	buffer_wbl2 sc1
	s_waitcnt vmcnt(0)
	buffer_inv sc1
.LBB2_797:                              ;   in Loop: Header=BB2_730 Depth=2
	s_or_b64 exec, exec, s[28:29]
	s_andn2_saveexec_b64 s[24:25], s[24:25]
	s_cbranch_execz .LBB2_944
	s_branch .LBB2_837
.LBB2_798:                              ;   in Loop: Header=BB2_730 Depth=2
	s_or_b64 exec, exec, s[28:29]
	s_and_saveexec_b64 s[24:25], s[6:7]
	s_cbranch_execz .LBB2_794
.LBB2_799:                              ;   in Loop: Header=BB2_730 Depth=2
	s_and_saveexec_b64 s[28:29], s[40:41]
	s_xor_b64 s[28:29], exec, s[28:29]
	s_cbranch_execz .LBB2_833
; %bb.800:                              ;   in Loop: Header=BB2_730 Depth=2
	s_and_saveexec_b64 s[30:31], s[14:15]
	s_cbranch_execz .LBB2_832
; %bb.801:                              ;   in Loop: Header=BB2_730 Depth=2
	s_mov_b64 s[54:55], exec
	v_mbcnt_lo_u32_b32 v1, s54, 0
	v_mbcnt_hi_u32_b32 v1, s55, v1
	v_cmp_eq_u32_e32 vcc, 0, v1
	s_waitcnt lgkmcnt(0)
	s_and_saveexec_b64 s[52:53], vcc
	s_cbranch_execz .LBB2_803
; %bb.802:                              ;   in Loop: Header=BB2_730 Depth=2
	s_bcnt1_i32_b64 vcc_lo, s[54:55]
	v_mov_b32_e32 v2, vcc_lo
	ds_add_u64 v0, v[2:3]
	s_trap 2
.LBB2_803:                              ;   in Loop: Header=BB2_730 Depth=2
	s_or_b64 exec, exec, s[52:53]
	s_trap 2
	ds_read_b64 v[10:11], v0
	v_lshl_add_u64 v[12:13], v[12:13], 0, v[34:35]
	s_waitcnt lgkmcnt(0)
	v_cmp_lt_u64_e32 vcc, v[10:11], v[12:13]
	s_and_saveexec_b64 s[52:53], vcc
	s_cbranch_execz .LBB2_831
; %bb.804:                              ;   in Loop: Header=BB2_730 Depth=2
	s_mov_b32 s64, 0
	s_mov_b64 s[54:55], 0
                                        ; implicit-def: $sgpr56_sgpr57
                                        ; implicit-def: $sgpr58_sgpr59
	s_branch .LBB2_806
.LBB2_805:                              ;   in Loop: Header=BB2_806 Depth=3
	s_or_b64 exec, exec, s[62:63]
	s_and_b64 vcc, exec, vcc
	s_or_b64 s[54:55], vcc, s[54:55]
	s_andn2_b64 vcc, s[56:57], exec
	s_and_b64 s[56:57], s[58:59], exec
	s_or_b64 s[56:57], vcc, s[56:57]
	s_andn2_b64 exec, exec, s[54:55]
	s_cbranch_execz .LBB2_829
.LBB2_806:                              ;   Parent Loop BB2_47 Depth=1
                                        ;     Parent Loop BB2_730 Depth=2
                                        ; =>    This Inner Loop Header: Depth=3
	s_add_i32 s64, s64, 1
	s_cmpk_lg_i32 s64, 0x2710
	s_cselect_b64 s[60:61], -1, 0
	s_and_b64 vcc, exec, s[60:61]
                                        ; implicit-def: $sgpr62_sgpr63
	s_cbranch_vccnz .LBB2_808
; %bb.807:                              ;   in Loop: Header=BB2_806 Depth=3
	s_trap 2
	ds_read_b64 v[10:11], v0
	s_andn2_b64 s[60:61], s[60:61], exec
	s_mov_b32 s64, 0
	s_mov_b64 s[62:63], -1
	s_waitcnt vmcnt(0) lgkmcnt(0)
	flat_load_dword v1, v[10:11] sc0 sc1
	s_waitcnt vmcnt(0) lgkmcnt(0)
	buffer_inv sc0 sc1
	v_cmp_eq_u32_e32 vcc, 0, v1
	s_and_b64 vcc, vcc, exec
	s_or_b64 s[60:61], s[60:61], vcc
.LBB2_808:                              ;   in Loop: Header=BB2_806 Depth=3
	s_andn2_b64 s[58:59], s[58:59], exec
	s_and_b64 s[62:63], s[62:63], exec
	s_mov_b64 vcc, -1
	s_or_b64 s[58:59], s[58:59], s[62:63]
	s_and_saveexec_b64 s[62:63], s[60:61]
	s_cbranch_execz .LBB2_805
; %bb.809:                              ;   in Loop: Header=BB2_806 Depth=3
	s_sleep 1
	s_trap 2
	ds_read_b64 v[10:11], v0
	s_andn2_b64 s[58:59], s[58:59], exec
	s_waitcnt lgkmcnt(0)
	v_cmp_ge_u64_e32 vcc, v[10:11], v[12:13]
	s_orn2_b64 vcc, vcc, exec
	s_branch .LBB2_805
.LBB2_810:                              ;   in Loop: Header=BB2_730 Depth=2
	s_or_b64 exec, exec, s[56:57]
	s_and_saveexec_b64 vcc, s[58:59]
	s_xor_b64 vcc, exec, vcc
	s_cbranch_execz .LBB2_812
; %bb.811:                              ;   in Loop: Header=BB2_730 Depth=2
	ds_write_b32 v0, v0
	s_trap 2
.LBB2_812:                              ;   in Loop: Header=BB2_730 Depth=2
	s_or_b64 exec, exec, s[54:55]
	;;#ASMSTART
	s_wakeup
	;;#ASMEND
.LBB2_813:                              ;   in Loop: Header=BB2_730 Depth=2
	s_or_b64 exec, exec, s[28:29]
.LBB2_814:                              ;   in Loop: Header=BB2_730 Depth=2
	s_andn2_saveexec_b64 s[26:27], s[26:27]
	s_cbranch_execz .LBB2_816
; %bb.815:                              ;   in Loop: Header=BB2_730 Depth=2
	s_waitcnt lgkmcnt(0)
	s_barrier
.LBB2_816:                              ;   in Loop: Header=BB2_730 Depth=2
	s_or_b64 exec, exec, s[26:27]
.LBB2_817:                              ;   in Loop: Header=BB2_730 Depth=2
	s_or_b64 exec, exec, s[24:25]
	s_trap 2
	ds_read_b32 v8, v0
	v_and_b32_e32 v2, 0x4000, v62
	v_cmp_ne_u32_e32 vcc, 0, v2
	s_xor_b64 s[24:25], s[4:5], -1
	s_and_b64 s[26:27], s[24:25], vcc
	s_and_saveexec_b64 s[24:25], s[26:27]
	s_cbranch_execz .LBB2_855
; %bb.818:                              ;   in Loop: Header=BB2_730 Depth=2
	s_and_saveexec_b64 s[26:27], s[40:41]
	s_xor_b64 s[26:27], exec, s[26:27]
	s_cbranch_execz .LBB2_852
; %bb.819:                              ;   in Loop: Header=BB2_730 Depth=2
	s_and_saveexec_b64 s[28:29], s[14:15]
	s_cbranch_execz .LBB2_851
; %bb.820:                              ;   in Loop: Header=BB2_730 Depth=2
	s_mov_b64 s[56:57], exec
	v_mbcnt_lo_u32_b32 v2, s56, 0
	v_mbcnt_hi_u32_b32 v2, s57, v2
	v_cmp_eq_u32_e32 vcc, 0, v2
	s_waitcnt lgkmcnt(0)
	s_and_saveexec_b64 s[54:55], vcc
	s_cbranch_execz .LBB2_822
; %bb.821:                              ;   in Loop: Header=BB2_730 Depth=2
	s_bcnt1_i32_b64 vcc_lo, s[56:57]
	v_mov_b32_e32 v2, vcc_lo
	ds_add_u64 v0, v[2:3]
	s_trap 2
.LBB2_822:                              ;   in Loop: Header=BB2_730 Depth=2
	s_or_b64 exec, exec, s[54:55]
	s_trap 2
	ds_read_b64 v[10:11], v0
	v_lshl_add_u64 v[12:13], v[12:13], 0, v[34:35]
	s_waitcnt lgkmcnt(0)
	v_cmp_lt_u64_e32 vcc, v[10:11], v[12:13]
	s_and_saveexec_b64 s[54:55], vcc
	s_cbranch_execz .LBB2_850
; %bb.823:                              ;   in Loop: Header=BB2_730 Depth=2
	s_mov_b32 s66, 0
	s_mov_b64 s[56:57], 0
                                        ; implicit-def: $sgpr58_sgpr59
                                        ; implicit-def: $sgpr60_sgpr61
	s_branch .LBB2_825
.LBB2_824:                              ;   in Loop: Header=BB2_825 Depth=3
	s_or_b64 exec, exec, s[64:65]
	s_and_b64 vcc, exec, vcc
	s_or_b64 s[56:57], vcc, s[56:57]
	s_andn2_b64 vcc, s[58:59], exec
	s_and_b64 s[58:59], s[60:61], exec
	s_or_b64 s[58:59], vcc, s[58:59]
	s_andn2_b64 exec, exec, s[56:57]
	s_cbranch_execz .LBB2_848
.LBB2_825:                              ;   Parent Loop BB2_47 Depth=1
                                        ;     Parent Loop BB2_730 Depth=2
                                        ; =>    This Inner Loop Header: Depth=3
	s_add_i32 s66, s66, 1
	s_cmpk_lg_i32 s66, 0x2710
	s_cselect_b64 s[62:63], -1, 0
	s_and_b64 vcc, exec, s[62:63]
                                        ; implicit-def: $sgpr64_sgpr65
	s_cbranch_vccnz .LBB2_827
; %bb.826:                              ;   in Loop: Header=BB2_825 Depth=3
	s_trap 2
	ds_read_b64 v[10:11], v0
	s_andn2_b64 s[62:63], s[62:63], exec
	s_mov_b32 s66, 0
	s_mov_b64 s[64:65], -1
	s_waitcnt vmcnt(0) lgkmcnt(0)
	flat_load_dword v2, v[10:11] sc0 sc1
	s_waitcnt vmcnt(0) lgkmcnt(0)
	buffer_inv sc0 sc1
	v_cmp_eq_u32_e32 vcc, 0, v2
	s_and_b64 vcc, vcc, exec
	s_or_b64 s[62:63], s[62:63], vcc
.LBB2_827:                              ;   in Loop: Header=BB2_825 Depth=3
	s_andn2_b64 s[60:61], s[60:61], exec
	s_and_b64 s[64:65], s[64:65], exec
	s_mov_b64 vcc, -1
	s_or_b64 s[60:61], s[60:61], s[64:65]
	s_and_saveexec_b64 s[64:65], s[62:63]
	s_cbranch_execz .LBB2_824
; %bb.828:                              ;   in Loop: Header=BB2_825 Depth=3
	s_sleep 1
	s_trap 2
	ds_read_b64 v[10:11], v0
	s_andn2_b64 s[60:61], s[60:61], exec
	s_waitcnt lgkmcnt(0)
	v_cmp_ge_u64_e32 vcc, v[10:11], v[12:13]
	s_orn2_b64 vcc, vcc, exec
	s_branch .LBB2_824
.LBB2_829:                              ;   in Loop: Header=BB2_730 Depth=2
	s_or_b64 exec, exec, s[54:55]
	s_and_saveexec_b64 vcc, s[56:57]
	s_xor_b64 vcc, exec, vcc
	s_cbranch_execz .LBB2_831
; %bb.830:                              ;   in Loop: Header=BB2_730 Depth=2
	ds_write_b32 v0, v0
	s_trap 2
.LBB2_831:                              ;   in Loop: Header=BB2_730 Depth=2
	s_or_b64 exec, exec, s[52:53]
	;;#ASMSTART
	s_wakeup
	;;#ASMEND
.LBB2_832:                              ;   in Loop: Header=BB2_730 Depth=2
	s_or_b64 exec, exec, s[30:31]
.LBB2_833:                              ;   in Loop: Header=BB2_730 Depth=2
	s_andn2_saveexec_b64 s[28:29], s[28:29]
	s_cbranch_execz .LBB2_835
; %bb.834:                              ;   in Loop: Header=BB2_730 Depth=2
	s_waitcnt lgkmcnt(0)
	s_barrier
.LBB2_835:                              ;   in Loop: Header=BB2_730 Depth=2
	s_or_b64 exec, exec, s[28:29]
	s_or_b64 exec, exec, s[24:25]
                                        ; implicit-def: $vgpr1
	s_and_saveexec_b64 s[24:25], s[22:23]
	s_xor_b64 s[24:25], exec, s[24:25]
	s_cbranch_execnz .LBB2_795
.LBB2_836:                              ;   in Loop: Header=BB2_730 Depth=2
	s_andn2_saveexec_b64 s[24:25], s[24:25]
	s_cbranch_execz .LBB2_944
.LBB2_837:                              ;   in Loop: Header=BB2_730 Depth=2
	s_and_saveexec_b64 s[28:29], s[40:41]
	s_xor_b64 s[28:29], exec, s[28:29]
	s_cbranch_execz .LBB2_941
; %bb.838:                              ;   in Loop: Header=BB2_730 Depth=2
	s_and_saveexec_b64 s[30:31], s[14:15]
	s_cbranch_execz .LBB2_940
; %bb.839:                              ;   in Loop: Header=BB2_730 Depth=2
	s_mov_b64 s[54:55], exec
	v_mbcnt_lo_u32_b32 v1, s54, 0
	v_mbcnt_hi_u32_b32 v1, s55, v1
	v_cmp_eq_u32_e32 vcc, 0, v1
	;;#ASMSTART
	s_waitcnt lgkmcnt(0) vmcnt(0)
	;;#ASMEND
	s_and_saveexec_b64 s[52:53], vcc
	s_cbranch_execz .LBB2_841
; %bb.840:                              ;   in Loop: Header=BB2_730 Depth=2
	s_bcnt1_i32_b64 vcc_lo, s[54:55]
	v_mov_b32_e32 v2, vcc_lo
	ds_add_u64 v0, v[2:3]
	s_trap 2
.LBB2_841:                              ;   in Loop: Header=BB2_730 Depth=2
	s_or_b64 exec, exec, s[52:53]
	s_trap 2
	ds_read_b64 v[8:9], v0
	v_lshl_add_u64 v[12:13], v[12:13], 0, v[34:35]
	s_waitcnt lgkmcnt(0)
	v_cmp_lt_u64_e32 vcc, v[8:9], v[12:13]
	s_and_saveexec_b64 s[52:53], vcc
	s_cbranch_execz .LBB2_939
; %bb.842:                              ;   in Loop: Header=BB2_730 Depth=2
	s_mov_b32 s64, 0
	s_mov_b64 s[54:55], 0
                                        ; implicit-def: $sgpr56_sgpr57
                                        ; implicit-def: $sgpr58_sgpr59
	s_branch .LBB2_844
.LBB2_843:                              ;   in Loop: Header=BB2_844 Depth=3
	s_or_b64 exec, exec, s[62:63]
	s_and_b64 vcc, exec, vcc
	s_or_b64 s[54:55], vcc, s[54:55]
	s_andn2_b64 vcc, s[56:57], exec
	s_and_b64 s[56:57], s[58:59], exec
	s_or_b64 s[56:57], vcc, s[56:57]
	s_andn2_b64 exec, exec, s[54:55]
	s_cbranch_execz .LBB2_937
.LBB2_844:                              ;   Parent Loop BB2_47 Depth=1
                                        ;     Parent Loop BB2_730 Depth=2
                                        ; =>    This Inner Loop Header: Depth=3
	s_add_i32 s64, s64, 1
	s_cmpk_lg_i32 s64, 0x2710
	s_cselect_b64 s[60:61], -1, 0
	s_and_b64 vcc, exec, s[60:61]
                                        ; implicit-def: $sgpr62_sgpr63
	s_cbranch_vccnz .LBB2_846
; %bb.845:                              ;   in Loop: Header=BB2_844 Depth=3
	s_trap 2
	ds_read_b64 v[8:9], v0
	s_andn2_b64 s[60:61], s[60:61], exec
	s_mov_b32 s64, 0
	s_mov_b64 s[62:63], -1
	s_waitcnt vmcnt(0) lgkmcnt(0)
	flat_load_dword v1, v[8:9] sc0 sc1
	s_waitcnt vmcnt(0) lgkmcnt(0)
	buffer_inv sc0 sc1
	v_cmp_eq_u32_e32 vcc, 0, v1
	s_and_b64 vcc, vcc, exec
	s_or_b64 s[60:61], s[60:61], vcc
.LBB2_846:                              ;   in Loop: Header=BB2_844 Depth=3
	s_andn2_b64 s[58:59], s[58:59], exec
	s_and_b64 s[62:63], s[62:63], exec
	s_mov_b64 vcc, -1
	s_or_b64 s[58:59], s[58:59], s[62:63]
	s_and_saveexec_b64 s[62:63], s[60:61]
	s_cbranch_execz .LBB2_843
; %bb.847:                              ;   in Loop: Header=BB2_844 Depth=3
	s_sleep 1
	s_trap 2
	ds_read_b64 v[8:9], v0
	s_andn2_b64 s[58:59], s[58:59], exec
	s_waitcnt lgkmcnt(0)
	v_cmp_ge_u64_e32 vcc, v[8:9], v[12:13]
	s_orn2_b64 vcc, vcc, exec
	s_branch .LBB2_843
.LBB2_848:                              ;   in Loop: Header=BB2_730 Depth=2
	s_or_b64 exec, exec, s[56:57]
	s_and_saveexec_b64 vcc, s[58:59]
	s_xor_b64 vcc, exec, vcc
	s_cbranch_execz .LBB2_850
; %bb.849:                              ;   in Loop: Header=BB2_730 Depth=2
	ds_write_b32 v0, v0
	s_trap 2
.LBB2_850:                              ;   in Loop: Header=BB2_730 Depth=2
	s_or_b64 exec, exec, s[54:55]
	;;#ASMSTART
	s_wakeup
	;;#ASMEND
.LBB2_851:                              ;   in Loop: Header=BB2_730 Depth=2
	s_or_b64 exec, exec, s[28:29]
.LBB2_852:                              ;   in Loop: Header=BB2_730 Depth=2
	s_andn2_saveexec_b64 s[26:27], s[26:27]
	s_cbranch_execz .LBB2_854
; %bb.853:                              ;   in Loop: Header=BB2_730 Depth=2
	s_waitcnt lgkmcnt(0)
	s_barrier
.LBB2_854:                              ;   in Loop: Header=BB2_730 Depth=2
	s_or_b64 exec, exec, s[26:27]
.LBB2_855:                              ;   in Loop: Header=BB2_730 Depth=2
	s_or_b64 exec, exec, s[24:25]
	s_trap 2
	ds_read_b64 v[10:11], v0
	s_waitcnt lgkmcnt(0)
	v_readfirstlane_b32 s24, v10
	v_readfirstlane_b32 s25, v11
	s_cmp_eq_u64 s[24:25], 0
	s_cselect_b64 s[24:25], -1, 0
	s_or_b64 s[26:27], s[24:25], s[24:25]
	s_mov_b64 s[24:25], 0
	s_and_b64 vcc, exec, s[26:27]
	s_cbranch_vccnz .LBB2_863
; %bb.856:                              ;   in Loop: Header=BB2_730 Depth=2
	s_trap 2
	ds_read_b64 v[10:11], v0
	v_cmp_eq_u32_e32 vcc, 0, v8
	s_mov_b64 s[24:25], -1
	s_nop 0
	v_cndmask_b32_e32 v2, 0, v16, vcc
	s_waitcnt lgkmcnt(0)
	v_cmp_ne_u64_e32 vcc, 0, v[10:11]
	v_lshlrev_b32_e32 v17, 1, v2
	s_cbranch_vccz .LBB2_896
; %bb.857:                              ;   in Loop: Header=BB2_730 Depth=2
	s_and_saveexec_b64 s[26:27], s[18:19]
	s_cbranch_execz .LBB2_859
; %bb.858:                              ;   in Loop: Header=BB2_730 Depth=2
	ds_read_b32 v5, v0 offset:720
	s_waitcnt lgkmcnt(0)
	v_and_b32_e32 v5, 15, v5
	v_cmp_eq_u32_e32 vcc, 0, v5
	s_orn2_b64 s[24:25], vcc, exec
.LBB2_859:                              ;   in Loop: Header=BB2_730 Depth=2
	s_or_b64 exec, exec, s[26:27]
	s_and_saveexec_b64 s[26:27], s[20:21]
	s_cbranch_execz .LBB2_861
; %bb.860:                              ;   in Loop: Header=BB2_730 Depth=2
	ds_read_b32 v5, v0 offset:784
	s_waitcnt lgkmcnt(0)
	v_and_b32_e32 v5, 15, v5
	v_cmp_eq_u32_e32 vcc, 0, v5
	s_and_b64 s[28:29], s[24:25], vcc
	s_andn2_b64 s[24:25], s[24:25], exec
	s_and_b64 s[28:29], s[28:29], exec
	s_or_b64 s[24:25], s[24:25], s[28:29]
.LBB2_861:                              ;   in Loop: Header=BB2_730 Depth=2
	s_or_b64 exec, exec, s[26:27]
	s_xor_b64 s[24:25], s[24:25], -1
	v_cndmask_b32_e64 v5, 0, 1, s[24:25]
	s_mov_b64 s[26:27], -1
	;;#ASMSTART
	;;#ASMEND
	v_mov_b32_e32 v18, 0
	v_cmp_ne_u32_e32 vcc, 0, v5
	v_mov_b32_e32 v19, v17
	v_mov_b32_e32 v30, v48
	;; [unrolled: 1-line block ×3, first 2 shown]
	s_cbranch_vccz .LBB2_868
; %bb.862:                              ;   in Loop: Header=BB2_730 Depth=2
	s_and_saveexec_b64 s[28:29], s[26:27]
	s_cbranch_execnz .LBB2_885
	s_branch .LBB2_895
.LBB2_863:                              ;   in Loop: Header=BB2_730 Depth=2
	s_and_saveexec_b64 s[26:27], s[6:7]
	s_cbranch_execnz .LBB2_926
.LBB2_864:                              ;   in Loop: Header=BB2_730 Depth=2
	s_or_b64 exec, exec, s[26:27]
                                        ; implicit-def: $vgpr2
	s_and_saveexec_b64 s[26:27], s[22:23]
	s_xor_b64 s[26:27], exec, s[26:27]
	s_cbranch_execz .LBB2_956
.LBB2_865:                              ;   in Loop: Header=BB2_730 Depth=2
	v_and_b32_e32 v5, 16, v62
	v_cmp_ne_u32_e32 vcc, 0, v5
	v_and_b32_e32 v2, 16, v62
	s_and_b64 s[28:29], vcc, s[24:25]
	s_and_saveexec_b64 s[24:25], s[28:29]
	s_cbranch_execz .LBB2_867
; %bb.866:                              ;   in Loop: Header=BB2_730 Depth=2
	v_mov_b32_e32 v2, 1
	buffer_wbl2 sc1
	s_waitcnt vmcnt(0) lgkmcnt(0)
	buffer_inv sc1
.LBB2_867:                              ;   in Loop: Header=BB2_730 Depth=2
	s_or_b64 exec, exec, s[24:25]
	s_andn2_saveexec_b64 s[24:25], s[26:27]
	s_cbranch_execz .LBB2_975
	s_branch .LBB2_957
.LBB2_868:                              ;   in Loop: Header=BB2_730 Depth=2
	v_ashrrev_i32_e32 v5, 31, v17
	v_lshrrev_b32_e32 v5, 22, v5
	v_accvgpr_read_b32 v8, a16
	v_add_u32_e32 v5, v17, v5
	v_sub_u32_e32 v37, v17, v8
	v_ashrrev_i32_e32 v8, 10, v5
	v_and_b32_e32 v5, 0xfffffc00, v5
	v_accvgpr_read_b32 v9, a17
	v_sub_u32_e32 v36, v17, v5
	v_cmp_lt_i32_e64 s[24:25], 15, v36
	v_accvgpr_read_b32 v9, a27
	s_nop 0
	v_addc_co_u32_e64 v25, vcc, v8, v9, s[24:25]
	v_cmp_lt_i32_e32 vcc, 15, v37
	s_and_saveexec_b64 s[54:55], vcc
	s_cbranch_execz .LBB2_874
; %bb.869:                              ;   in Loop: Header=BB2_730 Depth=2
	s_trap 2
	ds_read_b64 v[14:15], v0
	ds_read_b128 v[8:11], v0
	v_accvgpr_read_b32 v27, a17
	v_accvgpr_read_b32 v26, a16
	s_mov_b64 s[56:57], 0
	s_waitcnt lgkmcnt(0)
	v_lshl_add_u64 v[18:19], v[14:15], 0, v[26:27]
	v_lshl_add_u64 v[14:15], v[8:9], 0, v[26:27]
	;; [unrolled: 1-line block ×3, first 2 shown]
.LBB2_870:                              ;   Parent Loop BB2_47 Depth=1
                                        ;     Parent Loop BB2_730 Depth=2
                                        ; =>    This Loop Header: Depth=3
                                        ;         Child Loop BB2_871 Depth 4
	global_load_dwordx4 v[8:11], v[18:19], off nt
	s_mov_b64 s[60:61], -1
	s_mov_b64 s[58:59], 0
	s_waitcnt vmcnt(0)
.LBB2_871:                              ;   Parent Loop BB2_47 Depth=1
                                        ;     Parent Loop BB2_730 Depth=2
                                        ;       Parent Loop BB2_870 Depth=3
                                        ; =>      This Inner Loop Header: Depth=4
	s_cmp_eq_u32 s58, 0
	s_cselect_b64 s[26:27], -1, 0
	s_cmp_eq_u32 s58, 1
	v_cndmask_b32_e64 v26, 0, 1, s[60:61]
	s_cselect_b64 s[28:29], -1, 0
	v_cmp_ne_u32_e32 vcc, 1, v26
	v_cndmask_b32_e64 v27, v15, v31, s[28:29]
	v_cndmask_b32_e64 v26, v14, v30, s[28:29]
	global_store_dwordx4 v[26:27], v[8:11], off nt
	v_lshl_add_u64 v[26:27], v[26:27], 0, s[42:43]
	s_mov_b64 s[60:61], 0
	s_mov_b64 s[58:59], 1
	s_and_b64 vcc, exec, vcc
	v_cndmask_b32_e64 v31, v31, v27, s[28:29]
	v_cndmask_b32_e64 v30, v30, v26, s[28:29]
	;; [unrolled: 1-line block ×4, first 2 shown]
	s_cbranch_vccz .LBB2_871
; %bb.872:                              ;   in Loop: Header=BB2_870 Depth=3
	v_sub_u32_e32 v37, v37, v49
	v_cmp_gt_i32_e32 vcc, 16, v37
	v_lshl_add_u64 v[14:15], v[14:15], 0, v[50:51]
	v_lshl_add_u64 v[30:31], v[30:31], 0, v[50:51]
	;; [unrolled: 1-line block ×3, first 2 shown]
	s_or_b64 s[56:57], vcc, s[56:57]
	v_sub_u32_e32 v25, v25, v34
	s_andn2_b64 exec, exec, s[56:57]
	s_cbranch_execnz .LBB2_870
; %bb.873:                              ;   in Loop: Header=BB2_730 Depth=2
	s_or_b64 exec, exec, s[56:57]
.LBB2_874:                              ;   in Loop: Header=BB2_730 Depth=2
	s_or_b64 exec, exec, s[54:55]
	v_and_b32_e32 v9, 14, v17
	v_cndmask_b32_e64 v37, v36, v9, s[24:25]
	v_cmp_ne_u32_e32 vcc, 0, v37
	s_mov_b64 s[26:27], 0
	v_mov_b32_e32 v18, 0
                                        ; implicit-def: $vgpr19
                                        ; implicit-def: $vgpr30
                                        ; implicit-def: $vgpr8
	s_and_saveexec_b64 s[54:55], vcc
	s_cbranch_execz .LBB2_884
; %bb.875:                              ;   in Loop: Header=BB2_730 Depth=2
	v_sub_u32_e32 v8, v36, v9
	v_cndmask_b32_e64 v8, 0, v8, s[24:25]
	v_cmp_lt_i32_e32 vcc, 0, v25
	v_add_u32_e32 v36, v8, v5
	v_accvgpr_read_b32 v8, a26
	v_cndmask_b32_e32 v5, 0, v34, vcc
	v_sub_u32_e32 v5, v5, v25
	v_lshl_add_u32 v5, v5, 6, v8
	v_ashrrev_i32_e32 v8, 31, v5
	v_lshrrev_b32_e32 v8, 26, v8
	v_ashrrev_i32_e32 v10, 31, v37
	v_add_u32_e32 v8, v5, v8
	v_lshrrev_b32_e32 v10, 22, v10
	v_ashrrev_i32_e32 v9, 6, v8
	v_and_b32_e32 v8, 0xffffffc0, v8
	v_add_u32_e32 v10, v37, v10
	v_sub_u32_e32 v5, v5, v8
	v_and_b32_e32 v46, 0xfffffc00, v10
	v_lshlrev_b32_e32 v8, 4, v5
	v_sub_u32_e32 v25, v37, v46
	v_lshl_add_u32 v8, v9, 10, v8
	v_ashrrev_i32_e32 v11, 10, v10
	v_cmp_lt_i32_e64 s[24:25], 15, v25
	v_mov_b32_e32 v38, v48
	v_sub_u32_e32 v48, v37, v8
	v_addc_co_u32_e64 v10, vcc, 0, v11, s[24:25]
	v_sub_u32_e32 v47, v10, v9
	v_cmp_lt_i32_e32 vcc, 15, v48
	s_and_saveexec_b64 s[56:57], vcc
	s_cbranch_execz .LBB2_881
; %bb.876:                              ;   in Loop: Header=BB2_730 Depth=2
	s_trap 2
	ds_read_b64 v[10:11], v0
	ds_read_b128 v[26:29], v0
	v_add_u32_e32 v8, v8, v36
	v_ashrrev_i32_e32 v9, 31, v8
	s_mov_b64 s[58:59], 0
	s_waitcnt lgkmcnt(0)
	v_lshl_add_u64 v[18:19], v[10:11], 0, v[8:9]
	v_lshl_add_u64 v[14:15], v[26:27], 0, v[8:9]
	;; [unrolled: 1-line block ×3, first 2 shown]
.LBB2_877:                              ;   Parent Loop BB2_47 Depth=1
                                        ;     Parent Loop BB2_730 Depth=2
                                        ; =>    This Loop Header: Depth=3
                                        ;         Child Loop BB2_878 Depth 4
	global_load_dwordx4 v[8:11], v[18:19], off nt
	s_mov_b64 s[62:63], -1
	s_mov_b64 s[60:61], 0
	s_waitcnt vmcnt(0)
.LBB2_878:                              ;   Parent Loop BB2_47 Depth=1
                                        ;     Parent Loop BB2_730 Depth=2
                                        ;       Parent Loop BB2_877 Depth=3
                                        ; =>      This Inner Loop Header: Depth=4
	s_cmp_eq_u32 s60, 0
	s_cselect_b64 s[26:27], -1, 0
	s_cmp_eq_u32 s60, 1
	v_cndmask_b32_e64 v26, 0, 1, s[62:63]
	s_cselect_b64 s[28:29], -1, 0
	v_cmp_ne_u32_e32 vcc, 1, v26
	v_cndmask_b32_e64 v27, v15, v31, s[28:29]
	v_cndmask_b32_e64 v26, v14, v30, s[28:29]
	global_store_dwordx4 v[26:27], v[8:11], off nt
	v_lshl_add_u64 v[26:27], v[26:27], 0, s[42:43]
	s_mov_b64 s[62:63], 0
	s_mov_b64 s[60:61], 1
	s_and_b64 vcc, exec, vcc
	v_cndmask_b32_e64 v31, v31, v27, s[28:29]
	v_cndmask_b32_e64 v30, v30, v26, s[28:29]
	;; [unrolled: 1-line block ×4, first 2 shown]
	s_cbranch_vccz .LBB2_878
; %bb.879:                              ;   in Loop: Header=BB2_877 Depth=3
	v_sub_u32_e32 v48, v48, v49
	v_cmp_gt_i32_e32 vcc, 16, v48
	v_lshl_add_u64 v[14:15], v[14:15], 0, v[50:51]
	v_lshl_add_u64 v[30:31], v[30:31], 0, v[50:51]
	;; [unrolled: 1-line block ×3, first 2 shown]
	s_or_b64 s[58:59], vcc, s[58:59]
	v_sub_u32_e32 v47, v47, v34
	s_andn2_b64 exec, exec, s[58:59]
	s_cbranch_execnz .LBB2_877
; %bb.880:                              ;   in Loop: Header=BB2_730 Depth=2
	s_or_b64 exec, exec, s[58:59]
.LBB2_881:                              ;   in Loop: Header=BB2_730 Depth=2
	s_or_b64 exec, exec, s[56:57]
	v_and_b32_e32 v9, 14, v37
	v_cndmask_b32_e64 v19, v25, v9, s[24:25]
	s_mov_b64 s[26:27], 0
	v_mov_b32_e32 v18, 0
	v_cmp_ne_u32_e32 vcc, 0, v19
                                        ; implicit-def: $vgpr30
                                        ; implicit-def: $vgpr8
	s_mov_b64 s[28:29], exec
	s_and_b64 vcc, s[28:29], vcc
	v_mov_b32_e32 v48, v38
	s_mov_b64 exec, vcc
	s_cbranch_execz .LBB2_883
; %bb.882:                              ;   in Loop: Header=BB2_730 Depth=2
	v_sub_u32_e32 v8, v25, v9
	v_cndmask_b32_e64 v8, 0, v8, s[24:25]
	v_cmp_lt_i32_e32 vcc, 0, v47
	v_add3_u32 v18, v46, v36, v8
	s_mov_b64 s[26:27], exec
	v_cndmask_b32_e32 v8, 0, v34, vcc
	v_sub_u32_e32 v8, v8, v47
	v_lshl_add_u32 v30, v8, 6, v5
	v_ashrrev_i32_e32 v5, 31, v30
	v_lshrrev_b32_e32 v5, 26, v5
	v_add_u32_e32 v5, v30, v5
	v_ashrrev_i32_e32 v8, 6, v5
.LBB2_883:                              ;   in Loop: Header=BB2_730 Depth=2
	s_or_b64 exec, exec, s[28:29]
	s_and_b64 s[26:27], s[26:27], exec
	v_accvgpr_read_b32 v39, a15
	v_accvgpr_read_b32 v47, a14
.LBB2_884:                              ;   in Loop: Header=BB2_730 Depth=2
	s_or_b64 exec, exec, s[54:55]
	v_accvgpr_read_b32 v37, a23
	v_accvgpr_read_b32 v36, a22
	s_and_saveexec_b64 s[28:29], s[26:27]
	s_cbranch_execz .LBB2_895
.LBB2_885:                              ;   in Loop: Header=BB2_730 Depth=2
	v_ashrrev_i32_e32 v5, 31, v19
	v_lshrrev_b32_e32 v5, 23, v5
	v_add_u32_e32 v5, v19, v5
	v_ashrrev_i32_e32 v31, 9, v5
	v_sub_u32_e32 v5, v31, v8
	v_ashrrev_i32_e32 v9, 31, v30
	v_cmp_lt_i32_e32 vcc, 0, v5
	v_lshrrev_b32_e32 v25, 26, v9
	s_and_saveexec_b64 s[24:25], vcc
	s_cbranch_execz .LBB2_889
; %bb.886:                              ;   in Loop: Header=BB2_730 Depth=2
	v_add_u32_e32 v9, v30, v25
	s_trap 2
	v_and_b32_e32 v9, 0x7fffffc0, v9
	ds_read_b64 v[10:11], v0
	ds_read_b128 v[26:29], v0
	v_sub_u32_e32 v9, v30, v9
	v_lshlrev_b32_e32 v9, 1, v9
	v_lshlrev_b32_e32 v8, 9, v8
	v_add3_u32 v14, v9, v18, v8
	v_ashrrev_i32_e32 v15, 31, v14
	s_waitcnt lgkmcnt(0)
	v_lshl_add_u64 v[8:9], v[10:11], 0, v[14:15]
	v_lshl_add_u64 v[10:11], v[26:27], 0, v[14:15]
	;; [unrolled: 1-line block ×3, first 2 shown]
	s_mov_b64 s[26:27], 0
.LBB2_887:                              ;   Parent Loop BB2_47 Depth=1
                                        ;     Parent Loop BB2_730 Depth=2
                                        ; =>    This Inner Loop Header: Depth=3
	flat_load_ushort v26, v[8:9] nt
	flat_load_ushort v27, v[8:9] offset:128 nt
	flat_load_ushort v28, v[8:9] offset:256 nt
	;; [unrolled: 1-line block ×3, first 2 shown]
	v_sub_u32_e32 v5, v5, v34
	v_cmp_gt_i32_e32 vcc, 1, v5
	v_lshl_add_u64 v[8:9], v[8:9], 0, v[40:41]
	s_or_b64 s[26:27], vcc, s[26:27]
	s_waitcnt vmcnt(0) lgkmcnt(0)
	flat_store_short v[10:11], v26 nt
	flat_store_short v[10:11], v27 offset:128 nt
	flat_store_short v[10:11], v28 offset:256 nt
	;; [unrolled: 1-line block ×3, first 2 shown]
	flat_store_short v[14:15], v26 nt
	flat_store_short v[14:15], v27 offset:128 nt
	flat_store_short v[14:15], v28 offset:256 nt
	;; [unrolled: 1-line block ×3, first 2 shown]
	v_lshl_add_u64 v[10:11], v[10:11], 0, v[40:41]
	v_lshl_add_u64 v[14:15], v[14:15], 0, v[40:41]
	s_andn2_b64 exec, exec, s[26:27]
	s_cbranch_execnz .LBB2_887
; %bb.888:                              ;   in Loop: Header=BB2_730 Depth=2
	s_or_b64 exec, exec, s[26:27]
.LBB2_889:                              ;   in Loop: Header=BB2_730 Depth=2
	s_or_b64 exec, exec, s[24:25]
	v_lshlrev_b32_e32 v8, 9, v31
	v_cmp_ne_u32_e32 vcc, v19, v8
	s_and_b64 exec, exec, vcc
	s_cbranch_execz .LBB2_895
; %bb.890:                              ;   in Loop: Header=BB2_730 Depth=2
	v_add_u32_e32 v9, v30, v25
	v_and_b32_e32 v9, 0xffffffc0, v9
	v_sub_u32_e32 v9, v30, v9
	v_lshlrev_b32_e32 v5, 6, v5
	v_sub_u32_e32 v5, v9, v5
	v_ashrrev_i32_e32 v9, 31, v5
	v_lshrrev_b32_e32 v9, 26, v9
	v_add_u32_e32 v9, v5, v9
	v_and_b32_e32 v10, 0x7fffffc0, v9
	v_sub_u32_e32 v5, v5, v10
	v_lshlrev_b32_e32 v9, 1, v9
	v_and_b32_e32 v9, 0xffffff80, v9
	v_lshlrev_b32_e32 v5, 1, v5
	v_add3_u32 v8, v9, v5, v8
	v_sub_u32_e32 v5, v19, v8
	v_cmp_lt_i32_e32 vcc, 1, v5
	s_and_b64 exec, exec, vcc
	s_cbranch_execz .LBB2_895
; %bb.891:                              ;   in Loop: Header=BB2_730 Depth=2
	s_trap 2
	ds_read_b64 v[10:11], v0
	ds_read_b128 v[26:29], v0
	v_add_u32_e32 v14, v8, v18
	v_ashrrev_i32_e32 v15, 31, v14
	s_mov_b64 s[54:55], 0
	s_waitcnt lgkmcnt(0)
	v_lshl_add_u64 v[8:9], v[10:11], 0, v[14:15]
	v_lshl_add_u64 v[10:11], v[26:27], 0, v[14:15]
	;; [unrolled: 1-line block ×3, first 2 shown]
.LBB2_892:                              ;   Parent Loop BB2_47 Depth=1
                                        ;     Parent Loop BB2_730 Depth=2
                                        ; =>    This Loop Header: Depth=3
                                        ;         Child Loop BB2_893 Depth 4
	flat_load_ushort v18, v[8:9] nt
	s_mov_b64 s[58:59], -1
	s_mov_b64 s[56:57], 0
	s_waitcnt vmcnt(0)
.LBB2_893:                              ;   Parent Loop BB2_47 Depth=1
                                        ;     Parent Loop BB2_730 Depth=2
                                        ;       Parent Loop BB2_892 Depth=3
                                        ; =>      This Inner Loop Header: Depth=4
	s_cmp_eq_u32 s56, 0
	s_cselect_b64 s[24:25], -1, 0
	s_cmp_eq_u32 s56, 1
	s_cselect_b64 s[26:27], -1, 0
	v_cndmask_b32_e64 v19, 0, 1, s[58:59]
	v_cndmask_b32_e64 v27, v11, v15, s[26:27]
	;; [unrolled: 1-line block ×3, first 2 shown]
	v_cmp_ne_u32_e32 vcc, 1, v19
	s_waitcnt lgkmcnt(0)
	flat_store_short v[26:27], v18 nt
	v_lshl_add_u64 v[26:27], v[26:27], 0, s[44:45]
	s_mov_b64 s[58:59], 0
	s_mov_b64 s[56:57], 1
	s_and_b64 vcc, exec, vcc
	v_cndmask_b32_e64 v15, v15, v27, s[26:27]
	v_cndmask_b32_e64 v14, v14, v26, s[26:27]
	;; [unrolled: 1-line block ×4, first 2 shown]
	s_cbranch_vccz .LBB2_893
; %bb.894:                              ;   in Loop: Header=BB2_892 Depth=3
	v_sub_u32_e32 v5, v5, v4
	v_cmp_gt_i32_e32 vcc, 2, v5
	v_lshl_add_u64 v[10:11], v[10:11], 0, v[36:37]
	v_lshl_add_u64 v[14:15], v[14:15], 0, v[36:37]
	s_or_b64 s[54:55], vcc, s[54:55]
	v_lshl_add_u64 v[8:9], v[44:45], 0, v[8:9]
	s_andn2_b64 exec, exec, s[54:55]
	s_cbranch_execnz .LBB2_892
.LBB2_895:                              ;   in Loop: Header=BB2_730 Depth=2
	s_or_b64 exec, exec, s[28:29]
	s_mov_b64 s[24:25], 0
.LBB2_896:                              ;   in Loop: Header=BB2_730 Depth=2
	s_and_b64 vcc, exec, s[24:25]
	s_cbranch_vccz .LBB2_925
; %bb.897:                              ;   in Loop: Header=BB2_730 Depth=2
	s_mov_b64 s[24:25], -1
	s_and_saveexec_b64 s[26:27], s[18:19]
	s_cbranch_execz .LBB2_899
; %bb.898:                              ;   in Loop: Header=BB2_730 Depth=2
	ds_read_b32 v5, v0 offset:720
	s_waitcnt lgkmcnt(0)
	v_and_b32_e32 v5, 15, v5
	v_cmp_eq_u32_e32 vcc, 0, v5
	s_orn2_b64 s[24:25], vcc, exec
.LBB2_899:                              ;   in Loop: Header=BB2_730 Depth=2
	s_or_b64 exec, exec, s[26:27]
	s_and_saveexec_b64 s[26:27], s[16:17]
	s_cbranch_execz .LBB2_901
; %bb.900:                              ;   in Loop: Header=BB2_730 Depth=2
	ds_read_b32 v5, v0 offset:784
	s_waitcnt lgkmcnt(0)
	v_and_b32_e32 v5, 15, v5
	v_cmp_eq_u32_e32 vcc, 0, v5
	s_and_b64 s[28:29], s[24:25], vcc
	s_andn2_b64 s[24:25], s[24:25], exec
	s_and_b64 s[28:29], s[28:29], exec
	s_or_b64 s[24:25], s[24:25], s[28:29]
.LBB2_901:                              ;   in Loop: Header=BB2_730 Depth=2
	s_or_b64 exec, exec, s[26:27]
	s_xor_b64 s[24:25], s[24:25], -1
	v_cndmask_b32_e64 v5, 0, 1, s[24:25]
	;;#ASMSTART
	;;#ASMEND
	s_mov_b64 s[28:29], -1
	v_cmp_ne_u32_e32 vcc, 0, v5
	v_mov_b32_e32 v5, 0
	s_cbranch_vccz .LBB2_903
; %bb.902:                              ;   in Loop: Header=BB2_730 Depth=2
	v_mov_b32_e32 v18, v48
	v_mov_b32_e32 v10, v47
	s_and_saveexec_b64 s[24:25], s[28:29]
	s_cbranch_execnz .LBB2_916
	s_branch .LBB2_924
.LBB2_903:                              ;   in Loop: Header=BB2_730 Depth=2
	v_ashrrev_i32_e32 v5, 31, v17
	v_lshrrev_b32_e32 v5, 21, v5
	v_add_u32_e32 v5, v17, v5
	v_ashrrev_i32_e32 v5, 11, v5
	v_sub_u32_e32 v15, v5, v47
	v_cmp_lt_i32_e32 vcc, 0, v15
	s_and_saveexec_b64 s[24:25], vcc
	s_cbranch_execz .LBB2_907
; %bb.904:                              ;   in Loop: Header=BB2_730 Depth=2
	s_trap 2
	ds_read_b64 v[8:9], v0
	v_accvgpr_read_b32 v10, a28
	v_accvgpr_read_b32 v31, a25
	s_mov_b64 s[26:27], 0
	v_accvgpr_read_b32 v11, a29
	v_accvgpr_read_b32 v30, a24
.LBB2_905:                              ;   Parent Loop BB2_47 Depth=1
                                        ;     Parent Loop BB2_730 Depth=2
                                        ; =>    This Inner Loop Header: Depth=3
	s_waitcnt lgkmcnt(0)
	v_lshl_add_u64 v[18:19], v[8:9], 0, v[10:11]
	global_load_dwordx4 v[26:29], v[18:19], off nt
	global_load_dwordx4 v[36:39], v[18:19], off offset:1024 nt
	v_sub_u32_e32 v15, v15, v34
	v_cmp_gt_i32_e32 vcc, 1, v15
	v_lshl_add_u64 v[10:11], v[10:11], 0, v[30:31]
	s_or_b64 s[26:27], vcc, s[26:27]
	s_waitcnt vmcnt(0)
	global_store_dwordx4 v[18:19], v[26:29], off nt
	global_store_dwordx4 v[18:19], v[36:39], off offset:1024 nt
	s_andn2_b64 exec, exec, s[26:27]
	s_cbranch_execnz .LBB2_905
; %bb.906:                              ;   in Loop: Header=BB2_730 Depth=2
	s_or_b64 exec, exec, s[26:27]
	v_accvgpr_read_b32 v37, a23
	v_accvgpr_read_b32 v39, a15
	;; [unrolled: 1-line block ×3, first 2 shown]
.LBB2_907:                              ;   in Loop: Header=BB2_730 Depth=2
	s_or_b64 exec, exec, s[24:25]
	v_lshlrev_b32_e32 v14, 11, v5
	v_cmp_ne_u32_e32 vcc, v17, v14
	s_mov_b64 s[28:29], 0
	v_mov_b32_e32 v5, 0
                                        ; implicit-def: $vgpr18
                                        ; implicit-def: $vgpr10
	s_and_saveexec_b64 s[26:27], vcc
	s_cbranch_execz .LBB2_915
; %bb.908:                              ;   in Loop: Header=BB2_730 Depth=2
	v_lshlrev_b32_e32 v5, 6, v15
	v_accvgpr_read_b32 v9, a26
	v_sub_u32_e32 v5, v9, v5
	v_ashrrev_i32_e32 v9, 31, v5
	v_lshrrev_b32_e32 v9, 26, v9
	v_add_u32_e32 v9, v5, v9
	v_sub_u32_e32 v8, v17, v14
	v_ashrrev_i32_e32 v11, 6, v9
	v_and_b32_e32 v9, 0xffffffc0, v9
	v_sub_u32_e32 v15, v5, v9
	v_ashrrev_i32_e32 v9, 31, v8
	v_lshrrev_b32_e32 v9, 22, v9
	v_add_u32_e32 v9, v8, v9
	v_and_b32_e32 v19, 0xfffffc00, v9
	v_lshlrev_b32_e32 v5, 4, v15
	v_sub_u32_e32 v30, v8, v19
	v_lshl_add_u32 v10, v11, 10, v5
	v_ashrrev_i32_e32 v18, 10, v9
	v_cmp_lt_i32_e32 vcc, 15, v30
	v_sub_u32_e32 v5, v8, v10
	s_nop 0
	v_addc_co_u32_e64 v8, s[24:25], 0, v18, vcc
	v_sub_u32_e32 v25, v8, v11
	v_cmp_lt_i32_e64 s[24:25], 15, v5
	s_and_saveexec_b64 s[28:29], s[24:25]
	s_cbranch_execz .LBB2_912
; %bb.909:                              ;   in Loop: Header=BB2_730 Depth=2
	s_trap 2
	ds_read_b64 v[8:9], v0
	v_add_u32_e32 v10, v10, v14
	v_ashrrev_i32_e32 v11, 31, v10
	s_mov_b64 s[54:55], 0
.LBB2_910:                              ;   Parent Loop BB2_47 Depth=1
                                        ;     Parent Loop BB2_730 Depth=2
                                        ; =>    This Inner Loop Header: Depth=3
	s_waitcnt lgkmcnt(0)
	v_lshl_add_u64 v[36:37], v[8:9], 0, v[10:11]
	global_load_dwordx4 v[26:29], v[36:37], off nt
	v_sub_u32_e32 v5, v5, v49
	v_cmp_gt_i32_e64 s[24:25], 16, v5
	v_sub_u32_e32 v25, v25, v34
	v_lshl_add_u64 v[10:11], v[10:11], 0, v[42:43]
	s_or_b64 s[54:55], s[24:25], s[54:55]
	s_waitcnt vmcnt(0)
	global_store_dwordx4 v[36:37], v[26:29], off nt
	s_andn2_b64 exec, exec, s[54:55]
	s_cbranch_execnz .LBB2_910
; %bb.911:                              ;   in Loop: Header=BB2_730 Depth=2
	s_or_b64 exec, exec, s[54:55]
	v_accvgpr_read_b32 v37, a23
	v_accvgpr_read_b32 v36, a22
.LBB2_912:                              ;   in Loop: Header=BB2_730 Depth=2
	s_or_b64 exec, exec, s[28:29]
	v_and_b32_e32 v8, 14, v17
	v_cndmask_b32_e32 v17, v30, v8, vcc
	v_cmp_ne_u32_e64 s[24:25], 0, v17
	s_mov_b64 s[28:29], 0
	v_mov_b32_e32 v5, 0
                                        ; implicit-def: $vgpr18
                                        ; implicit-def: $vgpr10
	s_and_saveexec_b64 s[54:55], s[24:25]
	s_cbranch_execz .LBB2_914
; %bb.913:                              ;   in Loop: Header=BB2_730 Depth=2
	v_sub_u32_e32 v5, v30, v8
	v_cndmask_b32_e32 v5, 0, v5, vcc
	v_cmp_lt_i32_e32 vcc, 0, v25
	s_mov_b64 s[28:29], exec
	v_add3_u32 v5, v19, v14, v5
	v_cndmask_b32_e32 v8, 0, v34, vcc
	v_sub_u32_e32 v8, v8, v25
	v_lshl_add_u32 v18, v8, 6, v15
	v_ashrrev_i32_e32 v8, 31, v18
	v_lshrrev_b32_e32 v8, 26, v8
	v_add_u32_e32 v8, v18, v8
	v_ashrrev_i32_e32 v10, 6, v8
.LBB2_914:                              ;   in Loop: Header=BB2_730 Depth=2
	s_or_b64 exec, exec, s[54:55]
	s_and_b64 s[28:29], s[28:29], exec
.LBB2_915:                              ;   in Loop: Header=BB2_730 Depth=2
	s_or_b64 exec, exec, s[26:27]
	s_and_saveexec_b64 s[24:25], s[28:29]
	s_cbranch_execz .LBB2_924
.LBB2_916:                              ;   in Loop: Header=BB2_730 Depth=2
	v_ashrrev_i32_e32 v8, 31, v17
	v_lshrrev_b32_e32 v8, 23, v8
	v_add_u32_e32 v8, v17, v8
	v_ashrrev_i32_e32 v30, 9, v8
	v_sub_u32_e32 v19, v30, v10
	v_ashrrev_i32_e32 v8, 31, v18
	v_cmp_lt_i32_e32 vcc, 0, v19
	v_lshrrev_b32_e32 v25, 26, v8
	s_and_saveexec_b64 s[26:27], vcc
	s_cbranch_execz .LBB2_920
; %bb.917:                              ;   in Loop: Header=BB2_730 Depth=2
	s_trap 2
	ds_read_b64 v[8:9], v0
	v_add_u32_e32 v11, v18, v25
	v_and_b32_e32 v11, 0x7fffffc0, v11
	v_sub_u32_e32 v11, v18, v11
	v_lshlrev_b32_e32 v11, 1, v11
	v_lshlrev_b32_e32 v10, 9, v10
	v_add3_u32 v10, v11, v5, v10
	v_ashrrev_i32_e32 v11, 31, v10
	s_mov_b64 s[28:29], 0
	s_waitcnt lgkmcnt(0)
	v_mov_b64_e32 v[14:15], v[8:9]
.LBB2_918:                              ;   Parent Loop BB2_47 Depth=1
                                        ;     Parent Loop BB2_730 Depth=2
                                        ; =>    This Inner Loop Header: Depth=3
	v_lshl_add_u64 v[26:27], v[10:11], 0, v[14:15]
	flat_load_ushort v28, v[26:27] nt
	flat_load_ushort v29, v[26:27] offset:128 nt
	flat_load_ushort v31, v[26:27] offset:256 nt
	;; [unrolled: 1-line block ×3, first 2 shown]
	v_sub_u32_e32 v19, v19, v34
	v_cmp_gt_i32_e32 vcc, 1, v19
	v_lshl_add_u64 v[26:27], v[10:11], 0, v[8:9]
	v_lshl_add_u64 v[14:15], v[14:15], 0, v[40:41]
	;; [unrolled: 1-line block ×3, first 2 shown]
	s_or_b64 s[28:29], vcc, s[28:29]
	s_waitcnt vmcnt(0) lgkmcnt(0)
	flat_store_short v[26:27], v28 nt
	flat_store_short v[26:27], v29 offset:128 nt
	flat_store_short v[26:27], v31 offset:256 nt
	;; [unrolled: 1-line block ×3, first 2 shown]
	s_andn2_b64 exec, exec, s[28:29]
	s_cbranch_execnz .LBB2_918
; %bb.919:                              ;   in Loop: Header=BB2_730 Depth=2
	s_or_b64 exec, exec, s[28:29]
	v_accvgpr_read_b32 v37, a23
	v_accvgpr_read_b32 v36, a22
.LBB2_920:                              ;   in Loop: Header=BB2_730 Depth=2
	s_or_b64 exec, exec, s[26:27]
	v_lshlrev_b32_e32 v8, 9, v30
	v_cmp_ne_u32_e32 vcc, v17, v8
	s_and_b64 exec, exec, vcc
	s_cbranch_execz .LBB2_924
; %bb.921:                              ;   in Loop: Header=BB2_730 Depth=2
	v_add_u32_e32 v9, v18, v25
	v_and_b32_e32 v9, 0xffffffc0, v9
	v_sub_u32_e32 v9, v18, v9
	v_lshlrev_b32_e32 v10, 6, v19
	v_sub_u32_e32 v9, v9, v10
	v_ashrrev_i32_e32 v10, 31, v9
	v_lshrrev_b32_e32 v10, 26, v10
	v_add_u32_e32 v10, v9, v10
	v_and_b32_e32 v11, 0x7fffffc0, v10
	v_sub_u32_e32 v9, v9, v11
	v_lshlrev_b32_e32 v10, 1, v10
	v_and_b32_e32 v10, 0xffffff80, v10
	v_lshlrev_b32_e32 v9, 1, v9
	v_add3_u32 v10, v10, v9, v8
	v_sub_u32_e32 v14, v17, v10
	v_cmp_lt_i32_e32 vcc, 1, v14
	s_and_b64 exec, exec, vcc
	s_cbranch_execz .LBB2_924
; %bb.922:                              ;   in Loop: Header=BB2_730 Depth=2
	s_trap 2
	ds_read_b64 v[8:9], v0
	v_add_u32_e32 v10, v10, v5
	v_ashrrev_i32_e32 v11, 31, v10
	s_mov_b64 s[26:27], 0
.LBB2_923:                              ;   Parent Loop BB2_47 Depth=1
                                        ;     Parent Loop BB2_730 Depth=2
                                        ; =>    This Inner Loop Header: Depth=3
	s_waitcnt lgkmcnt(0)
	v_lshl_add_u64 v[18:19], v[8:9], 0, v[10:11]
	flat_load_ushort v5, v[18:19] nt
	v_sub_u32_e32 v14, v14, v4
	v_cmp_gt_i32_e32 vcc, 2, v14
	v_lshl_add_u64 v[10:11], v[10:11], 0, v[44:45]
	s_or_b64 s[26:27], vcc, s[26:27]
	s_waitcnt vmcnt(0) lgkmcnt(0)
	flat_store_short v[18:19], v5 nt
	s_andn2_b64 exec, exec, s[26:27]
	s_cbranch_execnz .LBB2_923
.LBB2_924:                              ;   in Loop: Header=BB2_730 Depth=2
	s_or_b64 exec, exec, s[24:25]
.LBB2_925:                              ;   in Loop: Header=BB2_730 Depth=2
	v_cmp_lt_i32_e64 s[24:25], 0, v2
	s_and_saveexec_b64 s[26:27], s[6:7]
	s_cbranch_execz .LBB2_864
.LBB2_926:                              ;   in Loop: Header=BB2_730 Depth=2
	s_and_saveexec_b64 s[28:29], s[40:41]
	s_xor_b64 s[28:29], exec, s[28:29]
	s_cbranch_execz .LBB2_953
; %bb.927:                              ;   in Loop: Header=BB2_730 Depth=2
	s_and_saveexec_b64 s[54:55], s[14:15]
	s_cbranch_execz .LBB2_952
; %bb.928:                              ;   in Loop: Header=BB2_730 Depth=2
	s_mov_b64 s[58:59], exec
	v_mbcnt_lo_u32_b32 v2, s58, 0
	v_mbcnt_hi_u32_b32 v2, s59, v2
	v_cmp_eq_u32_e32 vcc, 0, v2
	s_waitcnt lgkmcnt(0)
	s_and_saveexec_b64 s[56:57], vcc
	s_cbranch_execz .LBB2_930
; %bb.929:                              ;   in Loop: Header=BB2_730 Depth=2
	s_bcnt1_i32_b64 vcc_lo, s[58:59]
	v_mov_b32_e32 v2, vcc_lo
	ds_add_u64 v0, v[2:3]
	s_trap 2
.LBB2_930:                              ;   in Loop: Header=BB2_730 Depth=2
	s_or_b64 exec, exec, s[56:57]
	s_trap 2
	ds_read_b64 v[8:9], v0
	v_lshl_add_u64 v[12:13], v[12:13], 0, v[34:35]
	s_waitcnt lgkmcnt(0)
	v_cmp_lt_u64_e32 vcc, v[8:9], v[12:13]
	s_and_saveexec_b64 s[56:57], vcc
	s_cbranch_execz .LBB2_951
; %bb.931:                              ;   in Loop: Header=BB2_730 Depth=2
	s_mov_b32 s69, 0
	s_mov_b64 s[58:59], 0
                                        ; implicit-def: $sgpr60_sgpr61
                                        ; implicit-def: $sgpr62_sgpr63
	s_branch .LBB2_933
.LBB2_932:                              ;   in Loop: Header=BB2_933 Depth=3
	s_or_b64 exec, exec, s[66:67]
	s_and_b64 vcc, exec, vcc
	s_or_b64 s[58:59], vcc, s[58:59]
	s_andn2_b64 vcc, s[60:61], exec
	s_and_b64 s[60:61], s[62:63], exec
	s_or_b64 s[60:61], vcc, s[60:61]
	s_andn2_b64 exec, exec, s[58:59]
	s_cbranch_execz .LBB2_949
.LBB2_933:                              ;   Parent Loop BB2_47 Depth=1
                                        ;     Parent Loop BB2_730 Depth=2
                                        ; =>    This Inner Loop Header: Depth=3
	s_add_i32 s69, s69, 1
	s_cmpk_lg_i32 s69, 0x2710
	s_cselect_b64 s[64:65], -1, 0
	s_and_b64 vcc, exec, s[64:65]
                                        ; implicit-def: $sgpr66_sgpr67
	s_cbranch_vccnz .LBB2_935
; %bb.934:                              ;   in Loop: Header=BB2_933 Depth=3
	s_trap 2
	ds_read_b64 v[8:9], v0
	s_andn2_b64 s[64:65], s[64:65], exec
	s_mov_b32 s69, 0
	s_mov_b64 s[66:67], -1
	s_waitcnt vmcnt(0) lgkmcnt(0)
	flat_load_dword v2, v[8:9] sc0 sc1
	s_waitcnt vmcnt(0) lgkmcnt(0)
	buffer_inv sc0 sc1
	v_cmp_eq_u32_e32 vcc, 0, v2
	s_and_b64 vcc, vcc, exec
	s_or_b64 s[64:65], s[64:65], vcc
.LBB2_935:                              ;   in Loop: Header=BB2_933 Depth=3
	s_andn2_b64 s[62:63], s[62:63], exec
	s_and_b64 s[66:67], s[66:67], exec
	s_mov_b64 vcc, -1
	s_or_b64 s[62:63], s[62:63], s[66:67]
	s_and_saveexec_b64 s[66:67], s[64:65]
	s_cbranch_execz .LBB2_932
; %bb.936:                              ;   in Loop: Header=BB2_933 Depth=3
	s_sleep 1
	s_trap 2
	ds_read_b64 v[8:9], v0
	s_andn2_b64 s[62:63], s[62:63], exec
	s_waitcnt lgkmcnt(0)
	v_cmp_ge_u64_e32 vcc, v[8:9], v[12:13]
	s_orn2_b64 vcc, vcc, exec
	s_branch .LBB2_932
.LBB2_937:                              ;   in Loop: Header=BB2_730 Depth=2
	s_or_b64 exec, exec, s[54:55]
	s_and_saveexec_b64 vcc, s[56:57]
	s_xor_b64 vcc, exec, vcc
	s_cbranch_execz .LBB2_939
; %bb.938:                              ;   in Loop: Header=BB2_730 Depth=2
	ds_write_b32 v0, v0
	s_trap 2
.LBB2_939:                              ;   in Loop: Header=BB2_730 Depth=2
	s_or_b64 exec, exec, s[52:53]
	;;#ASMSTART
	s_wakeup
	;;#ASMEND
.LBB2_940:                              ;   in Loop: Header=BB2_730 Depth=2
	s_or_b64 exec, exec, s[30:31]
.LBB2_941:                              ;   in Loop: Header=BB2_730 Depth=2
	s_andn2_saveexec_b64 s[28:29], s[28:29]
	s_cbranch_execz .LBB2_943
; %bb.942:                              ;   in Loop: Header=BB2_730 Depth=2
	;;#ASMSTART
	s_waitcnt lgkmcnt(0) vmcnt(0)
	;;#ASMEND
	s_barrier
.LBB2_943:                              ;   in Loop: Header=BB2_730 Depth=2
	s_or_b64 exec, exec, s[28:29]
	v_and_b32_e32 v1, 16, v62
.LBB2_944:                              ;   in Loop: Header=BB2_730 Depth=2
	s_or_b64 exec, exec, s[24:25]
	v_cmp_ne_u32_e32 vcc, 0, v1
	s_xor_b64 s[24:25], s[10:11], -1
	s_and_b64 s[28:29], vcc, s[24:25]
	s_and_saveexec_b64 s[24:25], s[28:29]
	s_cbranch_execz .LBB2_946
; %bb.945:                              ;   in Loop: Header=BB2_730 Depth=2
	flat_store_dword v[54:55], v0 sc0 sc1
.LBB2_946:                              ;   in Loop: Header=BB2_730 Depth=2
	s_or_b64 exec, exec, s[24:25]
	v_and_b32_e32 v1, 48, v62
	v_cmp_ne_u32_e32 vcc, 0, v1
	s_and_saveexec_b64 s[24:25], vcc
	s_cbranch_execz .LBB2_948
; %bb.947:                              ;   in Loop: Header=BB2_730 Depth=2
	v_lshl_add_u64 v[20:21], v[20:21], 0, 4
	flat_store_dwordx2 v[22:23], v[20:21] sc0 sc1
.LBB2_948:                              ;   in Loop: Header=BB2_730 Depth=2
	s_or_b64 exec, exec, s[24:25]
	s_or_b64 exec, exec, s[26:27]
	s_add_i32 s24, s68, 1
	s_cmp_eq_u32 s68, s77
	s_cbranch_scc0 .LBB2_981
	s_branch .LBB2_982
.LBB2_949:                              ;   in Loop: Header=BB2_730 Depth=2
	s_or_b64 exec, exec, s[58:59]
	s_and_saveexec_b64 vcc, s[60:61]
	s_xor_b64 vcc, exec, vcc
	s_cbranch_execz .LBB2_951
; %bb.950:                              ;   in Loop: Header=BB2_730 Depth=2
	ds_write_b32 v0, v0
	s_trap 2
.LBB2_951:                              ;   in Loop: Header=BB2_730 Depth=2
	s_or_b64 exec, exec, s[56:57]
	;;#ASMSTART
	s_wakeup
	;;#ASMEND
.LBB2_952:                              ;   in Loop: Header=BB2_730 Depth=2
	s_or_b64 exec, exec, s[54:55]
.LBB2_953:                              ;   in Loop: Header=BB2_730 Depth=2
	s_andn2_saveexec_b64 s[28:29], s[28:29]
	s_cbranch_execz .LBB2_955
; %bb.954:                              ;   in Loop: Header=BB2_730 Depth=2
	s_waitcnt lgkmcnt(0)
	s_barrier
.LBB2_955:                              ;   in Loop: Header=BB2_730 Depth=2
	s_or_b64 exec, exec, s[28:29]
	s_or_b64 exec, exec, s[26:27]
                                        ; implicit-def: $vgpr2
	s_and_saveexec_b64 s[26:27], s[22:23]
	s_xor_b64 s[26:27], exec, s[26:27]
	s_cbranch_execnz .LBB2_865
.LBB2_956:                              ;   in Loop: Header=BB2_730 Depth=2
	s_andn2_saveexec_b64 s[24:25], s[26:27]
	s_cbranch_execz .LBB2_975
.LBB2_957:                              ;   in Loop: Header=BB2_730 Depth=2
	s_and_saveexec_b64 s[26:27], s[40:41]
	s_xor_b64 s[26:27], exec, s[26:27]
	s_cbranch_execz .LBB2_972
; %bb.958:                              ;   in Loop: Header=BB2_730 Depth=2
	s_and_saveexec_b64 s[28:29], s[14:15]
	s_cbranch_execz .LBB2_971
; %bb.959:                              ;   in Loop: Header=BB2_730 Depth=2
	s_mov_b64 s[56:57], exec
	v_mbcnt_lo_u32_b32 v2, s56, 0
	v_mbcnt_hi_u32_b32 v2, s57, v2
	v_cmp_eq_u32_e32 vcc, 0, v2
	;;#ASMSTART
	s_waitcnt lgkmcnt(0) vmcnt(0)
	;;#ASMEND
	s_and_saveexec_b64 s[54:55], vcc
	s_cbranch_execz .LBB2_961
; %bb.960:                              ;   in Loop: Header=BB2_730 Depth=2
	s_bcnt1_i32_b64 vcc_lo, s[56:57]
	v_mov_b32_e32 v2, vcc_lo
	ds_add_u64 v0, v[2:3]
	s_trap 2
.LBB2_961:                              ;   in Loop: Header=BB2_730 Depth=2
	s_or_b64 exec, exec, s[54:55]
	s_trap 2
	ds_read_b64 v[8:9], v0
	v_lshl_add_u64 v[12:13], v[12:13], 0, v[34:35]
	s_waitcnt lgkmcnt(0)
	v_cmp_lt_u64_e32 vcc, v[8:9], v[12:13]
	s_and_saveexec_b64 s[54:55], vcc
	s_cbranch_execz .LBB2_970
; %bb.962:                              ;   in Loop: Header=BB2_730 Depth=2
	s_mov_b32 s66, 0
	s_mov_b64 s[56:57], 0
                                        ; implicit-def: $sgpr58_sgpr59
                                        ; implicit-def: $sgpr60_sgpr61
	s_branch .LBB2_964
.LBB2_963:                              ;   in Loop: Header=BB2_964 Depth=3
	s_or_b64 exec, exec, s[64:65]
	s_and_b64 vcc, exec, vcc
	s_or_b64 s[56:57], vcc, s[56:57]
	s_andn2_b64 vcc, s[58:59], exec
	s_and_b64 s[58:59], s[60:61], exec
	s_or_b64 s[58:59], vcc, s[58:59]
	s_andn2_b64 exec, exec, s[56:57]
	s_cbranch_execz .LBB2_968
.LBB2_964:                              ;   Parent Loop BB2_47 Depth=1
                                        ;     Parent Loop BB2_730 Depth=2
                                        ; =>    This Inner Loop Header: Depth=3
	s_add_i32 s66, s66, 1
	s_cmpk_lg_i32 s66, 0x2710
	s_cselect_b64 s[62:63], -1, 0
	s_and_b64 vcc, exec, s[62:63]
                                        ; implicit-def: $sgpr64_sgpr65
	s_cbranch_vccnz .LBB2_966
; %bb.965:                              ;   in Loop: Header=BB2_964 Depth=3
	s_trap 2
	ds_read_b64 v[8:9], v0
	s_andn2_b64 s[62:63], s[62:63], exec
	s_mov_b32 s66, 0
	s_mov_b64 s[64:65], -1
	s_waitcnt vmcnt(0) lgkmcnt(0)
	flat_load_dword v2, v[8:9] sc0 sc1
	s_waitcnt vmcnt(0) lgkmcnt(0)
	buffer_inv sc0 sc1
	v_cmp_eq_u32_e32 vcc, 0, v2
	s_and_b64 vcc, vcc, exec
	s_or_b64 s[62:63], s[62:63], vcc
.LBB2_966:                              ;   in Loop: Header=BB2_964 Depth=3
	s_andn2_b64 s[60:61], s[60:61], exec
	s_and_b64 s[64:65], s[64:65], exec
	s_mov_b64 vcc, -1
	s_or_b64 s[60:61], s[60:61], s[64:65]
	s_and_saveexec_b64 s[64:65], s[62:63]
	s_cbranch_execz .LBB2_963
; %bb.967:                              ;   in Loop: Header=BB2_964 Depth=3
	s_sleep 1
	s_trap 2
	ds_read_b64 v[8:9], v0
	s_andn2_b64 s[60:61], s[60:61], exec
	s_waitcnt lgkmcnt(0)
	v_cmp_ge_u64_e32 vcc, v[8:9], v[12:13]
	s_orn2_b64 vcc, vcc, exec
	s_branch .LBB2_963
.LBB2_968:                              ;   in Loop: Header=BB2_730 Depth=2
	s_or_b64 exec, exec, s[56:57]
	s_and_saveexec_b64 vcc, s[58:59]
	s_xor_b64 vcc, exec, vcc
	s_cbranch_execz .LBB2_970
; %bb.969:                              ;   in Loop: Header=BB2_730 Depth=2
	ds_write_b32 v0, v0
	s_trap 2
.LBB2_970:                              ;   in Loop: Header=BB2_730 Depth=2
	s_or_b64 exec, exec, s[54:55]
	;;#ASMSTART
	s_wakeup
	;;#ASMEND
.LBB2_971:                              ;   in Loop: Header=BB2_730 Depth=2
	s_or_b64 exec, exec, s[28:29]
.LBB2_972:                              ;   in Loop: Header=BB2_730 Depth=2
	s_andn2_saveexec_b64 s[26:27], s[26:27]
	s_cbranch_execz .LBB2_974
; %bb.973:                              ;   in Loop: Header=BB2_730 Depth=2
	;;#ASMSTART
	s_waitcnt lgkmcnt(0) vmcnt(0)
	;;#ASMEND
	s_barrier
.LBB2_974:                              ;   in Loop: Header=BB2_730 Depth=2
	s_or_b64 exec, exec, s[26:27]
	v_and_b32_e32 v2, 16, v62
.LBB2_975:                              ;   in Loop: Header=BB2_730 Depth=2
	s_or_b64 exec, exec, s[24:25]
	v_cmp_ne_u32_e32 vcc, 0, v2
	s_xor_b64 s[24:25], s[10:11], -1
	s_and_b64 s[26:27], vcc, s[24:25]
	s_and_saveexec_b64 s[24:25], s[26:27]
	s_cbranch_execz .LBB2_977
; %bb.976:                              ;   in Loop: Header=BB2_730 Depth=2
	flat_store_dword v[54:55], v0 sc0 sc1
.LBB2_977:                              ;   in Loop: Header=BB2_730 Depth=2
	s_or_b64 exec, exec, s[24:25]
	v_and_b32_e32 v2, 48, v62
	v_cmp_ne_u32_e32 vcc, 0, v2
	s_and_saveexec_b64 s[24:25], vcc
	s_cbranch_execz .LBB2_979
; %bb.978:                              ;   in Loop: Header=BB2_730 Depth=2
	v_lshl_add_u64 v[20:21], v[20:21], 0, 4
	flat_store_dwordx2 v[22:23], v[20:21] sc0 sc1
.LBB2_979:                              ;   in Loop: Header=BB2_730 Depth=2
	s_or_b64 exec, exec, s[24:25]
	v_mov_b32_e32 v5, v16
	s_or_b64 exec, exec, s[52:53]
	s_and_saveexec_b64 s[26:27], s[30:31]
	s_cbranch_execnz .LBB2_737
.LBB2_980:                              ;   in Loop: Header=BB2_730 Depth=2
	s_or_b64 exec, exec, s[26:27]
	s_add_i32 s24, s68, 1
	s_cmp_eq_u32 s68, s77
	s_cbranch_scc1 .LBB2_982
.LBB2_981:                              ;   in Loop: Header=BB2_730 Depth=2
	s_mov_b32 s68, s24
	s_branch .LBB2_730
.LBB2_982:                              ;   in Loop: Header=BB2_47 Depth=1
	v_mul_lo_u32 v1, v57, s78
	v_mul_lo_u32 v2, v56, s79
	v_mad_u64_u32 v[8:9], s[24:25], v56, s78, 0
	v_add3_u32 v9, v9, v2, v1
	v_sub_co_u32_e32 v10, vcc, v58, v8
	v_mov_b32_e32 v14, 0
	s_nop 0
	v_subb_co_u32_e32 v11, vcc, v59, v9, vcc
	v_cmp_lt_i64_e32 vcc, v[56:57], v[10:11]
	s_nop 1
	v_cndmask_b32_e32 v2, v10, v56, vcc
	v_max_i32_e32 v1, 0, v2
	v_add_u32_e32 v5, 15, v1
	v_ashrrev_i32_e32 v10, 31, v5
	v_lshrrev_b32_e32 v10, 28, v10
	v_add_u32_e32 v5, v5, v10
	v_and_b32_e32 v5, -16, v5
	v_cmp_gt_i32_e32 vcc, 1, v2
	v_max_i32_e32 v16, s76, v5
	s_or_b64 s[26:27], s[2:3], vcc
	s_xor_b64 s[24:25], s[26:27], -1
	s_mov_b64 s[28:29], exec
	v_accvgpr_read_b32 v47, a19
	v_accvgpr_read_b32 v59, a25
	s_and_b64 s[24:25], s[28:29], s[24:25]
	v_accvgpr_read_b32 v46, a18
	v_accvgpr_read_b32 v58, a24
	s_mov_b64 exec, s[24:25]
	s_cbranch_execz .LBB2_1119
; %bb.983:                              ;   in Loop: Header=BB2_47 Depth=1
	s_and_saveexec_b64 s[24:25], s[0:1]
	s_cbranch_execz .LBB2_985
; %bb.984:                              ;   in Loop: Header=BB2_47 Depth=1
	s_trap 2
	ds_read_b128 v[26:29], v0
	v_accvgpr_read_b32 v10, a30
	v_accvgpr_read_b32 v11, a31
	v_lshl_add_u64 v[8:9], v[8:9], 0, v[10:11]
	v_lshlrev_b64 v[8:9], 1, v[8:9]
	s_waitcnt lgkmcnt(0)
	v_lshl_add_u64 v[10:11], v[26:27], 0, v[8:9]
	v_lshl_add_u64 v[8:9], v[28:29], 0, v[8:9]
	v_cmp_ne_u64_e32 vcc, 0, v[28:29]
	ds_write_b64 v0, v[10:11]
	s_nop 0
	v_cndmask_b32_e32 v9, 0, v9, vcc
	v_cndmask_b32_e32 v8, 0, v8, vcc
	ds_write_b64 v0, v[8:9]
.LBB2_985:                              ;   in Loop: Header=BB2_47 Depth=1
	s_or_b64 exec, exec, s[24:25]
	v_and_b32_e32 v2, 4, v62
	v_cmp_ne_u32_e32 vcc, 0, v2
	s_mov_b64 s[30:31], -1
	s_and_saveexec_b64 s[24:25], vcc
	s_cbranch_execz .LBB2_995
; %bb.986:                              ;   in Loop: Header=BB2_47 Depth=1
	v_lshl_add_u64 v[8:9], v[20:21], 0, 4
	v_cmp_lt_u64_e32 vcc, v[32:33], v[8:9]
	v_mov_b32_e32 v2, 1
	s_and_saveexec_b64 s[30:31], vcc
	s_cbranch_execz .LBB2_1006
; %bb.987:                              ;   in Loop: Header=BB2_47 Depth=1
	s_mov_b64 s[52:53], 0
	v_mov_b32_e32 v2, 0
                                        ; implicit-def: $sgpr54_sgpr55
	s_branch .LBB2_991
.LBB2_988:                              ;   in Loop: Header=BB2_991 Depth=2
	s_or_b64 exec, exec, s[62:63]
	v_mov_b32_e32 v5, 0
	s_orn2_b64 s[60:61], s[60:61], exec
.LBB2_989:                              ;   in Loop: Header=BB2_991 Depth=2
	s_or_b64 exec, exec, s[58:59]
	s_andn2_b64 vcc, s[54:55], exec
	s_and_b64 s[54:55], s[60:61], exec
	s_or_b64 s[54:55], vcc, s[54:55]
	v_mov_b32_e32 v2, v5
.LBB2_990:                              ;   in Loop: Header=BB2_991 Depth=2
	s_or_b64 exec, exec, s[56:57]
	s_waitcnt vmcnt(0) lgkmcnt(0)
	v_cmp_ge_u64_e32 vcc, v[32:33], v[8:9]
	s_xor_b64 s[56:57], s[54:55], -1
	s_or_b64 vcc, s[56:57], vcc
	s_and_b64 vcc, exec, vcc
	s_or_b64 s[52:53], vcc, s[52:53]
	s_andn2_b64 exec, exec, s[52:53]
	s_cbranch_execz .LBB2_1005
.LBB2_991:                              ;   Parent Loop BB2_47 Depth=1
                                        ; =>  This Inner Loop Header: Depth=2
	s_sleep 1
	flat_load_dwordx2 v[32:33], v[22:23] sc0 sc1
	v_and_b32_e32 v5, 64, v62
	v_cmp_eq_u32_e32 vcc, 0, v5
	s_andn2_b64 s[54:55], s[54:55], exec
	s_and_saveexec_b64 s[56:57], vcc
	s_cbranch_execz .LBB2_990
; %bb.992:                              ;   in Loop: Header=BB2_991 Depth=2
	v_add_u32_e32 v5, 1, v2
	v_cmp_lt_i32_e32 vcc, s72, v2
	s_mov_b64 s[60:61], -1
	s_and_saveexec_b64 s[58:59], vcc
	s_cbranch_execz .LBB2_989
; %bb.993:                              ;   in Loop: Header=BB2_991 Depth=2
	s_trap 2
	ds_read_b64 v[10:11], v0
	s_waitcnt vmcnt(0) lgkmcnt(0)
	flat_load_dword v2, v[10:11] sc0 sc1
	s_waitcnt vmcnt(0) lgkmcnt(0)
	buffer_inv sc0 sc1
	v_cmp_ne_u32_e32 vcc, 0, v2
	s_and_saveexec_b64 s[62:63], vcc
	s_cbranch_execz .LBB2_988
; %bb.994:                              ;   in Loop: Header=BB2_991 Depth=2
	v_or_b32_e32 v62, 64, v62
	s_xor_b64 s[60:61], exec, -1
	ds_write_b32 v0, v2
	s_trap 2
	s_branch .LBB2_988
.LBB2_995:                              ;   in Loop: Header=BB2_47 Depth=1
	s_or_b64 exec, exec, s[24:25]
	s_xor_b64 s[24:25], s[30:31], -1
	s_and_saveexec_b64 s[30:31], s[24:25]
	s_cbranch_execz .LBB2_1007
.LBB2_996:                              ;   in Loop: Header=BB2_47 Depth=1
	v_and_b32_e32 v2, 0x100, v62
	v_cmp_ne_u32_e32 vcc, 0, v2
	v_and_b32_e32 v2, 7, v20
	s_mov_b64 s[24:25], -1
                                        ; implicit-def: $vgpr8_vgpr9
	s_and_saveexec_b64 s[52:53], vcc
	s_cbranch_execz .LBB2_1000
; %bb.997:                              ;   in Loop: Header=BB2_47 Depth=1
	v_mad_u64_u32 v[10:11], s[24:25], v2, 24, v[6:7]
	flat_load_dword v5, v[10:11]
                                        ; implicit-def: $vgpr8_vgpr9
	s_waitcnt vmcnt(0) lgkmcnt(0)
	v_cmp_ne_u32_e32 vcc, 1, v5
	v_cmp_eq_u32_e64 s[24:25], 1, v5
	s_and_saveexec_b64 s[54:55], s[24:25]
	s_cbranch_execz .LBB2_999
; %bb.998:                              ;   in Loop: Header=BB2_47 Depth=1
	flat_load_dword v8, v[10:11] offset:4 sc0 sc1
	s_waitcnt vmcnt(0) lgkmcnt(0)
	v_ashrrev_i32_e32 v9, 31, v8
	v_lshrrev_b64 v[8:9], 1, v[8:9]
.LBB2_999:                              ;   in Loop: Header=BB2_47 Depth=1
	s_or_b64 exec, exec, s[54:55]
	s_orn2_b64 s[24:25], vcc, exec
.LBB2_1000:                             ;   in Loop: Header=BB2_47 Depth=1
	s_or_b64 exec, exec, s[52:53]
	s_and_saveexec_b64 vcc, s[24:25]
; %bb.1001:                             ;   in Loop: Header=BB2_47 Depth=1
	v_mad_i64_i32 v[8:9], s[24:25], v2, v24, 0
; %bb.1002:                             ;   in Loop: Header=BB2_47 Depth=1
	s_or_b64 exec, exec, vcc
	v_and_b32_e32 v2, 0x2000, v62
	v_lshl_add_u64 v[8:9], v[8:9], 1, v[60:61]
	v_cmp_ne_u32_e32 vcc, 0, v2
	ds_write_b64 v0, v[8:9] offset:720
	s_and_saveexec_b64 s[24:25], vcc
	s_cbranch_execz .LBB2_1004
; %bb.1003:                             ;   in Loop: Header=BB2_47 Depth=1
	ds_read_b64 v[8:9], v0 offset:584
	s_waitcnt lgkmcnt(0)
	v_lshl_add_u64 v[8:9], v[8:9], 0, 1
	ds_write_b64 v0, v[8:9] offset:584
.LBB2_1004:                             ;   in Loop: Header=BB2_47 Depth=1
	s_or_b64 exec, exec, s[24:25]
	v_lshl_add_u64 v[20:21], v[20:21], 0, 4
	s_or_b64 exec, exec, s[30:31]
	s_and_saveexec_b64 s[24:25], s[6:7]
	s_cbranch_execz .LBB2_1026
	s_branch .LBB2_1008
.LBB2_1005:                             ;   in Loop: Header=BB2_47 Depth=1
	s_or_b64 exec, exec, s[52:53]
	v_and_b32_e32 v2, 4, v62
.LBB2_1006:                             ;   in Loop: Header=BB2_47 Depth=1
	s_or_b64 exec, exec, s[30:31]
	v_cmp_eq_u32_e32 vcc, 0, v2
	s_orn2_b64 s[30:31], vcc, exec
	;;#ASMSTART
	s_wakeup
	;;#ASMEND
	s_or_b64 exec, exec, s[24:25]
	s_xor_b64 s[24:25], s[30:31], -1
	s_and_saveexec_b64 s[30:31], s[24:25]
	s_cbranch_execnz .LBB2_996
.LBB2_1007:                             ;   in Loop: Header=BB2_47 Depth=1
	s_or_b64 exec, exec, s[30:31]
	s_and_saveexec_b64 s[24:25], s[6:7]
	s_cbranch_execz .LBB2_1026
.LBB2_1008:                             ;   in Loop: Header=BB2_47 Depth=1
	s_and_saveexec_b64 vcc, s[40:41]
	s_xor_b64 s[30:31], exec, vcc
	s_cbranch_execz .LBB2_1023
; %bb.1009:                             ;   in Loop: Header=BB2_47 Depth=1
	s_and_saveexec_b64 s[52:53], s[14:15]
	s_cbranch_execz .LBB2_1022
; %bb.1010:                             ;   in Loop: Header=BB2_47 Depth=1
	s_mov_b64 s[56:57], exec
	v_mbcnt_lo_u32_b32 v2, s56, 0
	v_mbcnt_hi_u32_b32 v2, s57, v2
	v_cmp_eq_u32_e32 vcc, 0, v2
	s_waitcnt lgkmcnt(0)
	s_and_saveexec_b64 s[54:55], vcc
	s_cbranch_execz .LBB2_1012
; %bb.1011:                             ;   in Loop: Header=BB2_47 Depth=1
	s_bcnt1_i32_b64 vcc_lo, s[56:57]
	v_mov_b32_e32 v2, vcc_lo
	ds_add_u64 v0, v[2:3]
	s_trap 2
.LBB2_1012:                             ;   in Loop: Header=BB2_47 Depth=1
	s_or_b64 exec, exec, s[54:55]
	s_trap 2
	ds_read_b64 v[8:9], v0
	v_lshl_add_u64 v[12:13], v[12:13], 0, v[34:35]
	s_waitcnt lgkmcnt(0)
	v_cmp_lt_u64_e32 vcc, v[8:9], v[12:13]
	s_and_saveexec_b64 s[54:55], vcc
	s_cbranch_execz .LBB2_1021
; %bb.1013:                             ;   in Loop: Header=BB2_47 Depth=1
	s_mov_b32 s66, 0
	s_mov_b64 s[56:57], 0
                                        ; implicit-def: $sgpr58_sgpr59
                                        ; implicit-def: $sgpr60_sgpr61
	s_branch .LBB2_1015
.LBB2_1014:                             ;   in Loop: Header=BB2_1015 Depth=2
	s_or_b64 exec, exec, s[64:65]
	s_and_b64 vcc, exec, vcc
	s_or_b64 s[56:57], vcc, s[56:57]
	s_andn2_b64 vcc, s[58:59], exec
	s_and_b64 s[58:59], s[60:61], exec
	s_or_b64 s[58:59], vcc, s[58:59]
	s_andn2_b64 exec, exec, s[56:57]
	s_cbranch_execz .LBB2_1019
.LBB2_1015:                             ;   Parent Loop BB2_47 Depth=1
                                        ; =>  This Inner Loop Header: Depth=2
	s_add_i32 s66, s66, 1
	s_cmpk_lg_i32 s66, 0x2710
	s_cselect_b64 s[62:63], -1, 0
	s_and_b64 vcc, exec, s[62:63]
                                        ; implicit-def: $sgpr64_sgpr65
	s_cbranch_vccnz .LBB2_1017
; %bb.1016:                             ;   in Loop: Header=BB2_1015 Depth=2
	s_trap 2
	ds_read_b64 v[8:9], v0
	s_andn2_b64 s[62:63], s[62:63], exec
	s_mov_b32 s66, 0
	s_mov_b64 s[64:65], -1
	s_waitcnt vmcnt(0) lgkmcnt(0)
	flat_load_dword v2, v[8:9] sc0 sc1
	s_waitcnt vmcnt(0) lgkmcnt(0)
	buffer_inv sc0 sc1
	v_cmp_eq_u32_e32 vcc, 0, v2
	s_and_b64 vcc, vcc, exec
	s_or_b64 s[62:63], s[62:63], vcc
.LBB2_1017:                             ;   in Loop: Header=BB2_1015 Depth=2
	s_andn2_b64 s[60:61], s[60:61], exec
	s_and_b64 s[64:65], s[64:65], exec
	s_mov_b64 vcc, -1
	s_or_b64 s[60:61], s[60:61], s[64:65]
	s_and_saveexec_b64 s[64:65], s[62:63]
	s_cbranch_execz .LBB2_1014
; %bb.1018:                             ;   in Loop: Header=BB2_1015 Depth=2
	s_sleep 1
	s_trap 2
	ds_read_b64 v[8:9], v0
	s_andn2_b64 s[60:61], s[60:61], exec
	s_waitcnt lgkmcnt(0)
	v_cmp_ge_u64_e32 vcc, v[8:9], v[12:13]
	s_orn2_b64 vcc, vcc, exec
	s_branch .LBB2_1014
.LBB2_1019:                             ;   in Loop: Header=BB2_47 Depth=1
	s_or_b64 exec, exec, s[56:57]
	s_and_saveexec_b64 vcc, s[58:59]
	s_xor_b64 vcc, exec, vcc
	s_cbranch_execz .LBB2_1021
; %bb.1020:                             ;   in Loop: Header=BB2_47 Depth=1
	ds_write_b32 v0, v0
	s_trap 2
.LBB2_1021:                             ;   in Loop: Header=BB2_47 Depth=1
	s_or_b64 exec, exec, s[54:55]
	;;#ASMSTART
	s_wakeup
	;;#ASMEND
.LBB2_1022:                             ;   in Loop: Header=BB2_47 Depth=1
	s_or_b64 exec, exec, s[52:53]
.LBB2_1023:                             ;   in Loop: Header=BB2_47 Depth=1
	s_andn2_saveexec_b64 vcc, s[30:31]
	s_cbranch_execz .LBB2_1025
; %bb.1024:                             ;   in Loop: Header=BB2_47 Depth=1
	s_waitcnt lgkmcnt(0)
	s_barrier
.LBB2_1025:                             ;   in Loop: Header=BB2_47 Depth=1
	s_or_b64 exec, exec, vcc
.LBB2_1026:                             ;   in Loop: Header=BB2_47 Depth=1
	s_or_b64 exec, exec, s[24:25]
	s_trap 2
	ds_read_b32 v8, v0
	v_and_b32_e32 v2, 0x4000, v62
	v_cmp_ne_u32_e32 vcc, 0, v2
	s_xor_b64 s[24:25], s[4:5], -1
	s_and_b64 vcc, s[24:25], vcc
	s_and_saveexec_b64 s[24:25], vcc
	s_cbranch_execz .LBB2_1045
; %bb.1027:                             ;   in Loop: Header=BB2_47 Depth=1
	s_and_saveexec_b64 vcc, s[40:41]
	s_xor_b64 s[30:31], exec, vcc
	s_cbranch_execz .LBB2_1042
; %bb.1028:                             ;   in Loop: Header=BB2_47 Depth=1
	s_and_saveexec_b64 s[52:53], s[14:15]
	s_cbranch_execz .LBB2_1041
; %bb.1029:                             ;   in Loop: Header=BB2_47 Depth=1
	s_mov_b64 s[56:57], exec
	v_mbcnt_lo_u32_b32 v2, s56, 0
	v_mbcnt_hi_u32_b32 v2, s57, v2
	v_cmp_eq_u32_e32 vcc, 0, v2
	s_waitcnt lgkmcnt(0)
	s_and_saveexec_b64 s[54:55], vcc
	s_cbranch_execz .LBB2_1031
; %bb.1030:                             ;   in Loop: Header=BB2_47 Depth=1
	s_bcnt1_i32_b64 vcc_lo, s[56:57]
	v_mov_b32_e32 v2, vcc_lo
	ds_add_u64 v0, v[2:3]
	s_trap 2
.LBB2_1031:                             ;   in Loop: Header=BB2_47 Depth=1
	s_or_b64 exec, exec, s[54:55]
	s_trap 2
	ds_read_b64 v[10:11], v0
	v_lshl_add_u64 v[12:13], v[12:13], 0, v[34:35]
	s_waitcnt lgkmcnt(0)
	v_cmp_lt_u64_e32 vcc, v[10:11], v[12:13]
	s_and_saveexec_b64 s[54:55], vcc
	s_cbranch_execz .LBB2_1040
; %bb.1032:                             ;   in Loop: Header=BB2_47 Depth=1
	s_mov_b32 s66, 0
	s_mov_b64 s[56:57], 0
                                        ; implicit-def: $sgpr58_sgpr59
                                        ; implicit-def: $sgpr60_sgpr61
	s_branch .LBB2_1034
.LBB2_1033:                             ;   in Loop: Header=BB2_1034 Depth=2
	s_or_b64 exec, exec, s[64:65]
	s_and_b64 vcc, exec, vcc
	s_or_b64 s[56:57], vcc, s[56:57]
	s_andn2_b64 vcc, s[58:59], exec
	s_and_b64 s[58:59], s[60:61], exec
	s_or_b64 s[58:59], vcc, s[58:59]
	s_andn2_b64 exec, exec, s[56:57]
	s_cbranch_execz .LBB2_1038
.LBB2_1034:                             ;   Parent Loop BB2_47 Depth=1
                                        ; =>  This Inner Loop Header: Depth=2
	s_add_i32 s66, s66, 1
	s_cmpk_lg_i32 s66, 0x2710
	s_cselect_b64 s[62:63], -1, 0
	s_and_b64 vcc, exec, s[62:63]
                                        ; implicit-def: $sgpr64_sgpr65
	s_cbranch_vccnz .LBB2_1036
; %bb.1035:                             ;   in Loop: Header=BB2_1034 Depth=2
	s_trap 2
	ds_read_b64 v[10:11], v0
	s_andn2_b64 s[62:63], s[62:63], exec
	s_mov_b32 s66, 0
	s_mov_b64 s[64:65], -1
	s_waitcnt vmcnt(0) lgkmcnt(0)
	flat_load_dword v2, v[10:11] sc0 sc1
	s_waitcnt vmcnt(0) lgkmcnt(0)
	buffer_inv sc0 sc1
	v_cmp_eq_u32_e32 vcc, 0, v2
	s_and_b64 vcc, vcc, exec
	s_or_b64 s[62:63], s[62:63], vcc
.LBB2_1036:                             ;   in Loop: Header=BB2_1034 Depth=2
	s_andn2_b64 s[60:61], s[60:61], exec
	s_and_b64 s[64:65], s[64:65], exec
	s_mov_b64 vcc, -1
	s_or_b64 s[60:61], s[60:61], s[64:65]
	s_and_saveexec_b64 s[64:65], s[62:63]
	s_cbranch_execz .LBB2_1033
; %bb.1037:                             ;   in Loop: Header=BB2_1034 Depth=2
	s_sleep 1
	s_trap 2
	ds_read_b64 v[10:11], v0
	s_andn2_b64 s[60:61], s[60:61], exec
	s_waitcnt lgkmcnt(0)
	v_cmp_ge_u64_e32 vcc, v[10:11], v[12:13]
	s_orn2_b64 vcc, vcc, exec
	s_branch .LBB2_1033
.LBB2_1038:                             ;   in Loop: Header=BB2_47 Depth=1
	s_or_b64 exec, exec, s[56:57]
	s_and_saveexec_b64 vcc, s[58:59]
	s_xor_b64 vcc, exec, vcc
	s_cbranch_execz .LBB2_1040
; %bb.1039:                             ;   in Loop: Header=BB2_47 Depth=1
	ds_write_b32 v0, v0
	s_trap 2
.LBB2_1040:                             ;   in Loop: Header=BB2_47 Depth=1
	s_or_b64 exec, exec, s[54:55]
	;;#ASMSTART
	s_wakeup
	;;#ASMEND
.LBB2_1041:                             ;   in Loop: Header=BB2_47 Depth=1
	s_or_b64 exec, exec, s[52:53]
.LBB2_1042:                             ;   in Loop: Header=BB2_47 Depth=1
	s_andn2_saveexec_b64 vcc, s[30:31]
	s_cbranch_execz .LBB2_1044
; %bb.1043:                             ;   in Loop: Header=BB2_47 Depth=1
	s_waitcnt lgkmcnt(0)
	s_barrier
.LBB2_1044:                             ;   in Loop: Header=BB2_47 Depth=1
	s_or_b64 exec, exec, vcc
.LBB2_1045:                             ;   in Loop: Header=BB2_47 Depth=1
	s_or_b64 exec, exec, s[24:25]
	s_trap 2
	ds_read_b64 v[10:11], v0
	v_min_i32_e32 v16, v16, v1
	s_waitcnt lgkmcnt(0)
	v_readfirstlane_b32 s24, v10
	v_readfirstlane_b32 s25, v11
	s_cmp_eq_u64 s[24:25], 0
	s_cselect_b64 s[24:25], -1, 0
	s_or_b64 vcc, s[24:25], s[24:25]
	s_mov_b64 s[24:25], 0
	s_and_b64 vcc, exec, vcc
	s_cbranch_vccnz .LBB2_1052
; %bb.1046:                             ;   in Loop: Header=BB2_47 Depth=1
	s_mov_b64 s[24:25], -1
	s_and_saveexec_b64 s[30:31], s[18:19]
	s_cbranch_execz .LBB2_1048
; %bb.1047:                             ;   in Loop: Header=BB2_47 Depth=1
	ds_read_b32 v2, v0 offset:720
	s_waitcnt lgkmcnt(0)
	v_and_b32_e32 v2, 15, v2
	v_cmp_eq_u32_e32 vcc, 0, v2
	s_orn2_b64 s[24:25], vcc, exec
.LBB2_1048:                             ;   in Loop: Header=BB2_47 Depth=1
	s_or_b64 exec, exec, s[30:31]
	s_and_saveexec_b64 s[30:31], s[16:17]
	s_cbranch_execz .LBB2_1050
; %bb.1049:                             ;   in Loop: Header=BB2_47 Depth=1
	ds_read_b32 v2, v0 offset:784
	s_waitcnt lgkmcnt(0)
	v_and_b32_e32 v2, 15, v2
	v_cmp_eq_u32_e32 vcc, 0, v2
	s_and_b64 vcc, s[24:25], vcc
	s_andn2_b64 s[24:25], s[24:25], exec
	s_and_b64 vcc, vcc, exec
	s_or_b64 s[24:25], s[24:25], vcc
.LBB2_1050:                             ;   in Loop: Header=BB2_47 Depth=1
	s_or_b64 exec, exec, s[30:31]
	v_cmp_eq_u32_e32 vcc, 0, v8
	s_xor_b64 s[24:25], s[24:25], -1
	v_cndmask_b32_e64 v5, 0, 1, s[24:25]
	v_cndmask_b32_e32 v2, 0, v16, vcc
	v_mov_b32_e32 v18, 0
	v_lshlrev_b32_e32 v17, 1, v2
	s_mov_b64 s[52:53], -1
	;;#ASMSTART
	;;#ASMEND
	s_nop 0
	v_cmp_ne_u32_e32 vcc, 0, v5
	s_cbranch_vccz .LBB2_1064
; %bb.1051:                             ;   in Loop: Header=BB2_47 Depth=1
	v_mov_b32_e32 v5, v48
	v_accvgpr_read_b32 v10, a14
	s_and_saveexec_b64 s[24:25], s[52:53]
	s_cbranch_execnz .LBB2_1077
	s_branch .LBB2_1085
.LBB2_1052:                             ;   in Loop: Header=BB2_47 Depth=1
	s_and_saveexec_b64 s[30:31], s[6:7]
	s_cbranch_execz .LBB2_1086
.LBB2_1053:                             ;   in Loop: Header=BB2_47 Depth=1
	s_and_saveexec_b64 vcc, s[40:41]
	s_xor_b64 s[52:53], exec, vcc
	s_cbranch_execz .LBB2_1094
; %bb.1054:                             ;   in Loop: Header=BB2_47 Depth=1
	s_and_saveexec_b64 s[54:55], s[14:15]
	s_cbranch_execz .LBB2_1093
; %bb.1055:                             ;   in Loop: Header=BB2_47 Depth=1
	s_mov_b64 s[58:59], exec
	v_mbcnt_lo_u32_b32 v2, s58, 0
	v_mbcnt_hi_u32_b32 v2, s59, v2
	v_cmp_eq_u32_e32 vcc, 0, v2
	s_waitcnt lgkmcnt(0)
	s_and_saveexec_b64 s[56:57], vcc
	s_cbranch_execz .LBB2_1057
; %bb.1056:                             ;   in Loop: Header=BB2_47 Depth=1
	s_bcnt1_i32_b64 vcc_lo, s[58:59]
	v_mov_b32_e32 v2, vcc_lo
	ds_add_u64 v0, v[2:3]
	s_trap 2
.LBB2_1057:                             ;   in Loop: Header=BB2_47 Depth=1
	s_or_b64 exec, exec, s[56:57]
	s_trap 2
	ds_read_b64 v[8:9], v0
	v_lshl_add_u64 v[12:13], v[12:13], 0, v[34:35]
	s_waitcnt lgkmcnt(0)
	v_cmp_lt_u64_e32 vcc, v[8:9], v[12:13]
	s_and_saveexec_b64 s[56:57], vcc
	s_cbranch_execz .LBB2_1092
; %bb.1058:                             ;   in Loop: Header=BB2_47 Depth=1
	s_mov_b32 s68, 0
	s_mov_b64 s[58:59], 0
                                        ; implicit-def: $sgpr60_sgpr61
                                        ; implicit-def: $sgpr62_sgpr63
	s_branch .LBB2_1060
.LBB2_1059:                             ;   in Loop: Header=BB2_1060 Depth=2
	s_or_b64 exec, exec, s[66:67]
	s_and_b64 vcc, exec, vcc
	s_or_b64 s[58:59], vcc, s[58:59]
	s_andn2_b64 vcc, s[60:61], exec
	s_and_b64 s[60:61], s[62:63], exec
	s_or_b64 s[60:61], vcc, s[60:61]
	s_andn2_b64 exec, exec, s[58:59]
	s_cbranch_execz .LBB2_1090
.LBB2_1060:                             ;   Parent Loop BB2_47 Depth=1
                                        ; =>  This Inner Loop Header: Depth=2
	s_add_i32 s68, s68, 1
	s_cmpk_lg_i32 s68, 0x2710
	s_cselect_b64 s[64:65], -1, 0
	s_and_b64 vcc, exec, s[64:65]
                                        ; implicit-def: $sgpr66_sgpr67
	s_cbranch_vccnz .LBB2_1062
; %bb.1061:                             ;   in Loop: Header=BB2_1060 Depth=2
	s_trap 2
	ds_read_b64 v[8:9], v0
	s_andn2_b64 s[64:65], s[64:65], exec
	s_mov_b32 s68, 0
	s_mov_b64 s[66:67], -1
	s_waitcnt vmcnt(0) lgkmcnt(0)
	flat_load_dword v2, v[8:9] sc0 sc1
	s_waitcnt vmcnt(0) lgkmcnt(0)
	buffer_inv sc0 sc1
	v_cmp_eq_u32_e32 vcc, 0, v2
	s_and_b64 vcc, vcc, exec
	s_or_b64 s[64:65], s[64:65], vcc
.LBB2_1062:                             ;   in Loop: Header=BB2_1060 Depth=2
	s_andn2_b64 s[62:63], s[62:63], exec
	s_and_b64 s[66:67], s[66:67], exec
	s_mov_b64 vcc, -1
	s_or_b64 s[62:63], s[62:63], s[66:67]
	s_and_saveexec_b64 s[66:67], s[64:65]
	s_cbranch_execz .LBB2_1059
; %bb.1063:                             ;   in Loop: Header=BB2_1060 Depth=2
	s_sleep 1
	s_trap 2
	ds_read_b64 v[8:9], v0
	s_andn2_b64 s[62:63], s[62:63], exec
	s_waitcnt lgkmcnt(0)
	v_cmp_ge_u64_e32 vcc, v[8:9], v[12:13]
	s_orn2_b64 vcc, vcc, exec
	s_branch .LBB2_1059
.LBB2_1064:                             ;   in Loop: Header=BB2_47 Depth=1
	v_ashrrev_i32_e32 v5, 31, v17
	v_lshrrev_b32_e32 v5, 21, v5
	v_add_u32_e32 v5, v17, v5
	v_ashrrev_i32_e32 v5, 11, v5
	v_accvgpr_read_b32 v8, a14
	v_sub_u32_e32 v15, v5, v8
	v_cmp_lt_i32_e32 vcc, 0, v15
	s_and_saveexec_b64 s[24:25], vcc
	s_cbranch_execz .LBB2_1068
; %bb.1065:                             ;   in Loop: Header=BB2_47 Depth=1
	s_trap 2
	ds_read_b64 v[8:9], v0
	v_accvgpr_read_b32 v10, a28
	s_mov_b64 s[30:31], 0
	v_accvgpr_read_b32 v11, a29
.LBB2_1066:                             ;   Parent Loop BB2_47 Depth=1
                                        ; =>  This Inner Loop Header: Depth=2
	s_waitcnt lgkmcnt(0)
	v_lshl_add_u64 v[18:19], v[8:9], 0, v[10:11]
	global_load_dwordx4 v[26:29], v[18:19], off nt
	global_load_dwordx4 v[36:39], v[18:19], off offset:1024 nt
	v_sub_u32_e32 v15, v15, v34
	v_cmp_gt_i32_e32 vcc, 1, v15
	v_lshl_add_u64 v[10:11], v[10:11], 0, v[58:59]
	s_or_b64 s[30:31], vcc, s[30:31]
	s_waitcnt vmcnt(0)
	global_store_dwordx4 v[18:19], v[26:29], off nt
	global_store_dwordx4 v[18:19], v[36:39], off offset:1024 nt
	s_andn2_b64 exec, exec, s[30:31]
	s_cbranch_execnz .LBB2_1066
; %bb.1067:                             ;   in Loop: Header=BB2_47 Depth=1
	s_or_b64 exec, exec, s[30:31]
	v_accvgpr_read_b32 v37, a23
	v_accvgpr_read_b32 v39, a15
	;; [unrolled: 1-line block ×3, first 2 shown]
.LBB2_1068:                             ;   in Loop: Header=BB2_47 Depth=1
	s_or_b64 exec, exec, s[24:25]
	v_lshlrev_b32_e32 v14, 11, v5
	v_cmp_ne_u32_e32 vcc, v17, v14
	s_mov_b64 s[52:53], 0
	v_mov_b32_e32 v18, 0
                                        ; implicit-def: $vgpr5
                                        ; implicit-def: $vgpr10
	s_and_saveexec_b64 s[30:31], vcc
	s_cbranch_execz .LBB2_1076
; %bb.1069:                             ;   in Loop: Header=BB2_47 Depth=1
	v_lshlrev_b32_e32 v5, 6, v15
	v_accvgpr_read_b32 v9, a26
	v_sub_u32_e32 v5, v9, v5
	v_ashrrev_i32_e32 v9, 31, v5
	v_lshrrev_b32_e32 v9, 26, v9
	v_add_u32_e32 v9, v5, v9
	v_sub_u32_e32 v8, v17, v14
	v_ashrrev_i32_e32 v11, 6, v9
	v_and_b32_e32 v9, 0xffffffc0, v9
	v_sub_u32_e32 v15, v5, v9
	v_ashrrev_i32_e32 v9, 31, v8
	v_lshrrev_b32_e32 v9, 22, v9
	v_add_u32_e32 v9, v8, v9
	v_and_b32_e32 v19, 0xfffffc00, v9
	v_lshlrev_b32_e32 v5, 4, v15
	v_sub_u32_e32 v30, v8, v19
	v_lshl_add_u32 v10, v11, 10, v5
	v_ashrrev_i32_e32 v18, 10, v9
	v_cmp_lt_i32_e32 vcc, 15, v30
	v_sub_u32_e32 v5, v8, v10
	s_nop 0
	v_addc_co_u32_e64 v8, s[24:25], 0, v18, vcc
	v_sub_u32_e32 v25, v8, v11
	v_cmp_lt_i32_e64 s[24:25], 15, v5
	s_and_saveexec_b64 s[52:53], s[24:25]
	s_cbranch_execz .LBB2_1073
; %bb.1070:                             ;   in Loop: Header=BB2_47 Depth=1
	s_trap 2
	ds_read_b64 v[8:9], v0
	v_add_u32_e32 v10, v10, v14
	v_ashrrev_i32_e32 v11, 31, v10
	s_mov_b64 s[54:55], 0
.LBB2_1071:                             ;   Parent Loop BB2_47 Depth=1
                                        ; =>  This Inner Loop Header: Depth=2
	s_waitcnt lgkmcnt(0)
	v_lshl_add_u64 v[36:37], v[8:9], 0, v[10:11]
	global_load_dwordx4 v[26:29], v[36:37], off nt
	v_sub_u32_e32 v5, v5, v49
	v_cmp_gt_i32_e64 s[24:25], 16, v5
	v_sub_u32_e32 v25, v25, v34
	v_lshl_add_u64 v[10:11], v[10:11], 0, v[42:43]
	s_or_b64 s[54:55], s[24:25], s[54:55]
	s_waitcnt vmcnt(0)
	global_store_dwordx4 v[36:37], v[26:29], off nt
	s_andn2_b64 exec, exec, s[54:55]
	s_cbranch_execnz .LBB2_1071
; %bb.1072:                             ;   in Loop: Header=BB2_47 Depth=1
	s_or_b64 exec, exec, s[54:55]
	v_accvgpr_read_b32 v37, a23
	v_accvgpr_read_b32 v36, a22
.LBB2_1073:                             ;   in Loop: Header=BB2_47 Depth=1
	s_or_b64 exec, exec, s[52:53]
	v_and_b32_e32 v8, 14, v17
	v_cndmask_b32_e32 v17, v30, v8, vcc
	v_cmp_ne_u32_e64 s[24:25], 0, v17
	s_mov_b64 s[52:53], 0
	v_mov_b32_e32 v18, 0
                                        ; implicit-def: $vgpr5
                                        ; implicit-def: $vgpr10
	s_and_saveexec_b64 s[54:55], s[24:25]
	s_cbranch_execz .LBB2_1075
; %bb.1074:                             ;   in Loop: Header=BB2_47 Depth=1
	v_sub_u32_e32 v5, v30, v8
	v_cndmask_b32_e32 v5, 0, v5, vcc
	v_cmp_lt_i32_e32 vcc, 0, v25
	v_add3_u32 v18, v19, v14, v5
	s_mov_b64 s[52:53], exec
	v_cndmask_b32_e32 v5, 0, v34, vcc
	v_sub_u32_e32 v5, v5, v25
	v_lshl_add_u32 v5, v5, 6, v15
	v_ashrrev_i32_e32 v8, 31, v5
	v_lshrrev_b32_e32 v8, 26, v8
	v_add_u32_e32 v8, v5, v8
	v_ashrrev_i32_e32 v10, 6, v8
.LBB2_1075:                             ;   in Loop: Header=BB2_47 Depth=1
	s_or_b64 exec, exec, s[54:55]
	s_and_b64 s[52:53], s[52:53], exec
.LBB2_1076:                             ;   in Loop: Header=BB2_47 Depth=1
	s_or_b64 exec, exec, s[30:31]
	s_and_saveexec_b64 s[24:25], s[52:53]
	s_cbranch_execz .LBB2_1085
.LBB2_1077:                             ;   in Loop: Header=BB2_47 Depth=1
	v_ashrrev_i32_e32 v8, 31, v17
	v_lshrrev_b32_e32 v8, 23, v8
	v_add_u32_e32 v8, v17, v8
	v_ashrrev_i32_e32 v30, 9, v8
	v_sub_u32_e32 v19, v30, v10
	v_ashrrev_i32_e32 v8, 31, v5
	v_cmp_lt_i32_e32 vcc, 0, v19
	v_lshrrev_b32_e32 v25, 26, v8
	s_and_saveexec_b64 s[30:31], vcc
	s_cbranch_execz .LBB2_1081
; %bb.1078:                             ;   in Loop: Header=BB2_47 Depth=1
	s_trap 2
	ds_read_b64 v[8:9], v0
	v_add_u32_e32 v11, v5, v25
	v_and_b32_e32 v11, 0x7fffffc0, v11
	v_sub_u32_e32 v11, v5, v11
	v_lshlrev_b32_e32 v11, 1, v11
	v_lshlrev_b32_e32 v10, 9, v10
	v_add3_u32 v10, v11, v18, v10
	v_ashrrev_i32_e32 v11, 31, v10
	s_mov_b64 s[52:53], 0
	s_waitcnt lgkmcnt(0)
	v_mov_b64_e32 v[14:15], v[8:9]
.LBB2_1079:                             ;   Parent Loop BB2_47 Depth=1
                                        ; =>  This Inner Loop Header: Depth=2
	v_lshl_add_u64 v[26:27], v[10:11], 0, v[14:15]
	flat_load_ushort v28, v[26:27] nt
	flat_load_ushort v29, v[26:27] offset:128 nt
	flat_load_ushort v31, v[26:27] offset:256 nt
	;; [unrolled: 1-line block ×3, first 2 shown]
	v_sub_u32_e32 v19, v19, v34
	v_cmp_gt_i32_e32 vcc, 1, v19
	v_lshl_add_u64 v[26:27], v[10:11], 0, v[8:9]
	v_lshl_add_u64 v[14:15], v[14:15], 0, v[40:41]
	;; [unrolled: 1-line block ×3, first 2 shown]
	s_or_b64 s[52:53], vcc, s[52:53]
	s_waitcnt vmcnt(0) lgkmcnt(0)
	flat_store_short v[26:27], v28 nt
	flat_store_short v[26:27], v29 offset:128 nt
	flat_store_short v[26:27], v31 offset:256 nt
	;; [unrolled: 1-line block ×3, first 2 shown]
	s_andn2_b64 exec, exec, s[52:53]
	s_cbranch_execnz .LBB2_1079
; %bb.1080:                             ;   in Loop: Header=BB2_47 Depth=1
	s_or_b64 exec, exec, s[52:53]
	v_accvgpr_read_b32 v37, a23
	v_accvgpr_read_b32 v36, a22
.LBB2_1081:                             ;   in Loop: Header=BB2_47 Depth=1
	s_or_b64 exec, exec, s[30:31]
	v_lshlrev_b32_e32 v8, 9, v30
	v_cmp_ne_u32_e32 vcc, v17, v8
	s_and_b64 exec, exec, vcc
	s_cbranch_execz .LBB2_1085
; %bb.1082:                             ;   in Loop: Header=BB2_47 Depth=1
	v_add_u32_e32 v9, v5, v25
	v_and_b32_e32 v9, 0xffffffc0, v9
	v_sub_u32_e32 v5, v5, v9
	v_lshlrev_b32_e32 v9, 6, v19
	v_sub_u32_e32 v5, v5, v9
	v_ashrrev_i32_e32 v9, 31, v5
	v_lshrrev_b32_e32 v9, 26, v9
	v_add_u32_e32 v9, v5, v9
	v_and_b32_e32 v10, 0x7fffffc0, v9
	v_sub_u32_e32 v5, v5, v10
	v_lshlrev_b32_e32 v9, 1, v9
	v_and_b32_e32 v9, 0xffffff80, v9
	v_lshlrev_b32_e32 v5, 1, v5
	v_add3_u32 v10, v9, v5, v8
	v_sub_u32_e32 v5, v17, v10
	v_cmp_lt_i32_e32 vcc, 1, v5
	s_and_b64 exec, exec, vcc
	s_cbranch_execz .LBB2_1085
; %bb.1083:                             ;   in Loop: Header=BB2_47 Depth=1
	s_trap 2
	ds_read_b64 v[8:9], v0
	v_add_u32_e32 v10, v10, v18
	v_ashrrev_i32_e32 v11, 31, v10
	s_mov_b64 s[30:31], 0
.LBB2_1084:                             ;   Parent Loop BB2_47 Depth=1
                                        ; =>  This Inner Loop Header: Depth=2
	s_waitcnt lgkmcnt(0)
	v_lshl_add_u64 v[14:15], v[8:9], 0, v[10:11]
	flat_load_ushort v17, v[14:15] nt
	v_sub_u32_e32 v5, v5, v4
	v_cmp_gt_i32_e32 vcc, 2, v5
	v_lshl_add_u64 v[10:11], v[10:11], 0, v[44:45]
	s_or_b64 s[30:31], vcc, s[30:31]
	s_waitcnt vmcnt(0) lgkmcnt(0)
	flat_store_short v[14:15], v17 nt
	s_andn2_b64 exec, exec, s[30:31]
	s_cbranch_execnz .LBB2_1084
.LBB2_1085:                             ;   in Loop: Header=BB2_47 Depth=1
	s_or_b64 exec, exec, s[24:25]
	v_cmp_lt_i32_e64 s[24:25], 0, v2
	s_and_saveexec_b64 s[30:31], s[6:7]
	s_cbranch_execnz .LBB2_1053
.LBB2_1086:                             ;   in Loop: Header=BB2_47 Depth=1
	s_or_b64 exec, exec, s[30:31]
	s_and_saveexec_b64 vcc, s[22:23]
	s_xor_b64 s[30:31], exec, vcc
	s_cbranch_execz .LBB2_1097
.LBB2_1087:                             ;   in Loop: Header=BB2_47 Depth=1
	v_and_b32_e32 v2, 16, v62
	v_cmp_ne_u32_e32 vcc, 0, v2
	s_and_b64 vcc, vcc, s[24:25]
	s_and_saveexec_b64 s[24:25], vcc
	s_cbranch_execz .LBB2_1089
; %bb.1088:                             ;   in Loop: Header=BB2_47 Depth=1
	buffer_wbl2 sc1
	s_waitcnt vmcnt(0) lgkmcnt(0)
	buffer_inv sc1
.LBB2_1089:                             ;   in Loop: Header=BB2_47 Depth=1
	s_or_b64 exec, exec, s[24:25]
	s_andn2_saveexec_b64 s[24:25], s[30:31]
	s_cbranch_execz .LBB2_1116
	s_branch .LBB2_1098
.LBB2_1090:                             ;   in Loop: Header=BB2_47 Depth=1
	s_or_b64 exec, exec, s[58:59]
	s_and_saveexec_b64 vcc, s[60:61]
	s_xor_b64 vcc, exec, vcc
	s_cbranch_execz .LBB2_1092
; %bb.1091:                             ;   in Loop: Header=BB2_47 Depth=1
	ds_write_b32 v0, v0
	s_trap 2
.LBB2_1092:                             ;   in Loop: Header=BB2_47 Depth=1
	s_or_b64 exec, exec, s[56:57]
	;;#ASMSTART
	s_wakeup
	;;#ASMEND
.LBB2_1093:                             ;   in Loop: Header=BB2_47 Depth=1
	s_or_b64 exec, exec, s[54:55]
.LBB2_1094:                             ;   in Loop: Header=BB2_47 Depth=1
	s_andn2_saveexec_b64 vcc, s[52:53]
	s_cbranch_execz .LBB2_1096
; %bb.1095:                             ;   in Loop: Header=BB2_47 Depth=1
	s_waitcnt lgkmcnt(0)
	s_barrier
.LBB2_1096:                             ;   in Loop: Header=BB2_47 Depth=1
	s_or_b64 exec, exec, vcc
	s_or_b64 exec, exec, s[30:31]
	s_and_saveexec_b64 vcc, s[22:23]
	s_xor_b64 s[30:31], exec, vcc
	s_cbranch_execnz .LBB2_1087
.LBB2_1097:                             ;   in Loop: Header=BB2_47 Depth=1
	s_andn2_saveexec_b64 s[24:25], s[30:31]
	s_cbranch_execz .LBB2_1116
.LBB2_1098:                             ;   in Loop: Header=BB2_47 Depth=1
	s_and_saveexec_b64 vcc, s[40:41]
	s_xor_b64 s[30:31], exec, vcc
	s_cbranch_execz .LBB2_1113
; %bb.1099:                             ;   in Loop: Header=BB2_47 Depth=1
	s_and_saveexec_b64 s[52:53], s[14:15]
	s_cbranch_execz .LBB2_1112
; %bb.1100:                             ;   in Loop: Header=BB2_47 Depth=1
	s_mov_b64 s[56:57], exec
	v_mbcnt_lo_u32_b32 v2, s56, 0
	v_mbcnt_hi_u32_b32 v2, s57, v2
	v_cmp_eq_u32_e32 vcc, 0, v2
	;;#ASMSTART
	s_waitcnt lgkmcnt(0) vmcnt(0)
	;;#ASMEND
	s_and_saveexec_b64 s[54:55], vcc
	s_cbranch_execz .LBB2_1102
; %bb.1101:                             ;   in Loop: Header=BB2_47 Depth=1
	s_bcnt1_i32_b64 vcc_lo, s[56:57]
	v_mov_b32_e32 v2, vcc_lo
	ds_add_u64 v0, v[2:3]
	s_trap 2
.LBB2_1102:                             ;   in Loop: Header=BB2_47 Depth=1
	s_or_b64 exec, exec, s[54:55]
	s_trap 2
	ds_read_b64 v[8:9], v0
	v_lshl_add_u64 v[12:13], v[12:13], 0, v[34:35]
	s_waitcnt lgkmcnt(0)
	v_cmp_lt_u64_e32 vcc, v[8:9], v[12:13]
	s_and_saveexec_b64 s[54:55], vcc
	s_cbranch_execz .LBB2_1111
; %bb.1103:                             ;   in Loop: Header=BB2_47 Depth=1
	s_mov_b32 s66, 0
	s_mov_b64 s[56:57], 0
                                        ; implicit-def: $sgpr58_sgpr59
                                        ; implicit-def: $sgpr60_sgpr61
	s_branch .LBB2_1105
.LBB2_1104:                             ;   in Loop: Header=BB2_1105 Depth=2
	s_or_b64 exec, exec, s[64:65]
	s_and_b64 vcc, exec, vcc
	s_or_b64 s[56:57], vcc, s[56:57]
	s_andn2_b64 vcc, s[58:59], exec
	s_and_b64 s[58:59], s[60:61], exec
	s_or_b64 s[58:59], vcc, s[58:59]
	s_andn2_b64 exec, exec, s[56:57]
	s_cbranch_execz .LBB2_1109
.LBB2_1105:                             ;   Parent Loop BB2_47 Depth=1
                                        ; =>  This Inner Loop Header: Depth=2
	s_add_i32 s66, s66, 1
	s_cmpk_lg_i32 s66, 0x2710
	s_cselect_b64 s[62:63], -1, 0
	s_and_b64 vcc, exec, s[62:63]
                                        ; implicit-def: $sgpr64_sgpr65
	s_cbranch_vccnz .LBB2_1107
; %bb.1106:                             ;   in Loop: Header=BB2_1105 Depth=2
	s_trap 2
	ds_read_b64 v[8:9], v0
	s_andn2_b64 s[62:63], s[62:63], exec
	s_mov_b32 s66, 0
	s_mov_b64 s[64:65], -1
	s_waitcnt vmcnt(0) lgkmcnt(0)
	flat_load_dword v2, v[8:9] sc0 sc1
	s_waitcnt vmcnt(0) lgkmcnt(0)
	buffer_inv sc0 sc1
	v_cmp_eq_u32_e32 vcc, 0, v2
	s_and_b64 vcc, vcc, exec
	s_or_b64 s[62:63], s[62:63], vcc
.LBB2_1107:                             ;   in Loop: Header=BB2_1105 Depth=2
	s_andn2_b64 s[60:61], s[60:61], exec
	s_and_b64 s[64:65], s[64:65], exec
	s_mov_b64 vcc, -1
	s_or_b64 s[60:61], s[60:61], s[64:65]
	s_and_saveexec_b64 s[64:65], s[62:63]
	s_cbranch_execz .LBB2_1104
; %bb.1108:                             ;   in Loop: Header=BB2_1105 Depth=2
	s_sleep 1
	s_trap 2
	ds_read_b64 v[8:9], v0
	s_andn2_b64 s[60:61], s[60:61], exec
	s_waitcnt lgkmcnt(0)
	v_cmp_ge_u64_e32 vcc, v[8:9], v[12:13]
	s_orn2_b64 vcc, vcc, exec
	s_branch .LBB2_1104
.LBB2_1109:                             ;   in Loop: Header=BB2_47 Depth=1
	s_or_b64 exec, exec, s[56:57]
	s_and_saveexec_b64 vcc, s[58:59]
	s_xor_b64 vcc, exec, vcc
	s_cbranch_execz .LBB2_1111
; %bb.1110:                             ;   in Loop: Header=BB2_47 Depth=1
	ds_write_b32 v0, v0
	s_trap 2
.LBB2_1111:                             ;   in Loop: Header=BB2_47 Depth=1
	s_or_b64 exec, exec, s[54:55]
	;;#ASMSTART
	s_wakeup
	;;#ASMEND
.LBB2_1112:                             ;   in Loop: Header=BB2_47 Depth=1
	s_or_b64 exec, exec, s[52:53]
.LBB2_1113:                             ;   in Loop: Header=BB2_47 Depth=1
	s_andn2_saveexec_b64 vcc, s[30:31]
	s_cbranch_execz .LBB2_1115
; %bb.1114:                             ;   in Loop: Header=BB2_47 Depth=1
	;;#ASMSTART
	s_waitcnt lgkmcnt(0) vmcnt(0)
	;;#ASMEND
	s_barrier
.LBB2_1115:                             ;   in Loop: Header=BB2_47 Depth=1
	s_or_b64 exec, exec, vcc
.LBB2_1116:                             ;   in Loop: Header=BB2_47 Depth=1
	s_or_b64 exec, exec, s[24:25]
	v_and_b32_e32 v2, 32, v62
	v_cmp_ne_u32_e32 vcc, 0, v2
	s_and_saveexec_b64 s[24:25], vcc
	s_cbranch_execz .LBB2_1118
; %bb.1117:                             ;   in Loop: Header=BB2_47 Depth=1
	v_lshl_add_u64 v[20:21], v[20:21], 0, 4
	flat_store_dwordx2 v[22:23], v[20:21] sc0 sc1
.LBB2_1118:                             ;   in Loop: Header=BB2_47 Depth=1
	s_or_b64 exec, exec, s[24:25]
	v_mov_b32_e32 v14, v16
.LBB2_1119:                             ;   in Loop: Header=BB2_47 Depth=1
	s_or_b64 exec, exec, s[28:29]
	s_and_saveexec_b64 s[28:29], s[26:27]
	s_cbranch_execz .LBB2_46
; %bb.1120:                             ;   in Loop: Header=BB2_47 Depth=1
	v_and_b32_e32 v2, 4, v62
	v_cmp_ne_u32_e32 vcc, 0, v2
	s_mov_b64 s[26:27], -1
	s_and_saveexec_b64 s[24:25], vcc
	s_cbranch_execz .LBB2_1130
; %bb.1121:                             ;   in Loop: Header=BB2_47 Depth=1
	v_lshl_add_u64 v[8:9], v[20:21], 0, 4
	v_cmp_lt_u64_e32 vcc, v[32:33], v[8:9]
	v_mov_b32_e32 v2, 1
	s_and_saveexec_b64 s[26:27], vcc
	s_cbranch_execz .LBB2_1145
; %bb.1122:                             ;   in Loop: Header=BB2_47 Depth=1
	s_mov_b64 s[30:31], 0
	v_mov_b32_e32 v2, 0
                                        ; implicit-def: $sgpr52_sgpr53
	s_branch .LBB2_1126
.LBB2_1123:                             ;   in Loop: Header=BB2_1126 Depth=2
	s_or_b64 exec, exec, s[60:61]
	v_mov_b32_e32 v5, 0
	s_orn2_b64 s[58:59], s[58:59], exec
.LBB2_1124:                             ;   in Loop: Header=BB2_1126 Depth=2
	s_or_b64 exec, exec, s[56:57]
	s_andn2_b64 vcc, s[52:53], exec
	s_and_b64 s[52:53], s[58:59], exec
	s_or_b64 s[52:53], vcc, s[52:53]
	v_mov_b32_e32 v2, v5
.LBB2_1125:                             ;   in Loop: Header=BB2_1126 Depth=2
	s_or_b64 exec, exec, s[54:55]
	s_waitcnt vmcnt(0) lgkmcnt(0)
	v_cmp_ge_u64_e32 vcc, v[32:33], v[8:9]
	s_xor_b64 s[54:55], s[52:53], -1
	s_or_b64 vcc, s[54:55], vcc
	s_and_b64 vcc, exec, vcc
	s_or_b64 s[30:31], vcc, s[30:31]
	s_andn2_b64 exec, exec, s[30:31]
	s_cbranch_execz .LBB2_1144
.LBB2_1126:                             ;   Parent Loop BB2_47 Depth=1
                                        ; =>  This Inner Loop Header: Depth=2
	s_sleep 1
	flat_load_dwordx2 v[32:33], v[22:23] sc0 sc1
	v_and_b32_e32 v5, 64, v62
	v_cmp_eq_u32_e32 vcc, 0, v5
	s_andn2_b64 s[52:53], s[52:53], exec
	s_and_saveexec_b64 s[54:55], vcc
	s_cbranch_execz .LBB2_1125
; %bb.1127:                             ;   in Loop: Header=BB2_1126 Depth=2
	v_add_u32_e32 v5, 1, v2
	v_cmp_lt_i32_e32 vcc, s72, v2
	s_mov_b64 s[58:59], -1
	s_and_saveexec_b64 s[56:57], vcc
	s_cbranch_execz .LBB2_1124
; %bb.1128:                             ;   in Loop: Header=BB2_1126 Depth=2
	s_trap 2
	ds_read_b64 v[10:11], v0
	s_waitcnt vmcnt(0) lgkmcnt(0)
	flat_load_dword v2, v[10:11] sc0 sc1
	s_waitcnt vmcnt(0) lgkmcnt(0)
	buffer_inv sc0 sc1
	v_cmp_ne_u32_e32 vcc, 0, v2
	s_and_saveexec_b64 s[60:61], vcc
	s_cbranch_execz .LBB2_1123
; %bb.1129:                             ;   in Loop: Header=BB2_1126 Depth=2
	v_or_b32_e32 v62, 64, v62
	s_xor_b64 s[58:59], exec, -1
	ds_write_b32 v0, v2
	s_trap 2
	s_branch .LBB2_1123
.LBB2_1130:                             ;   in Loop: Header=BB2_47 Depth=1
	s_or_b64 exec, exec, s[24:25]
	s_xor_b64 s[24:25], s[26:27], -1
	s_and_saveexec_b64 s[26:27], s[24:25]
	s_cbranch_execz .LBB2_1146
.LBB2_1131:                             ;   in Loop: Header=BB2_47 Depth=1
	v_and_b32_e32 v2, 0x100, v62
	v_cmp_ne_u32_e32 vcc, 0, v2
	v_and_b32_e32 v2, 7, v20
	s_mov_b64 s[24:25], -1
                                        ; implicit-def: $vgpr8_vgpr9
	s_and_saveexec_b64 s[30:31], vcc
	s_cbranch_execz .LBB2_1135
; %bb.1132:                             ;   in Loop: Header=BB2_47 Depth=1
	v_mad_u64_u32 v[10:11], s[24:25], v2, 24, v[6:7]
	flat_load_dword v5, v[10:11]
                                        ; implicit-def: $vgpr8_vgpr9
	s_waitcnt vmcnt(0) lgkmcnt(0)
	v_cmp_ne_u32_e32 vcc, 1, v5
	v_cmp_eq_u32_e64 s[24:25], 1, v5
	s_and_saveexec_b64 s[52:53], s[24:25]
	s_cbranch_execz .LBB2_1134
; %bb.1133:                             ;   in Loop: Header=BB2_47 Depth=1
	flat_load_dword v8, v[10:11] offset:4 sc0 sc1
	s_waitcnt vmcnt(0) lgkmcnt(0)
	v_ashrrev_i32_e32 v9, 31, v8
	v_lshrrev_b64 v[8:9], 1, v[8:9]
.LBB2_1134:                             ;   in Loop: Header=BB2_47 Depth=1
	s_or_b64 exec, exec, s[52:53]
	s_orn2_b64 s[24:25], vcc, exec
.LBB2_1135:                             ;   in Loop: Header=BB2_47 Depth=1
	s_or_b64 exec, exec, s[30:31]
	s_and_saveexec_b64 vcc, s[24:25]
; %bb.1136:                             ;   in Loop: Header=BB2_47 Depth=1
	v_mad_i64_i32 v[8:9], s[24:25], v2, v24, 0
; %bb.1137:                             ;   in Loop: Header=BB2_47 Depth=1
	s_or_b64 exec, exec, vcc
	v_and_b32_e32 v2, 0x2000, v62
	v_lshl_add_u64 v[8:9], v[8:9], 1, v[60:61]
	v_cmp_ne_u32_e32 vcc, 0, v2
	ds_write_b64 v0, v[8:9] offset:720
	s_and_saveexec_b64 s[24:25], vcc
	s_cbranch_execz .LBB2_1139
; %bb.1138:                             ;   in Loop: Header=BB2_47 Depth=1
	ds_read_b64 v[8:9], v0 offset:584
	s_waitcnt lgkmcnt(0)
	v_lshl_add_u64 v[8:9], v[8:9], 0, 1
	ds_write_b64 v0, v[8:9] offset:584
.LBB2_1139:                             ;   in Loop: Header=BB2_47 Depth=1
	s_or_b64 exec, exec, s[24:25]
	v_lshl_add_u64 v[20:21], v[20:21], 0, 4
	s_or_b64 exec, exec, s[26:27]
	s_and_saveexec_b64 s[24:25], s[6:7]
	s_cbranch_execnz .LBB2_1147
.LBB2_1140:                             ;   in Loop: Header=BB2_47 Depth=1
	s_or_b64 exec, exec, s[24:25]
	s_and_saveexec_b64 s[24:25], s[22:23]
	s_xor_b64 s[24:25], exec, s[24:25]
	s_cbranch_execz .LBB2_1165
.LBB2_1141:                             ;   in Loop: Header=BB2_47 Depth=1
	s_trap 2
	ds_read_b32 v2, v0
	v_sub_u32_e32 v1, v1, v14
	v_min_i32_e32 v1, v16, v1
	v_cmp_lt_i32_e32 vcc, 0, v1
	v_and_b32_e32 v1, 16, v62
	s_waitcnt lgkmcnt(0)
	v_readfirstlane_b32 s26, v2
	s_cmp_eq_u32 s26, 0
	s_cselect_b64 s[26:27], -1, 0
	s_and_b64 s[26:27], vcc, s[26:27]
	v_cmp_ne_u32_e32 vcc, 0, v1
	s_and_b64 vcc, vcc, s[26:27]
	s_and_saveexec_b64 s[26:27], vcc
	s_cbranch_execz .LBB2_1143
; %bb.1142:                             ;   in Loop: Header=BB2_47 Depth=1
	buffer_wbl2 sc1
	s_waitcnt vmcnt(0)
	buffer_inv sc1
.LBB2_1143:                             ;   in Loop: Header=BB2_47 Depth=1
	s_or_b64 exec, exec, s[26:27]
	s_andn2_saveexec_b64 s[24:25], s[24:25]
	s_cbranch_execz .LBB2_1184
	s_branch .LBB2_1166
.LBB2_1144:                             ;   in Loop: Header=BB2_47 Depth=1
	s_or_b64 exec, exec, s[30:31]
	v_and_b32_e32 v2, 4, v62
.LBB2_1145:                             ;   in Loop: Header=BB2_47 Depth=1
	s_or_b64 exec, exec, s[26:27]
	v_cmp_eq_u32_e32 vcc, 0, v2
	s_orn2_b64 s[26:27], vcc, exec
	;;#ASMSTART
	s_wakeup
	;;#ASMEND
	s_or_b64 exec, exec, s[24:25]
	s_xor_b64 s[24:25], s[26:27], -1
	s_and_saveexec_b64 s[26:27], s[24:25]
	s_cbranch_execnz .LBB2_1131
.LBB2_1146:                             ;   in Loop: Header=BB2_47 Depth=1
	s_or_b64 exec, exec, s[26:27]
	s_and_saveexec_b64 s[24:25], s[6:7]
	s_cbranch_execz .LBB2_1140
.LBB2_1147:                             ;   in Loop: Header=BB2_47 Depth=1
	s_and_saveexec_b64 s[26:27], s[40:41]
	s_xor_b64 s[26:27], exec, s[26:27]
	s_cbranch_execz .LBB2_1162
; %bb.1148:                             ;   in Loop: Header=BB2_47 Depth=1
	s_and_saveexec_b64 s[30:31], s[14:15]
	s_cbranch_execz .LBB2_1161
; %bb.1149:                             ;   in Loop: Header=BB2_47 Depth=1
	s_mov_b64 s[54:55], exec
	v_mbcnt_lo_u32_b32 v2, s54, 0
	v_mbcnt_hi_u32_b32 v2, s55, v2
	v_cmp_eq_u32_e32 vcc, 0, v2
	s_waitcnt lgkmcnt(0)
	s_and_saveexec_b64 s[52:53], vcc
	s_cbranch_execz .LBB2_1151
; %bb.1150:                             ;   in Loop: Header=BB2_47 Depth=1
	s_bcnt1_i32_b64 vcc_lo, s[54:55]
	v_mov_b32_e32 v2, vcc_lo
	ds_add_u64 v0, v[2:3]
	s_trap 2
.LBB2_1151:                             ;   in Loop: Header=BB2_47 Depth=1
	s_or_b64 exec, exec, s[52:53]
	s_trap 2
	ds_read_b64 v[8:9], v0
	v_lshl_add_u64 v[12:13], v[12:13], 0, v[34:35]
	s_waitcnt lgkmcnt(0)
	v_cmp_lt_u64_e32 vcc, v[8:9], v[12:13]
	s_and_saveexec_b64 s[52:53], vcc
	s_cbranch_execz .LBB2_1160
; %bb.1152:                             ;   in Loop: Header=BB2_47 Depth=1
	s_mov_b32 s64, 0
	s_mov_b64 s[54:55], 0
                                        ; implicit-def: $sgpr56_sgpr57
                                        ; implicit-def: $sgpr58_sgpr59
	s_branch .LBB2_1154
.LBB2_1153:                             ;   in Loop: Header=BB2_1154 Depth=2
	s_or_b64 exec, exec, s[62:63]
	s_and_b64 vcc, exec, vcc
	s_or_b64 s[54:55], vcc, s[54:55]
	s_andn2_b64 vcc, s[56:57], exec
	s_and_b64 s[56:57], s[58:59], exec
	s_or_b64 s[56:57], vcc, s[56:57]
	s_andn2_b64 exec, exec, s[54:55]
	s_cbranch_execz .LBB2_1158
.LBB2_1154:                             ;   Parent Loop BB2_47 Depth=1
                                        ; =>  This Inner Loop Header: Depth=2
	s_add_i32 s64, s64, 1
	s_cmpk_lg_i32 s64, 0x2710
	s_cselect_b64 s[60:61], -1, 0
	s_and_b64 vcc, exec, s[60:61]
                                        ; implicit-def: $sgpr62_sgpr63
	s_cbranch_vccnz .LBB2_1156
; %bb.1155:                             ;   in Loop: Header=BB2_1154 Depth=2
	s_trap 2
	ds_read_b64 v[8:9], v0
	s_andn2_b64 s[60:61], s[60:61], exec
	s_mov_b32 s64, 0
	s_mov_b64 s[62:63], -1
	s_waitcnt vmcnt(0) lgkmcnt(0)
	flat_load_dword v2, v[8:9] sc0 sc1
	s_waitcnt vmcnt(0) lgkmcnt(0)
	buffer_inv sc0 sc1
	v_cmp_eq_u32_e32 vcc, 0, v2
	s_and_b64 vcc, vcc, exec
	s_or_b64 s[60:61], s[60:61], vcc
.LBB2_1156:                             ;   in Loop: Header=BB2_1154 Depth=2
	s_andn2_b64 s[58:59], s[58:59], exec
	s_and_b64 s[62:63], s[62:63], exec
	s_mov_b64 vcc, -1
	s_or_b64 s[58:59], s[58:59], s[62:63]
	s_and_saveexec_b64 s[62:63], s[60:61]
	s_cbranch_execz .LBB2_1153
; %bb.1157:                             ;   in Loop: Header=BB2_1154 Depth=2
	s_sleep 1
	s_trap 2
	ds_read_b64 v[8:9], v0
	s_andn2_b64 s[58:59], s[58:59], exec
	s_waitcnt lgkmcnt(0)
	v_cmp_ge_u64_e32 vcc, v[8:9], v[12:13]
	s_orn2_b64 vcc, vcc, exec
	s_branch .LBB2_1153
.LBB2_1158:                             ;   in Loop: Header=BB2_47 Depth=1
	s_or_b64 exec, exec, s[54:55]
	s_and_saveexec_b64 vcc, s[56:57]
	s_xor_b64 vcc, exec, vcc
	s_cbranch_execz .LBB2_1160
; %bb.1159:                             ;   in Loop: Header=BB2_47 Depth=1
	ds_write_b32 v0, v0
	s_trap 2
.LBB2_1160:                             ;   in Loop: Header=BB2_47 Depth=1
	s_or_b64 exec, exec, s[52:53]
	;;#ASMSTART
	s_wakeup
	;;#ASMEND
.LBB2_1161:                             ;   in Loop: Header=BB2_47 Depth=1
	s_or_b64 exec, exec, s[30:31]
.LBB2_1162:                             ;   in Loop: Header=BB2_47 Depth=1
	s_andn2_saveexec_b64 s[26:27], s[26:27]
	s_cbranch_execz .LBB2_1164
; %bb.1163:                             ;   in Loop: Header=BB2_47 Depth=1
	s_waitcnt lgkmcnt(0)
	s_barrier
.LBB2_1164:                             ;   in Loop: Header=BB2_47 Depth=1
	s_or_b64 exec, exec, s[26:27]
	s_or_b64 exec, exec, s[24:25]
	s_and_saveexec_b64 s[24:25], s[22:23]
	s_xor_b64 s[24:25], exec, s[24:25]
	s_cbranch_execnz .LBB2_1141
.LBB2_1165:                             ;   in Loop: Header=BB2_47 Depth=1
	s_andn2_saveexec_b64 s[24:25], s[24:25]
	s_cbranch_execz .LBB2_1184
.LBB2_1166:                             ;   in Loop: Header=BB2_47 Depth=1
	s_and_saveexec_b64 s[26:27], s[40:41]
	s_xor_b64 s[26:27], exec, s[26:27]
	s_cbranch_execz .LBB2_1181
; %bb.1167:                             ;   in Loop: Header=BB2_47 Depth=1
	s_and_saveexec_b64 s[30:31], s[14:15]
	s_cbranch_execz .LBB2_1180
; %bb.1168:                             ;   in Loop: Header=BB2_47 Depth=1
	s_mov_b64 s[54:55], exec
	v_mbcnt_lo_u32_b32 v1, s54, 0
	v_mbcnt_hi_u32_b32 v1, s55, v1
	v_cmp_eq_u32_e32 vcc, 0, v1
	;;#ASMSTART
	s_waitcnt lgkmcnt(0) vmcnt(0)
	;;#ASMEND
	s_and_saveexec_b64 s[52:53], vcc
	s_cbranch_execz .LBB2_1170
; %bb.1169:                             ;   in Loop: Header=BB2_47 Depth=1
	s_bcnt1_i32_b64 vcc_lo, s[54:55]
	v_mov_b32_e32 v2, vcc_lo
	ds_add_u64 v0, v[2:3]
	s_trap 2
.LBB2_1170:                             ;   in Loop: Header=BB2_47 Depth=1
	s_or_b64 exec, exec, s[52:53]
	s_trap 2
	ds_read_b64 v[8:9], v0
	v_lshl_add_u64 v[12:13], v[12:13], 0, v[34:35]
	s_waitcnt lgkmcnt(0)
	v_cmp_lt_u64_e32 vcc, v[8:9], v[12:13]
	s_and_saveexec_b64 s[52:53], vcc
	s_cbranch_execz .LBB2_1179
; %bb.1171:                             ;   in Loop: Header=BB2_47 Depth=1
	s_mov_b32 s64, 0
	s_mov_b64 s[54:55], 0
                                        ; implicit-def: $sgpr56_sgpr57
                                        ; implicit-def: $sgpr58_sgpr59
	s_branch .LBB2_1173
.LBB2_1172:                             ;   in Loop: Header=BB2_1173 Depth=2
	s_or_b64 exec, exec, s[62:63]
	s_and_b64 vcc, exec, vcc
	s_or_b64 s[54:55], vcc, s[54:55]
	s_andn2_b64 vcc, s[56:57], exec
	s_and_b64 s[56:57], s[58:59], exec
	s_or_b64 s[56:57], vcc, s[56:57]
	s_andn2_b64 exec, exec, s[54:55]
	s_cbranch_execz .LBB2_1177
.LBB2_1173:                             ;   Parent Loop BB2_47 Depth=1
                                        ; =>  This Inner Loop Header: Depth=2
	s_add_i32 s64, s64, 1
	s_cmpk_lg_i32 s64, 0x2710
	s_cselect_b64 s[60:61], -1, 0
	s_and_b64 vcc, exec, s[60:61]
                                        ; implicit-def: $sgpr62_sgpr63
	s_cbranch_vccnz .LBB2_1175
; %bb.1174:                             ;   in Loop: Header=BB2_1173 Depth=2
	s_trap 2
	ds_read_b64 v[8:9], v0
	s_andn2_b64 s[60:61], s[60:61], exec
	s_mov_b32 s64, 0
	s_mov_b64 s[62:63], -1
	s_waitcnt vmcnt(0) lgkmcnt(0)
	flat_load_dword v1, v[8:9] sc0 sc1
	s_waitcnt vmcnt(0) lgkmcnt(0)
	buffer_inv sc0 sc1
	v_cmp_eq_u32_e32 vcc, 0, v1
	s_and_b64 vcc, vcc, exec
	s_or_b64 s[60:61], s[60:61], vcc
.LBB2_1175:                             ;   in Loop: Header=BB2_1173 Depth=2
	s_andn2_b64 s[58:59], s[58:59], exec
	s_and_b64 s[62:63], s[62:63], exec
	s_mov_b64 vcc, -1
	s_or_b64 s[58:59], s[58:59], s[62:63]
	s_and_saveexec_b64 s[62:63], s[60:61]
	s_cbranch_execz .LBB2_1172
; %bb.1176:                             ;   in Loop: Header=BB2_1173 Depth=2
	s_sleep 1
	s_trap 2
	ds_read_b64 v[8:9], v0
	s_andn2_b64 s[58:59], s[58:59], exec
	s_waitcnt lgkmcnt(0)
	v_cmp_ge_u64_e32 vcc, v[8:9], v[12:13]
	s_orn2_b64 vcc, vcc, exec
	s_branch .LBB2_1172
.LBB2_1177:                             ;   in Loop: Header=BB2_47 Depth=1
	s_or_b64 exec, exec, s[54:55]
	s_and_saveexec_b64 vcc, s[56:57]
	s_xor_b64 vcc, exec, vcc
	s_cbranch_execz .LBB2_1179
; %bb.1178:                             ;   in Loop: Header=BB2_47 Depth=1
	ds_write_b32 v0, v0
	s_trap 2
.LBB2_1179:                             ;   in Loop: Header=BB2_47 Depth=1
	s_or_b64 exec, exec, s[52:53]
	;;#ASMSTART
	s_wakeup
	;;#ASMEND
.LBB2_1180:                             ;   in Loop: Header=BB2_47 Depth=1
	s_or_b64 exec, exec, s[30:31]
.LBB2_1181:                             ;   in Loop: Header=BB2_47 Depth=1
	s_andn2_saveexec_b64 s[26:27], s[26:27]
	s_cbranch_execz .LBB2_1183
; %bb.1182:                             ;   in Loop: Header=BB2_47 Depth=1
	;;#ASMSTART
	s_waitcnt lgkmcnt(0) vmcnt(0)
	;;#ASMEND
	s_barrier
.LBB2_1183:                             ;   in Loop: Header=BB2_47 Depth=1
	s_or_b64 exec, exec, s[26:27]
.LBB2_1184:                             ;   in Loop: Header=BB2_47 Depth=1
	s_or_b64 exec, exec, s[24:25]
	v_and_b32_e32 v1, 32, v62
	v_cmp_ne_u32_e32 vcc, 0, v1
	s_and_saveexec_b64 s[24:25], vcc
	s_cbranch_execz .LBB2_45
; %bb.1185:                             ;   in Loop: Header=BB2_47 Depth=1
	v_lshl_add_u64 v[20:21], v[20:21], 0, 4
	flat_store_dwordx2 v[22:23], v[20:21] sc0 sc1
	s_branch .LBB2_45
.LBB2_1186:
	s_or_b64 exec, exec, s[38:39]
	v_accvgpr_read_b32 v27, a11
	v_accvgpr_read_b32 v31, a0
	v_accvgpr_read_b32 v14, a1
	v_accvgpr_read_b32 v15, a2
	v_accvgpr_read_b32 v26, a10
.LBB2_1187:
	s_or_b64 exec, exec, s[36:37]
	v_and_b32_e32 v0, 0x800, v62
	v_cmp_eq_u32_e32 vcc, 0, v0
	s_and_saveexec_b64 s[0:1], vcc
	s_cbranch_execz .LBB2_1222
; %bb.1188:
	v_and_b32_e32 v0, 48, v62
	v_cmp_ne_u32_e32 vcc, 0, v0
	s_and_saveexec_b64 s[2:3], vcc
	s_cbranch_execz .LBB2_1190
; %bb.1189:
	flat_store_dwordx2 v[26:27], v[20:21] offset:104
.LBB2_1190:
	s_or_b64 exec, exec, s[2:3]
	s_movk_i32 s2, 0x88
	v_and_b32_e32 v0, 0x88, v62
	v_cmp_eq_u32_e32 vcc, s2, v0
	s_and_saveexec_b64 s[2:3], vcc
	s_cbranch_execz .LBB2_1202
; %bb.1191:
	v_and_b32_e32 v0, 7, v20
	v_xor_b32_e32 v0, 4, v0
	v_mad_u64_u32 v[0:1], s[4:5], v0, 24, v[6:7]
	v_lshl_add_u64 v[2:3], v[0:1], 0, 8
	s_mov_b64 s[4:5], 0
	v_mov_b32_e32 v0, 0
	s_movk_i32 s20, 0x270e
                                        ; implicit-def: $sgpr6_sgpr7
	s_branch .LBB2_1196
.LBB2_1192:                             ;   in Loop: Header=BB2_1196 Depth=1
	s_or_b64 exec, exec, s[18:19]
	v_mov_b32_e32 v1, 0
	s_orn2_b64 s[16:17], s[16:17], exec
.LBB2_1193:                             ;   in Loop: Header=BB2_1196 Depth=1
	s_or_b64 exec, exec, s[14:15]
	s_and_b64 s[14:15], s[16:17], exec
	v_mov_b32_e32 v0, v1
.LBB2_1194:                             ;   in Loop: Header=BB2_1196 Depth=1
	s_or_b64 exec, exec, s[12:13]
	s_xor_b64 s[12:13], s[14:15], -1
	s_andn2_b64 s[6:7], s[6:7], exec
	s_and_b64 s[12:13], s[12:13], exec
	s_or_b64 s[6:7], s[6:7], s[12:13]
.LBB2_1195:                             ;   in Loop: Header=BB2_1196 Depth=1
	s_or_b64 exec, exec, s[10:11]
	s_and_b64 s[10:11], exec, s[6:7]
	s_or_b64 s[4:5], s[10:11], s[4:5]
	s_andn2_b64 exec, exec, s[4:5]
	s_cbranch_execz .LBB2_1201
.LBB2_1196:                             ; =>This Inner Loop Header: Depth=1
	flat_load_dwordx2 v[4:5], v[2:3] sc0 sc1
	s_waitcnt vmcnt(0)
	s_or_b64 s[6:7], s[6:7], exec
	s_waitcnt lgkmcnt(0)
	v_cmp_ne_u64_e32 vcc, -1, v[4:5]
	s_and_saveexec_b64 s[10:11], vcc
	s_cbranch_execz .LBB2_1195
; %bb.1197:                             ;   in Loop: Header=BB2_1196 Depth=1
	v_and_b32_e32 v1, 64, v62
	v_cmp_eq_u32_e32 vcc, 0, v1
	s_mov_b64 s[14:15], 0
	s_and_saveexec_b64 s[12:13], vcc
	s_cbranch_execz .LBB2_1194
; %bb.1198:                             ;   in Loop: Header=BB2_1196 Depth=1
	v_add_u32_e32 v1, 1, v0
	v_cmp_lt_i32_e32 vcc, s20, v0
	s_mov_b64 s[16:17], -1
	s_and_saveexec_b64 s[14:15], vcc
	s_cbranch_execz .LBB2_1193
; %bb.1199:                             ;   in Loop: Header=BB2_1196 Depth=1
	s_trap 2
	ds_read_b64 v[0:1], v0
	s_waitcnt lgkmcnt(0)
	flat_load_dword v0, v[0:1] sc0 sc1
	s_waitcnt vmcnt(0) lgkmcnt(0)
	buffer_inv sc0 sc1
	v_cmp_ne_u32_e32 vcc, 0, v0
	s_and_saveexec_b64 s[18:19], vcc
	s_cbranch_execz .LBB2_1192
; %bb.1200:                             ;   in Loop: Header=BB2_1196 Depth=1
	v_or_b32_e32 v62, 64, v62
	s_xor_b64 s[16:17], exec, -1
	ds_write_b32 v0, v0
	s_trap 2
	s_branch .LBB2_1192
.LBB2_1201:
	s_or_b64 exec, exec, s[4:5]
.LBB2_1202:
	s_or_b64 exec, exec, s[2:3]
	v_and_b32_e32 v0, 0x2000, v62
	v_cmp_ne_u32_e32 vcc, 0, v0
	s_and_saveexec_b64 s[2:3], vcc
	s_cbranch_execz .LBB2_1204
; %bb.1203:
	s_trap 2
	ds_read_b64 v[0:1], v0
	v_accvgpr_read_b32 v2, a8
	v_accvgpr_read_b32 v3, a9
	s_waitcnt lgkmcnt(0)
	flat_store_dwordx2 v[2:3], v[0:1] offset:16
.LBB2_1204:
	s_or_b64 exec, exec, s[2:3]
	v_cmp_ne_u32_e32 vcc, 64, v14
	s_and_b64 exec, exec, vcc
	s_cbranch_execz .LBB2_1222
; %bb.1205:
	v_cmp_ne_u32_sdwa s[2:3], v15, v14 src0_sel:WORD_0 src1_sel:DWORD
	s_and_saveexec_b64 s[4:5], s[2:3]
	s_xor_b64 s[2:3], exec, s[4:5]
	s_cbranch_execz .LBB2_1220
; %bb.1206:
	v_and_b32_e32 v0, 63, v31
	v_cmp_eq_u32_e32 vcc, 0, v0
	s_and_saveexec_b64 s[4:5], vcc
	s_cbranch_execz .LBB2_1219
; %bb.1207:
	s_mov_b64 s[10:11], exec
	v_mbcnt_lo_u32_b32 v0, s10, 0
	v_mbcnt_hi_u32_b32 v0, s11, v0
	v_cmp_eq_u32_e32 vcc, 0, v0
	s_waitcnt lgkmcnt(0)
	s_and_saveexec_b64 s[6:7], vcc
	s_cbranch_execz .LBB2_1209
; %bb.1208:
	s_bcnt1_i32_b64 s10, s[10:11]
	v_mov_b32_e32 v0, s10
	v_mov_b32_e32 v1, 0
	ds_add_u64 v0, v[0:1]
	s_trap 2
.LBB2_1209:
	s_or_b64 exec, exec, s[6:7]
	v_ashrrev_i32_e32 v0, 31, v14
	v_lshrrev_b32_e32 v0, 26, v0
	s_trap 2
	ds_read_b64 v[2:3], v0
	v_add_u32_e32 v0, v14, v0
	v_ashrrev_i32_e32 v0, 6, v0
	v_ashrrev_i32_e32 v1, 31, v0
	v_lshl_add_u64 v[0:1], v[12:13], 0, v[0:1]
	s_waitcnt lgkmcnt(0)
	v_cmp_lt_u64_e32 vcc, v[2:3], v[0:1]
	s_and_saveexec_b64 s[6:7], vcc
	s_cbranch_execz .LBB2_1218
; %bb.1210:
	s_mov_b32 s22, 0
	s_mov_b64 s[10:11], 0
                                        ; implicit-def: $sgpr12_sgpr13
                                        ; implicit-def: $sgpr14_sgpr15
	s_branch .LBB2_1212
.LBB2_1211:                             ;   in Loop: Header=BB2_1212 Depth=1
	s_or_b64 exec, exec, s[20:21]
	s_and_b64 s[16:17], exec, s[18:19]
	s_or_b64 s[10:11], s[16:17], s[10:11]
	s_andn2_b64 s[12:13], s[12:13], exec
	s_and_b64 s[16:17], s[14:15], exec
	s_or_b64 s[12:13], s[12:13], s[16:17]
	s_andn2_b64 exec, exec, s[10:11]
	s_cbranch_execz .LBB2_1216
.LBB2_1212:                             ; =>This Inner Loop Header: Depth=1
	s_add_i32 s22, s22, 1
	s_cmpk_lg_i32 s22, 0x2710
	s_cselect_b64 s[16:17], -1, 0
	s_and_b64 vcc, exec, s[16:17]
                                        ; implicit-def: $sgpr20_sgpr21
	s_cbranch_vccnz .LBB2_1214
; %bb.1213:                             ;   in Loop: Header=BB2_1212 Depth=1
	s_trap 2
	ds_read_b64 v[2:3], v0
	s_andn2_b64 s[16:17], s[16:17], exec
	s_mov_b32 s22, 0
	s_mov_b64 s[20:21], -1
	s_waitcnt vmcnt(0) lgkmcnt(0)
	flat_load_dword v2, v[2:3] sc0 sc1
	s_waitcnt vmcnt(0) lgkmcnt(0)
	buffer_inv sc0 sc1
	v_cmp_eq_u32_e32 vcc, 0, v2
	s_and_b64 s[18:19], vcc, exec
	s_or_b64 s[16:17], s[16:17], s[18:19]
.LBB2_1214:                             ;   in Loop: Header=BB2_1212 Depth=1
	s_andn2_b64 s[14:15], s[14:15], exec
	s_and_b64 s[20:21], s[20:21], exec
	s_mov_b64 s[18:19], -1
	s_or_b64 s[14:15], s[14:15], s[20:21]
	s_and_saveexec_b64 s[20:21], s[16:17]
	s_cbranch_execz .LBB2_1211
; %bb.1215:                             ;   in Loop: Header=BB2_1212 Depth=1
	s_sleep 1
	s_trap 2
	ds_read_b64 v[2:3], v0
	s_andn2_b64 s[14:15], s[14:15], exec
	s_waitcnt lgkmcnt(0)
	v_cmp_ge_u64_e32 vcc, v[2:3], v[0:1]
	s_orn2_b64 s[18:19], vcc, exec
	s_branch .LBB2_1211
.LBB2_1216:
	s_or_b64 exec, exec, s[10:11]
	s_and_saveexec_b64 s[10:11], s[12:13]
	s_xor_b64 s[10:11], exec, s[10:11]
	s_cbranch_execz .LBB2_1218
; %bb.1217:
	v_mov_b32_e32 v0, 1
	ds_write_b32 v0, v0
	s_trap 2
.LBB2_1218:
	s_or_b64 exec, exec, s[6:7]
	;;#ASMSTART
	s_wakeup
	;;#ASMEND
.LBB2_1219:
	s_or_b64 exec, exec, s[4:5]
.LBB2_1220:
	s_andn2_saveexec_b64 s[2:3], s[2:3]
	s_cbranch_execz .LBB2_1222
; %bb.1221:
	s_waitcnt lgkmcnt(0)
	s_barrier
.LBB2_1222:
	s_or_b64 exec, exec, s[0:1]
.LBB2_1223:
	s_andn2_saveexec_b64 s[22:23], s[34:35]
	s_cbranch_execz .LBB2_1225
; %bb.1224:
	s_getpc_b64 s[0:1]
	s_add_u32 s0, s0, __PRETTY_FUNCTION__._ZN10PrimitivesI6__half8FuncProdIS0_E12FanSymmetricILi1EELi0E11ProtoSimpleILi1ELi4ELi0ELi1ELi0ELi0EELi0ELb0ELi0ELi0ELi0EEC2EiiPKiS9_PKvPvmhhhP15ncclDevWorkCollP14ncclDevWorkP2pii@rel32@lo+4
	s_addc_u32 s1, s1, __PRETTY_FUNCTION__._ZN10PrimitivesI6__half8FuncProdIS0_E12FanSymmetricILi1EELi0E11ProtoSimpleILi1ELi4ELi0ELi1ELi0ELi0EELi0ELb0ELi0ELi0ELi0EEC2EiiPKiS9_PKvPvmhhhP15ncclDevWorkCollP14ncclDevWorkP2pii@rel32@hi+12
	v_mov_b32_e32 v0, s0
	v_mov_b32_e32 v1, s1
	s_getpc_b64 s[2:3]
	s_add_u32 s2, s2, __assert_fail@rel32@lo+4
	s_addc_u32 s3, s3, __assert_fail@rel32@hi+12
	s_swappc_b64 s[30:31], s[2:3]
	; divergent unreachable
.LBB2_1225:
	s_or_b64 exec, exec, s[22:23]
	scratch_load_dword a32, off, s33        ; 4-byte Folded Reload
	scratch_load_dword v62, off, s33 offset:4 ; 4-byte Folded Reload
	s_waitcnt lgkmcnt(0)
	scratch_load_dword v61, off, s33 offset:8 ; 4-byte Folded Reload
	scratch_load_dword v60, off, s33 offset:12 ; 4-byte Folded Reload
	;; [unrolled: 1-line block ×14, first 2 shown]
	v_readlane_b32 s30, v63, 49
	v_readlane_b32 s31, v63, 50
	;; [unrolled: 1-line block ×52, first 2 shown]
	s_or_saveexec_b64 s[2:3], -1
	scratch_load_dword v63, off, s33 offset:64 ; 4-byte Folded Reload
	s_mov_b64 exec, s[2:3]
	s_addk_i32 s32, 0xffb0
	s_mov_b32 s33, s0
	s_waitcnt vmcnt(0)
	s_setpc_b64 s[30:31]
.Lfunc_end2:
	.size	_ZN12_GLOBAL__N_17runRingI6__half8FuncProdIS1_E11ProtoSimpleILi1ELi4ELi0ELi1ELi0ELi0EELi0ELi0ELi1ELi0EEEviiP15ncclDevWorkColl, .Lfunc_end2-_ZN12_GLOBAL__N_17runRingI6__half8FuncProdIS1_E11ProtoSimpleILi1ELi4ELi0ELi1ELi0ELi0EELi0ELi0ELi1ELi0EEEviiP15ncclDevWorkColl
                                        ; -- End function
	.section	.AMDGPU.csdata,"",@progbits
; Function info:
; codeLenInByte = 36736
; NumSgprs: 89
; NumVgprs: 64
; NumAgprs: 33
; TotalNumVgprs: 97
; ScratchSize: 144
; MemoryBound: 1
	.text
	.p2align	2                               ; -- Begin function _ZN12_GLOBAL__N_17runRingI6__half8FuncProdIS1_E11ProtoSimpleILi2ELi2ELi0ELi1ELi0ELi0EELi0ELi0ELi1ELi0EEEviiP15ncclDevWorkColl
	.type	_ZN12_GLOBAL__N_17runRingI6__half8FuncProdIS1_E11ProtoSimpleILi2ELi2ELi0ELi1ELi0ELi0EELi0ELi0ELi1ELi0EEEviiP15ncclDevWorkColl,@function
_ZN12_GLOBAL__N_17runRingI6__half8FuncProdIS1_E11ProtoSimpleILi2ELi2ELi0ELi1ELi0ELi0EELi0ELi0ELi1ELi0EEEviiP15ncclDevWorkColl: ; @_ZN12_GLOBAL__N_17runRingI6__half8FuncProdIS1_E11ProtoSimpleILi2ELi2ELi0ELi1ELi0ELi0EELi0ELi0ELi1ELi0EEEviiP15ncclDevWorkColl
; %bb.0:
	s_waitcnt vmcnt(0) expcnt(0) lgkmcnt(0)
	s_mov_b32 s0, s33
	s_mov_b32 s33, s32
	s_or_saveexec_b64 s[2:3], -1
	scratch_store_dword off, v63, s33 offset:84 ; 4-byte Folded Spill
	s_mov_b64 exec, s[2:3]
	v_writelane_b32 v63, s0, 52
	s_addk_i32 s32, 0x60
	scratch_store_dword off, v40, s33 offset:80 ; 4-byte Folded Spill
	scratch_store_dword off, v41, s33 offset:76 ; 4-byte Folded Spill
	scratch_store_dword off, v42, s33 offset:72 ; 4-byte Folded Spill
	scratch_store_dword off, v43, s33 offset:68 ; 4-byte Folded Spill
	scratch_store_dword off, v44, s33 offset:64 ; 4-byte Folded Spill
	scratch_store_dword off, v45, s33 offset:60 ; 4-byte Folded Spill
	scratch_store_dword off, v46, s33 offset:56 ; 4-byte Folded Spill
	scratch_store_dword off, v47, s33 offset:52 ; 4-byte Folded Spill
	scratch_store_dword off, v56, s33 offset:48 ; 4-byte Folded Spill
	scratch_store_dword off, v57, s33 offset:44 ; 4-byte Folded Spill
	scratch_store_dword off, v58, s33 offset:40 ; 4-byte Folded Spill
	scratch_store_dword off, v59, s33 offset:36 ; 4-byte Folded Spill
	scratch_store_dword off, v60, s33 offset:32 ; 4-byte Folded Spill
	scratch_store_dword off, v61, s33 offset:28 ; 4-byte Folded Spill
	scratch_store_dword off, v62, s33 offset:24 ; 4-byte Folded Spill
	scratch_store_dword off, a32, s33 offset:20 ; 4-byte Folded Spill
	scratch_store_dword off, a33, s33 offset:16 ; 4-byte Folded Spill
	scratch_store_dword off, a34, s33 offset:12 ; 4-byte Folded Spill
	scratch_store_dword off, a35, s33 offset:8 ; 4-byte Folded Spill
	scratch_store_dword off, a36, s33 offset:4 ; 4-byte Folded Spill
	scratch_store_dword off, a37, s33       ; 4-byte Folded Spill
	v_writelane_b32 v63, s34, 0
	v_writelane_b32 v63, s35, 1
	;; [unrolled: 1-line block ×51, first 2 shown]
	s_nop 1
	v_writelane_b32 v63, s31, 51
	s_trap 2
	flat_load_dword v4, v[2:3]
	ds_read_b32 v5, v0
	v_mov_b32_e32 v15, v1
	v_mov_b32_e32 v60, v0
                                        ; implicit-def: $vgpr16_vgpr17
                                        ; implicit-def: $agpr4_agpr5
                                        ; implicit-def: $agpr6_agpr7
	s_waitcnt lgkmcnt(0)
	v_readfirstlane_b32 s70, v5
	s_waitcnt vmcnt(0)
	v_cmp_ne_u32_sdwa s[0:1], v4, v5 src0_sel:BYTE_0 src1_sel:DWORD
	s_and_saveexec_b64 s[2:3], s[0:1]
	s_xor_b64 s[0:1], exec, s[2:3]
	s_cbranch_execz .LBB3_6
; %bb.1:
	v_not_b32_sdwa v1, v4 dst_sel:DWORD dst_unused:UNUSED_PAD src0_sel:BYTE_0
	v_cmp_ne_u32_sdwa s[2:3], v4, v5 src0_sel:BYTE_1 src1_sel:DWORD
                                        ; implicit-def: $vgpr16_vgpr17
                                        ; implicit-def: $agpr4_agpr5
                                        ; implicit-def: $agpr6_agpr7
	s_and_saveexec_b64 s[4:5], s[2:3]
	s_xor_b64 s[2:3], exec, s[4:5]
	s_cbranch_execz .LBB3_3
; %bb.2:
	flat_load_dwordx4 v[6:9], v[2:3] offset:72
	flat_load_dwordx2 v[10:11], v[2:3] offset:96
	v_add_u32_e32 v0, v5, v1
	v_ashrrev_i32_e32 v1, 31, v0
	s_waitcnt vmcnt(0) lgkmcnt(0)
	v_mul_lo_u32 v1, v8, v1
	v_mad_u64_u32 v[4:5], s[4:5], v8, v0, v[6:7]
	v_mul_lo_u32 v0, v9, v0
	v_add3_u32 v5, v0, v5, v1
	v_accvgpr_write_b32 a4, v4
	v_accvgpr_write_b32 a6, v8
	v_lshrrev_b64 v[16:17], 13, v[10:11]
	v_accvgpr_write_b32 a5, v5
	v_accvgpr_write_b32 a7, v9
                                        ; implicit-def: $vgpr4
                                        ; implicit-def: $vgpr1
.LBB3_3:
	s_andn2_saveexec_b64 s[2:3], s[2:3]
	s_cbranch_execz .LBB3_5
; %bb.4:
	flat_load_dwordx4 v[6:9], v[2:3] offset:72
	flat_load_dwordx4 v[10:13], v[2:3] offset:88
	v_add_u32_sdwa v0, v4, v1 dst_sel:DWORD dst_unused:UNUSED_PAD src0_sel:BYTE_1 src1_sel:DWORD
	v_ashrrev_i32_e32 v1, 31, v0
	s_waitcnt vmcnt(0) lgkmcnt(0)
	v_mul_lo_u32 v1, v8, v1
	v_mad_u64_u32 v[4:5], s[4:5], v8, v0, v[6:7]
	v_mul_lo_u32 v0, v9, v0
	v_add3_u32 v5, v0, v5, v1
	v_accvgpr_write_b32 a4, v4
	v_accvgpr_write_b32 a6, v10
	;; [unrolled: 1-line block ×4, first 2 shown]
	v_lshrrev_b32_e32 v16, 2, v13
.LBB3_5:
	s_or_b64 exec, exec, s[2:3]
.LBB3_6:
	s_andn2_saveexec_b64 s[0:1], s[0:1]
	s_cbranch_execz .LBB3_8
; %bb.7:
	flat_load_dwordx2 v[0:1], v[2:3] offset:96
	flat_load_dwordx2 a[6:7], v[2:3] offset:72
	s_waitcnt vmcnt(0) lgkmcnt(0)
	v_lshlrev_b64 v[16:17], 8, v[0:1]
	v_mov_b64_e32 v[0:1], 0
	v_accvgpr_write_b32 a5, v1
	v_accvgpr_write_b32 a4, v0
.LBB3_8:
	s_or_b64 exec, exec, s[0:1]
	s_trap 2
	ds_read_b64 v[0:1], v0
	s_waitcnt lgkmcnt(0)
	v_cmp_ne_u32_e32 vcc, -1, v0
	s_nop 1
	v_cndmask_b32_e64 v14, 0, 1, vcc
	v_cmp_ne_u32_e32 vcc, -1, v1
	s_nop 1
	v_addc_co_u32_e64 v6, s[0:1], 0, v14, vcc
	v_lshlrev_b32_e32 v0, 1, v6
	v_cmp_le_i32_e64 s[0:1], v0, v15
	s_and_saveexec_b64 s[2:3], s[0:1]
	s_xor_b64 s[30:31], exec, s[2:3]
	s_cbranch_execz .LBB3_1248
; %bb.9:
	flat_load_dwordx2 v[18:19], v[2:3] offset:104
	flat_load_dwordx4 v[10:13], v[2:3] offset:16
	flat_load_ushort v5, v[2:3] offset:8
	flat_load_dword v4, v[2:3] offset:4
	s_trap 2
	s_load_dword s0, s[8:9], 0x0
	v_mov_b32_e32 v0, 0
	v_mov_b32_e32 v62, 4
	s_waitcnt lgkmcnt(0)
	s_cmp_lt_u32 s12, s0
	s_cselect_b32 s0, 12, 18
	s_add_u32 s0, s8, s0
	s_addc_u32 s1, s9, 0
	global_load_ushort v17, v0, s[0:1]
	ds_read_b32 v0, v0
	v_cmp_ge_i32_e64 s[0:1], v60, v14
	s_waitcnt lgkmcnt(0)
	v_readfirstlane_b32 s14, v0
	s_and_saveexec_b64 s[2:3], s[0:1]
	s_cbranch_execz .LBB3_19
; %bb.10:
	v_cmp_le_u32_e64 s[0:1], v6, v60
                                        ; implicit-def: $vgpr62
	s_and_saveexec_b64 s[4:5], s[0:1]
	s_xor_b64 s[0:1], exec, s[4:5]
	s_cbranch_execz .LBB3_16
; %bb.11:
	v_cndmask_b32_e64 v0, 0, 1, vcc
	v_sub_u32_e32 v0, v15, v0
	v_cmp_ge_u32_e32 vcc, v60, v0
                                        ; implicit-def: $sgpr6
	s_and_saveexec_b64 s[4:5], vcc
	s_xor_b64 s[4:5], exec, s[4:5]
; %bb.12:
	s_mov_b32 s6, 16
                                        ; implicit-def: $vgpr6
; %bb.13:
	s_or_saveexec_b64 s[4:5], s[4:5]
	v_mov_b32_e32 v62, s6
	s_xor_b64 exec, exec, s[4:5]
; %bb.14:
	v_sub_u32_e32 v0, v15, v6
	v_cmp_ge_i32_e32 vcc, v60, v0
	s_nop 1
	v_cndmask_b32_e64 v0, 0, 1, vcc
	v_lshlrev_b32_e32 v62, 5, v0
; %bb.15:
	s_or_b64 exec, exec, s[4:5]
.LBB3_16:
	s_andn2_saveexec_b64 s[0:1], s[0:1]
; %bb.17:
	v_mov_b32_e32 v62, 8
; %bb.18:
	s_or_b64 exec, exec, s[0:1]
.LBB3_19:
	s_or_b64 exec, exec, s[2:3]
	v_and_b32_e32 v0, 36, v62
	v_cmp_ne_u32_e32 vcc, 0, v0
	v_mov_b32_e32 v8, -1
	s_and_saveexec_b64 s[0:1], vcc
	s_cbranch_execz .LBB3_21
; %bb.20:
	s_trap 2
	ds_read_b32 v8, v0
.LBB3_21:
	s_or_b64 exec, exec, s[0:1]
	v_and_b32_e32 v0, 24, v62
	v_cmp_ne_u32_e64 s[0:1], 0, v0
	s_and_saveexec_b64 s[2:3], s[0:1]
	s_cbranch_execz .LBB3_23
; %bb.22:
	s_trap 2
	s_waitcnt lgkmcnt(0)
	ds_read_b32 v8, v0
.LBB3_23:
	s_or_b64 exec, exec, s[2:3]
	s_waitcnt vmcnt(0)
	v_lshrrev_b64 v[0:1], 31, v[4:5]
	v_mov_b64_e32 v[34:35], 0
	v_and_b32_e32 v4, 3, v0
	v_mov_b64_e32 v[6:7], v[34:35]
                                        ; implicit-def: $agpr8_agpr9
                                        ; implicit-def: $vgpr24
                                        ; implicit-def: $vgpr20_vgpr21
                                        ; implicit-def: $vgpr26_vgpr27
                                        ; implicit-def: $vgpr32_vgpr33
                                        ; implicit-def: $vgpr22_vgpr23
	s_and_saveexec_b64 s[0:1], vcc
	s_cbranch_execz .LBB3_33
; %bb.24:
	s_trap 2
	ds_read_b64 v[0:1], v0
	s_waitcnt lgkmcnt(1)
	v_ashrrev_i32_e32 v9, 31, v8
	v_and_b32_e32 v5, 0xffff, v4
	s_movk_i32 s2, 0xa8
                                        ; implicit-def: $agpr8_agpr9
	s_waitcnt lgkmcnt(0)
	v_lshl_add_u64 v[0:1], v[8:9], 3, v[0:1]
	flat_load_dwordx2 v[0:1], v[0:1]
	s_waitcnt vmcnt(0) lgkmcnt(0)
	v_mad_u64_u32 v[0:1], s[2:3], v5, s2, v[0:1]
	flat_load_dword v5, v[0:1] offset:640
	s_mov_b64 s[2:3], 0x1f8
	v_lshl_add_u64 v[34:35], v[0:1], 0, s[2:3]
	s_waitcnt vmcnt(0) lgkmcnt(0)
	v_cmp_eq_u32_e32 vcc, 1, v5
	s_and_saveexec_b64 s[2:3], vcc
	s_cbranch_execz .LBB3_26
; %bb.25:
	flat_load_dwordx2 v[6:7], v[34:35] offset:144
	v_or_b32_e32 v62, 0x2000, v62
	s_waitcnt vmcnt(0) lgkmcnt(0)
	flat_load_dwordx2 v[0:1], v[6:7]
	s_trap 2
	v_accvgpr_write_b32 a9, v7
	v_accvgpr_write_b32 a8, v6
	s_waitcnt vmcnt(0) lgkmcnt(0)
	ds_write_b64 v0, v[0:1]
	flat_load_dwordx2 v[0:1], v[6:7] offset:8
	s_waitcnt vmcnt(0) lgkmcnt(0)
	ds_write_b64 v0, v[0:1]
	flat_load_dwordx2 v[0:1], v[6:7] offset:16
	s_waitcnt vmcnt(0) lgkmcnt(0)
	ds_write_b64 v0, v[0:1]
.LBB3_26:
	s_or_b64 exec, exec, s[2:3]
	flat_load_dwordx2 v[0:1], v[34:35] offset:104
	v_and_b32_e32 v5, 32, v62
	v_cmp_ne_u32_e32 vcc, 0, v5
                                        ; implicit-def: $vgpr22_vgpr23
	s_waitcnt vmcnt(0) lgkmcnt(0)
	v_lshl_add_u64 v[20:21], v[0:1], 0, 3
	v_and_b32_e32 v20, -4, v20
	s_and_saveexec_b64 s[2:3], vcc
	s_cbranch_execz .LBB3_28
; %bb.27:
	flat_load_dwordx2 v[22:23], v[34:35] offset:56
	s_waitcnt vmcnt(0) lgkmcnt(0)
	flat_store_dwordx2 v[22:23], v[20:21] sc0 sc1
.LBB3_28:
	s_or_b64 exec, exec, s[2:3]
	v_and_b32_e32 v0, 4, v62
	v_cmp_ne_u32_e32 vcc, 0, v0
	v_mov_b64_e32 v[6:7], 0
                                        ; implicit-def: $vgpr24
                                        ; implicit-def: $vgpr26_vgpr27
                                        ; implicit-def: $vgpr32_vgpr33
	s_and_saveexec_b64 s[2:3], vcc
	s_cbranch_execz .LBB3_32
; %bb.29:
	v_and_b32_e32 v0, 0x800, v62
	v_cmp_eq_u32_e32 vcc, 0, v0
	s_and_saveexec_b64 s[4:5], vcc
	s_cbranch_execz .LBB3_31
; %bb.30:
	s_trap 2
	ds_write_b64 v0, v[34:35]
.LBB3_31:
	s_or_b64 exec, exec, s[4:5]
	flat_load_dwordx2 v[22:23], v[34:35] offset:48
	v_or_b32_e32 v1, 0x100, v62
	s_waitcnt vmcnt(0) lgkmcnt(0)
	flat_load_dwordx2 v[32:33], v[22:23] sc0 sc1
	flat_load_dword v0, v[34:35] offset:72
	flat_load_dwordx2 v[6:7], v[34:35] offset:96
	flat_load_dwordx2 v[26:27], v[34:35] offset:16
	s_waitcnt vmcnt(0) lgkmcnt(0)
	v_ashrrev_i32_e32 v24, 1, v0
	v_cmp_eq_u64_e32 vcc, 0, v[6:7]
	s_nop 1
	v_cndmask_b32_e32 v62, v1, v62, vcc
.LBB3_32:
	s_or_b64 exec, exec, s[2:3]
.LBB3_33:
	s_or_b64 exec, exec, s[0:1]
	v_and_b32_e32 v0, 24, v62
	v_cmp_ne_u32_e32 vcc, 0, v0
                                        ; implicit-def: $vgpr28_vgpr29
	s_and_saveexec_b64 s[0:1], vcc
	s_cbranch_execz .LBB3_41
; %bb.34:
	s_trap 2
	ds_read_b64 v[0:1], v0
	s_waitcnt lgkmcnt(0)
	v_ashrrev_i32_e32 v9, 31, v8
	v_and_b32_e32 v4, 0xffff, v4
	s_movk_i32 s2, 0xa8
                                        ; implicit-def: $vgpr28_vgpr29
	v_lshl_add_u64 v[0:1], v[8:9], 3, v[0:1]
	flat_load_dwordx2 v[0:1], v[0:1]
	s_waitcnt vmcnt(0) lgkmcnt(0)
	v_mad_u64_u32 v[34:35], s[2:3], v4, s2, v[0:1]
	flat_load_dwordx4 v[6:9], v[34:35] offset:96
	v_or_b32_e32 v0, 0x100, v62
	s_waitcnt vmcnt(0) lgkmcnt(0)
	v_cmp_eq_u64_e32 vcc, 0, v[6:7]
	s_nop 1
	v_cndmask_b32_e32 v62, v0, v62, vcc
	v_and_b32_e32 v0, 16, v62
	v_cmp_ne_u32_e32 vcc, 0, v0
	s_and_saveexec_b64 s[2:3], vcc
	s_cbranch_execz .LBB3_36
; %bb.35:
	flat_load_dwordx2 v[28:29], v[34:35] offset:120
	flat_load_dwordx2 v[22:23], v[34:35] offset:48
	;; [unrolled: 1-line block ×3, first 2 shown]
.LBB3_36:
	s_or_b64 exec, exec, s[2:3]
	v_lshl_add_u64 v[20:21], v[8:9], 0, 3
	v_and_b32_e32 v0, 8, v62
	v_and_b32_e32 v20, -4, v20
	v_cmp_ne_u32_e32 vcc, 0, v0
	s_and_saveexec_b64 s[2:3], vcc
	s_cbranch_execz .LBB3_40
; %bb.37:
	v_and_b32_e32 v0, 0x800, v62
	v_cmp_eq_u32_e32 vcc, 0, v0
	s_and_saveexec_b64 s[4:5], vcc
	s_cbranch_execz .LBB3_39
; %bb.38:
	s_trap 2
	ds_write_b64 v0, v[34:35]
.LBB3_39:
	s_or_b64 exec, exec, s[4:5]
	s_waitcnt vmcnt(0) lgkmcnt(0)
	flat_load_dwordx2 v[22:23], v[34:35] offset:56
	s_waitcnt vmcnt(0) lgkmcnt(0)
	flat_load_dwordx2 v[32:33], v[22:23] sc0 sc1
	flat_load_dword v0, v[34:35] offset:72
	flat_load_dwordx2 v[26:27], v[34:35] offset:16
	s_waitcnt vmcnt(0) lgkmcnt(0)
	v_ashrrev_i32_e32 v24, 1, v0
.LBB3_40:
	s_or_b64 exec, exec, s[2:3]
.LBB3_41:
	s_or_b64 exec, exec, s[0:1]
	v_cmp_eq_u32_e64 s[0:1], 0, v60
	s_and_saveexec_b64 s[2:3], s[0:1]
	s_cbranch_execz .LBB3_43
; %bb.42:
	flat_load_dwordx2 v[0:1], v[2:3] offset:32
	v_mov_b32_e32 v4, v12
	v_mov_b32_e32 v5, v13
	s_waitcnt lgkmcnt(0)
	v_mov_b32_e32 v8, v10
	v_mov_b32_e32 v9, v11
	s_waitcnt vmcnt(0)
	ds_write2_b64 v0, v[4:5], v[8:9] offset1:1
	s_trap 2
	ds_write_b64 v0, v[0:1]
	ds_write_b64 v0, v[18:19]
.LBB3_43:
	s_or_b64 exec, exec, s[2:3]
	v_accvgpr_read_b32 v0, a6
	v_accvgpr_read_b32 v1, a7
	s_mov_b64 s[36:37], 0
	v_cmp_lt_i64_e32 vcc, 0, v[0:1]
	v_mov_b64_e32 v[12:13], 0
	s_and_saveexec_b64 s[34:35], vcc
	s_cbranch_execz .LBB3_1212
; %bb.44:
	flat_load_dword v4, v[2:3] offset:4
	s_ashr_i32 s15, s14, 31
	s_lshr_b32 s15, s15, 29
	s_add_i32 s20, s14, s15
	s_ashr_i32 s71, s70, 31
	s_ashr_i32 s21, s20, 4
	s_add_u32 s44, s70, -1
	s_addc_u32 s45, s71, -1
	s_add_i32 s73, s70, s70
	s_not_b32 s22, s70
	s_cmp_gt_i32 s70, 0
	v_and_b32_e32 v2, 0x1fffff00, v16
	s_cselect_b32 s22, s22, -1
	s_ashr_i32 s20, s20, 31
	v_accvgpr_write_b32 a10, v34
	v_and_b32_e32 v0, 63, v31
	v_ashrrev_i32_e32 v1, 31, v60
	v_mad_i64_i32 v[58:59], s[12:13], v2, s70, 0
	s_lshr_b32 s20, s20, 28
	v_accvgpr_write_b32 a11, v35
	v_lshrrev_b32_e32 v34, 6, v15
	v_mov_b32_e32 v5, 0xfffff800
	v_cmp_eq_u32_e64 s[12:13], 0, v0
	v_lshrrev_b32_e32 v0, 26, v1
	s_add_i32 s74, s22, s73
	s_add_i32 s21, s21, s20
	v_mov_b32_e32 v9, 0xfffffe00
	s_waitcnt lgkmcnt(0)
	v_lshl_add_u32 v8, v34, 11, v5
	v_add_u32_e32 v1, v60, v0
	s_ashr_i32 s75, s74, 31
	s_ashr_i32 s76, s21, 4
	s_mov_b64 s[16:17], 0x800
	v_lshl_add_u32 v10, v34, 9, v9
	v_ashrrev_i32_e32 v9, 31, v8
	v_ashrrev_i32_e32 v61, 6, v1
	v_and_b32_e32 v5, 0xffffffc0, v1
	s_cmp_gt_i32 s70, 2
	s_mov_b64 s[18:19], 0x200
	v_ashrrev_i32_e32 v11, 31, v10
	v_lshl_add_u64 v[54:55], v[8:9], 0, s[16:17]
	v_sub_u32_e32 v8, v60, v5
	v_lshlrev_b32_e32 v5, 11, v61
	s_cselect_b64 s[46:47], -1, 0
	s_add_i32 s22, s70, 1
	v_lshlrev_b32_e32 v12, 4, v60
	v_lshlrev_b32_e32 v38, 10, v34
	;; [unrolled: 1-line block ×3, first 2 shown]
	v_lshl_add_u64 v[40:41], v[10:11], 0, s[18:19]
	v_lshl_add_u32 v10, v8, 4, v5
	v_mov_b32_e32 v3, 0
	v_ashrrev_i32_e32 v13, 31, v12
	v_add_u32_e32 v50, 0xfffffc00, v38
	v_add_u32_e32 v0, 0xffffff80, v39
	v_ashrrev_i32_e32 v11, 31, v10
	v_cmp_ge_i32_e32 vcc, v60, v15
	v_ashrrev_i32_e32 v57, 31, v24
	v_accvgpr_write_b32 a2, v17
	v_cmp_ne_u32_sdwa s[38:39], v17, v15 src0_sel:WORD_0 src1_sel:DWORD
	s_mov_b64 s[40:41], 0x400
	s_mov_b64 s[42:43], 0x80
	v_mov_b64_e32 v[16:17], 0
	v_accvgpr_write_b32 a15, v13
	v_ashrrev_i32_e32 v51, 31, v50
	v_ashrrev_i32_e32 v1, 31, v0
	v_sub_u32_e32 v9, 0, v61
	v_accvgpr_write_b32 a25, v11
	v_accvgpr_write_b32 a27, v3
	;; [unrolled: 1-line block ×5, first 2 shown]
	v_cmp_eq_u32_e64 s[2:3], 64, v15
	v_cmp_ne_u32_e64 s[4:5], 64, v15
	v_accvgpr_write_b32 a0, v15
	s_waitcnt vmcnt(0)
	v_cmp_eq_u64_e64 s[6:7], 0, v[28:29]
	v_cmp_ne_u64_e64 s[10:11], 0, v[28:29]
	s_movk_i32 s72, 0x270e
	v_mov_b32_e32 v35, v3
	v_accvgpr_write_b32 a14, v12
	v_lshl_add_u64 v[42:43], v[50:51], 0, s[40:41]
	v_and_b32_e32 v4, 1, v4
	v_cmp_eq_u32_e64 s[20:21], 1, v4
	s_xor_b64 s[48:49], s[20:21], -1
	s_cmp_le_i32 s70, s22
	s_cselect_b32 s23, s70, 0
	s_sub_i32 s78, s22, s23
	v_accvgpr_read_b32 v4, a6
	v_lshl_add_u64 v[44:45], v[0:1], 0, s[42:43]
	v_accvgpr_write_b32 a23, v9
	v_cmp_gt_i32_e64 s[14:15], 1, v8
	v_cmp_lt_i32_e64 s[16:17], v8, v14
	v_accvgpr_write_b32 a22, v8
	v_cmp_le_i32_e64 s[18:19], v8, v14
	v_accvgpr_write_b32 a24, v10
	s_add_i32 s77, s70, -2
	s_xor_b64 s[50:51], vcc, -1
	s_ashr_i32 s79, s78, 31
	v_mov_b32_e32 v56, 1
	s_movk_i32 s80, 0x108
	v_accvgpr_write_b32 a26, v2
	v_mov_b64_e32 v[12:13], v[16:17]
	v_accvgpr_write_b32 a3, v60
	v_accvgpr_read_b32 v5, a7
	v_accvgpr_write_b32 a13, v57
	v_accvgpr_write_b32 a19, v59
	;; [unrolled: 1-line block ×4, first 2 shown]
	s_trap 2
	s_branch .LBB3_47
.LBB3_45:                               ;   in Loop: Header=BB3_47 Depth=1
	s_or_b64 exec, exec, s[26:27]
.LBB3_46:                               ;   in Loop: Header=BB3_47 Depth=1
	s_or_b64 exec, exec, s[24:25]
	v_accvgpr_read_b32 v4, a6
	v_lshl_add_u64 v[16:17], v[16:17], 0, v[58:59]
	v_accvgpr_read_b32 v5, a7
	v_cmp_ge_i64_e32 vcc, v[16:17], v[4:5]
	s_or_b64 s[36:37], vcc, s[36:37]
	s_andn2_b64 exec, exec, s[36:37]
	s_cbranch_execz .LBB3_1211
.LBB3_47:                               ; =>This Loop Header: Depth=1
                                        ;     Child Loop BB3_57 Depth 2
                                        ;       Child Loop BB3_65 Depth 3
                                        ;       Child Loop BB3_89 Depth 3
	;; [unrolled: 1-line block ×9, first 2 shown]
                                        ;     Child Loop BB3_199 Depth 2
                                        ;       Child Loop BB3_205 Depth 3
                                        ;       Child Loop BB3_234 Depth 3
	;; [unrolled: 1-line block ×3, first 2 shown]
                                        ;     Child Loop BB3_271 Depth 2
                                        ;       Child Loop BB3_274 Depth 3
                                        ;         Child Loop BB3_282 Depth 4
                                        ;         Child Loop BB3_308 Depth 4
	;; [unrolled: 1-line block ×9, first 2 shown]
                                        ;       Child Loop BB3_418 Depth 3
                                        ;         Child Loop BB3_424 Depth 4
                                        ;         Child Loop BB3_462 Depth 4
	;; [unrolled: 1-line block ×3, first 2 shown]
                                        ;     Child Loop BB3_491 Depth 2
                                        ;       Child Loop BB3_499 Depth 3
                                        ;       Child Loop BB3_525 Depth 3
	;; [unrolled: 1-line block ×4, first 2 shown]
                                        ;         Child Loop BB3_566 Depth 4
                                        ;       Child Loop BB3_572 Depth 3
                                        ;         Child Loop BB3_573 Depth 4
                                        ;       Child Loop BB3_582 Depth 3
                                        ;       Child Loop BB3_587 Depth 3
                                        ;         Child Loop BB3_588 Depth 4
                                        ;       Child Loop BB3_601 Depth 3
                                        ;       Child Loop BB3_606 Depth 3
	;; [unrolled: 1-line block ×6, first 2 shown]
                                        ;     Child Loop BB3_671 Depth 2
                                        ;       Child Loop BB3_677 Depth 3
                                        ;       Child Loop BB3_707 Depth 3
	;; [unrolled: 1-line block ×3, first 2 shown]
                                        ;     Child Loop BB3_745 Depth 2
                                        ;       Child Loop BB3_748 Depth 3
                                        ;         Child Loop BB3_756 Depth 4
                                        ;         Child Loop BB3_782 Depth 4
	;; [unrolled: 1-line block ×4, first 2 shown]
                                        ;           Child Loop BB3_823 Depth 5
                                        ;         Child Loop BB3_829 Depth 4
                                        ;           Child Loop BB3_830 Depth 5
                                        ;         Child Loop BB3_839 Depth 4
                                        ;         Child Loop BB3_844 Depth 4
                                        ;           Child Loop BB3_845 Depth 5
                                        ;         Child Loop BB3_858 Depth 4
                                        ;         Child Loop BB3_863 Depth 4
	;; [unrolled: 1-line block ×6, first 2 shown]
                                        ;       Child Loop BB3_928 Depth 3
                                        ;         Child Loop BB3_934 Depth 4
                                        ;         Child Loop BB3_964 Depth 4
	;; [unrolled: 1-line block ×3, first 2 shown]
                                        ;     Child Loop BB3_1005 Depth 2
                                        ;       Child Loop BB3_1013 Depth 3
                                        ;       Child Loop BB3_1037 Depth 3
	;; [unrolled: 1-line block ×9, first 2 shown]
                                        ;     Child Loop BB3_1145 Depth 2
                                        ;       Child Loop BB3_1151 Depth 3
                                        ;       Child Loop BB3_1175 Depth 3
                                        ;       Child Loop BB3_1198 Depth 3
	v_sub_co_u32_e32 v4, vcc, v4, v16
	s_nop 1
	v_subb_co_u32_e32 v5, vcc, v5, v17, vcc
	v_accvgpr_write_b32 a29, v5
	v_accvgpr_write_b32 a28, v4
	v_cmp_lt_i64_e32 vcc, v[4:5], v[58:59]
	s_mov_b64 s[24:25], exec
	v_accvgpr_write_b32 a16, v16
	s_and_b64 s[22:23], s[24:25], vcc
	v_accvgpr_write_b32 a17, v17
	s_mov_b64 exec, s[22:23]
	s_cbranch_execz .LBB3_53
; %bb.48:                               ;   in Loop: Header=BB3_47 Depth=1
	v_accvgpr_read_b32 v4, a28
	v_accvgpr_read_b32 v5, a29
	v_lshl_add_u64 v[8:9], s[44:45], 0, v[4:5]
	v_or_b32_e32 v5, s71, v9
	v_mov_b32_e32 v4, v3
	v_cmp_ne_u64_e32 vcc, 0, v[4:5]
                                        ; implicit-def: $vgpr4_vgpr5
	s_and_saveexec_b64 s[22:23], vcc
	s_xor_b64 s[26:27], exec, s[22:23]
	s_cbranch_execz .LBB3_50
; %bb.49:                               ;   in Loop: Header=BB3_47 Depth=1
	s_add_u32 s22, s70, s71
	s_mov_b32 s28, s71
	s_mov_b32 s29, s71
	s_addc_u32 s23, s71, s71
	s_xor_b64 s[52:53], s[22:23], s[28:29]
	v_cvt_f32_u32_e32 v2, s52
	v_cvt_f32_u32_e32 v4, s53
	s_sub_u32 s22, 0, s52
	s_subb_u32 s23, 0, s53
	v_fmac_f32_e32 v2, 0x4f800000, v4
	v_rcp_f32_e32 v2, v2
	s_nop 0
	v_mul_f32_e32 v2, 0x5f7ffffc, v2
	v_mul_f32_e32 v4, 0x2f800000, v2
	v_trunc_f32_e32 v4, v4
	v_fmac_f32_e32 v2, 0xcf800000, v4
	v_cvt_u32_f32_e32 v10, v4
	v_cvt_u32_f32_e32 v11, v2
	v_mul_lo_u32 v2, s22, v10
	v_mul_hi_u32 v5, s22, v11
	v_mul_lo_u32 v4, s23, v11
	v_add_u32_e32 v2, v5, v2
	v_mul_lo_u32 v14, s22, v11
	v_add_u32_e32 v15, v2, v4
	v_mul_hi_u32 v5, v11, v15
	v_mul_lo_u32 v4, v11, v15
	v_mul_hi_u32 v2, v11, v14
	v_lshl_add_u64 v[4:5], v[2:3], 0, v[4:5]
	v_mul_hi_u32 v2, v10, v14
	v_mul_lo_u32 v14, v10, v14
	v_add_co_u32_e32 v4, vcc, v4, v14
	v_mul_hi_u32 v16, v10, v15
	s_nop 0
	v_addc_co_u32_e32 v2, vcc, v5, v2, vcc
	v_mul_lo_u32 v4, v10, v15
	s_nop 0
	v_addc_co_u32_e32 v5, vcc, 0, v16, vcc
	v_lshl_add_u64 v[4:5], v[2:3], 0, v[4:5]
	v_add_co_u32_e32 v11, vcc, v11, v4
	v_mul_hi_u32 v4, s22, v11
	s_nop 0
	v_addc_co_u32_e32 v10, vcc, v10, v5, vcc
	v_mul_lo_u32 v2, s22, v10
	v_add_u32_e32 v2, v4, v2
	v_mul_lo_u32 v4, s23, v11
	v_add_u32_e32 v14, v2, v4
	v_mul_lo_u32 v2, s22, v11
	v_mul_hi_u32 v16, v10, v2
	v_mul_lo_u32 v17, v10, v2
	v_mul_hi_u32 v5, v11, v14
	;; [unrolled: 2-line block ×3, first 2 shown]
	v_lshl_add_u64 v[4:5], v[2:3], 0, v[4:5]
	v_add_co_u32_e32 v2, vcc, v4, v17
	v_mul_hi_u32 v15, v10, v14
	s_nop 0
	v_addc_co_u32_e32 v2, vcc, v5, v16, vcc
	v_mul_lo_u32 v4, v10, v14
	s_nop 0
	v_addc_co_u32_e32 v5, vcc, 0, v15, vcc
	v_lshl_add_u64 v[4:5], v[2:3], 0, v[4:5]
	v_add_co_u32_e32 v14, vcc, v11, v4
	v_ashrrev_i32_e32 v4, 31, v9
	s_nop 0
	v_addc_co_u32_e32 v10, vcc, v10, v5, vcc
	v_mov_b32_e32 v5, v4
	v_lshl_add_u64 v[8:9], v[8:9], 0, v[4:5]
	v_xor_b32_e32 v16, v8, v4
	v_xor_b32_e32 v5, v9, v4
	v_mad_u64_u32 v[8:9], s[22:23], v16, v10, 0
	v_mul_hi_u32 v2, v16, v14
	v_lshl_add_u64 v[8:9], v[2:3], 0, v[8:9]
	v_mad_u64_u32 v[14:15], s[22:23], v5, v14, 0
	v_add_co_u32_e32 v2, vcc, v8, v14
	v_mad_u64_u32 v[10:11], s[22:23], v5, v10, 0
	s_nop 0
	v_addc_co_u32_e32 v2, vcc, v9, v15, vcc
	s_nop 1
	v_addc_co_u32_e32 v11, vcc, 0, v11, vcc
	v_lshl_add_u64 v[8:9], v[2:3], 0, v[10:11]
	v_mul_lo_u32 v2, s53, v8
	v_mul_lo_u32 v14, s52, v9
	v_mad_u64_u32 v[10:11], s[22:23], s52, v8, 0
	v_add3_u32 v2, v11, v14, v2
	v_sub_u32_e32 v11, v5, v2
	v_mov_b32_e32 v14, s53
	v_sub_co_u32_e32 v16, vcc, v16, v10
	s_nop 1
	v_subb_co_u32_e64 v10, s[22:23], v11, v14, vcc
	v_subrev_co_u32_e64 v11, s[22:23], s52, v16
	v_subb_co_u32_e32 v2, vcc, v5, v2, vcc
	s_nop 0
	v_subbrev_co_u32_e64 v10, s[22:23], 0, v10, s[22:23]
	v_cmp_le_u32_e64 s[22:23], s53, v10
	v_cmp_le_u32_e32 vcc, s53, v2
	s_nop 0
	v_cndmask_b32_e64 v14, 0, -1, s[22:23]
	v_cmp_le_u32_e64 s[22:23], s52, v11
	v_cndmask_b32_e64 v5, 0, -1, vcc
	v_cmp_le_u32_e32 vcc, s52, v16
	v_cndmask_b32_e64 v11, 0, -1, s[22:23]
	v_cmp_eq_u32_e64 s[22:23], s53, v10
	s_nop 1
	v_cndmask_b32_e64 v17, v14, v11, s[22:23]
	v_lshl_add_u64 v[10:11], v[8:9], 0, 2
	v_lshl_add_u64 v[14:15], v[8:9], 0, 1
	v_cmp_ne_u32_e64 s[22:23], 0, v17
	s_nop 1
	v_cndmask_b32_e64 v11, v15, v11, s[22:23]
	v_cndmask_b32_e64 v15, 0, -1, vcc
	v_cmp_eq_u32_e32 vcc, s53, v2
	s_nop 1
	v_cndmask_b32_e32 v2, v5, v15, vcc
	v_cmp_ne_u32_e32 vcc, 0, v2
	v_cndmask_b32_e64 v5, v14, v10, s[22:23]
	s_nop 0
	v_cndmask_b32_e32 v5, v8, v5, vcc
	v_xor_b32_e32 v8, s29, v4
	v_xor_b32_e32 v4, s28, v4
	v_cndmask_b32_e32 v2, v9, v11, vcc
	v_xor_b32_e32 v5, v5, v4
	v_xor_b32_e32 v2, v2, v8
	v_sub_co_u32_e32 v4, vcc, v5, v4
	s_nop 1
	v_subb_co_u32_e32 v5, vcc, v2, v8, vcc
                                        ; implicit-def: $vgpr8_vgpr9
.LBB3_50:                               ;   in Loop: Header=BB3_47 Depth=1
	s_andn2_saveexec_b64 s[22:23], s[26:27]
	s_cbranch_execz .LBB3_52
; %bb.51:                               ;   in Loop: Header=BB3_47 Depth=1
	v_cvt_f32_u32_e32 v2, s70
	s_sub_i32 s26, 0, s70
	v_rcp_iflag_f32_e32 v2, v2
	s_nop 0
	v_mul_f32_e32 v2, 0x4f7ffffe, v2
	v_cvt_u32_f32_e32 v2, v2
	v_mul_lo_u32 v4, s26, v2
	v_mul_hi_u32 v4, v2, v4
	v_add_u32_e32 v2, v2, v4
	v_mul_hi_u32 v2, v8, v2
	v_mul_lo_u32 v4, v2, s70
	v_sub_u32_e32 v4, v8, v4
	v_add_u32_e32 v5, 1, v2
	v_subrev_u32_e32 v8, s70, v4
	v_cmp_le_u32_e32 vcc, s70, v4
	s_nop 1
	v_cndmask_b32_e32 v4, v4, v8, vcc
	v_cndmask_b32_e32 v2, v2, v5, vcc
	v_add_u32_e32 v5, 1, v2
	v_cmp_le_u32_e32 vcc, s70, v4
	s_nop 1
	v_cndmask_b32_e32 v2, v2, v5, vcc
	v_mov_b64_e32 v[4:5], v[2:3]
.LBB3_52:                               ;   in Loop: Header=BB3_47 Depth=1
	s_or_b64 exec, exec, s[22:23]
	v_lshl_add_u64 v[4:5], v[4:5], 0, 7
	v_and_b32_e32 v4, -8, v4
	v_accvgpr_write_b32 a27, v5
	v_accvgpr_write_b32 a26, v4
.LBB3_53:                               ;   in Loop: Header=BB3_47 Depth=1
	s_or_b64 exec, exec, s[24:25]
	v_accvgpr_read_b32 v10, a26
	v_accvgpr_read_b32 v11, a27
	v_mul_lo_u32 v2, v11, s74
	v_mul_lo_u32 v4, v10, s75
	v_mad_u64_u32 v[16:17], s[22:23], v10, s74, 0
	v_add3_u32 v17, v17, v4, v2
	v_accvgpr_read_b32 v4, a4
	v_accvgpr_read_b32 v8, a16
	;; [unrolled: 1-line block ×4, first 2 shown]
	v_lshl_add_u64 v[4:5], v[8:9], 0, v[4:5]
	v_accvgpr_write_b32 a31, v5
	v_accvgpr_write_b32 a30, v4
	v_accvgpr_read_b32 v4, a28
	v_accvgpr_read_b32 v5, a29
	v_sub_co_u32_e32 v4, vcc, v4, v16
	s_nop 1
	v_subb_co_u32_e32 v5, vcc, v5, v17, vcc
	v_cmp_lt_i64_e32 vcc, v[10:11], v[4:5]
	s_nop 1
	v_cndmask_b32_e32 v2, v4, v10, vcc
	v_max_i32_e32 v30, 0, v2
	v_add_u32_e32 v4, 31, v30
	v_ashrrev_i32_e32 v5, 31, v4
	v_lshrrev_b32_e32 v5, 27, v5
	v_add_u32_e32 v4, v4, v5
	v_ashrrev_i32_e32 v4, 5, v4
	v_lshlrev_b32_e32 v4, 4, v4
	v_cmp_lt_i32_e32 vcc, 0, v2
	v_max_i32_e32 v8, s76, v4
	s_and_b64 s[22:23], s[50:51], vcc
	v_mov_b32_e32 v2, 0
	v_mov_b32_e32 v10, 0
	s_and_saveexec_b64 s[24:25], s[22:23]
	s_cbranch_execz .LBB3_195
; %bb.54:                               ;   in Loop: Header=BB3_47 Depth=1
	s_mov_b32 s68, 1
	s_mov_b64 s[28:29], -1
	s_mov_b64 s[26:27], 0
	v_mov_b32_e32 v10, 0
	s_branch .LBB3_57
.LBB3_55:                               ;   in Loop: Header=BB3_57 Depth=2
	s_or_b64 exec, exec, vcc
	v_lshl_add_u64 v[20:21], v[20:21], 0, 2
	flat_store_dwordx2 v[22:23], v[20:21] sc0 sc1
.LBB3_56:                               ;   in Loop: Header=BB3_57 Depth=2
	s_or_b64 exec, exec, s[22:23]
	v_add_u32_e32 v10, v8, v10
	v_cmp_ge_i32_e32 vcc, v10, v30
	s_xor_b64 s[22:23], s[28:29], -1
	s_or_b64 s[22:23], s[22:23], vcc
	s_and_b64 s[22:23], exec, s[22:23]
	s_or_b64 s[26:27], s[22:23], s[26:27]
	s_mov_b64 s[28:29], 0
	v_mov_b32_e32 v2, s68
	s_mov_b32 s68, 2
	s_andn2_b64 exec, exec, s[26:27]
	s_cbranch_execz .LBB3_194
.LBB3_57:                               ;   Parent Loop BB3_47 Depth=1
                                        ; =>  This Loop Header: Depth=2
                                        ;       Child Loop BB3_65 Depth 3
                                        ;       Child Loop BB3_89 Depth 3
	;; [unrolled: 1-line block ×9, first 2 shown]
	s_and_saveexec_b64 s[22:23], s[0:1]
	s_cbranch_execz .LBB3_59
; %bb.58:                               ;   in Loop: Header=BB3_57 Depth=2
	s_trap 2
	ds_read_b64 v[4:5], v0
	v_accvgpr_read_b32 v14, a30
	v_accvgpr_read_b32 v15, a31
	v_ashrrev_i32_e32 v11, 31, v10
	v_mov_b32_e32 v2, v3
	s_waitcnt lgkmcnt(0)
	v_lshl_add_u64 v[4:5], v[14:15], 1, v[4:5]
	v_lshl_add_u64 v[4:5], v[16:17], 1, v[4:5]
	;; [unrolled: 1-line block ×3, first 2 shown]
	ds_write_b64 v0, v[4:5]
	ds_write_b64 v0, v[2:3]
.LBB3_59:                               ;   in Loop: Header=BB3_57 Depth=2
	s_or_b64 exec, exec, s[22:23]
	v_and_b32_e32 v2, 8, v62
	v_cmp_ne_u32_e32 vcc, 0, v2
	s_mov_b64 s[52:53], -1
	s_and_saveexec_b64 s[22:23], vcc
	s_cbranch_execz .LBB3_71
; %bb.60:                               ;   in Loop: Header=BB3_57 Depth=2
	v_lshl_add_u64 v[14:15], v[32:33], 0, 8
	v_lshl_add_u64 v[4:5], v[20:21], 0, 2
	v_cmp_lt_u64_e32 vcc, v[14:15], v[4:5]
	v_mov_b32_e32 v2, 1
	s_and_saveexec_b64 s[52:53], vcc
	s_cbranch_execz .LBB3_70
; %bb.61:                               ;   in Loop: Header=BB3_57 Depth=2
	s_mov_b64 s[54:55], 0
	v_mov_b32_e32 v2, 0
                                        ; implicit-def: $sgpr56_sgpr57
	s_branch .LBB3_65
.LBB3_62:                               ;   in Loop: Header=BB3_65 Depth=3
	s_or_b64 exec, exec, s[64:65]
	v_mov_b32_e32 v9, 0
	s_orn2_b64 s[62:63], s[62:63], exec
.LBB3_63:                               ;   in Loop: Header=BB3_65 Depth=3
	s_or_b64 exec, exec, s[60:61]
	s_andn2_b64 vcc, s[56:57], exec
	s_and_b64 s[56:57], s[62:63], exec
	s_or_b64 s[56:57], vcc, s[56:57]
	v_mov_b32_e32 v2, v9
.LBB3_64:                               ;   in Loop: Header=BB3_65 Depth=3
	s_or_b64 exec, exec, s[58:59]
	s_waitcnt vmcnt(0) lgkmcnt(0)
	v_lshl_add_u64 v[14:15], v[32:33], 0, 8
	v_cmp_ge_u64_e32 vcc, v[14:15], v[4:5]
	s_xor_b64 s[58:59], s[56:57], -1
	s_or_b64 vcc, s[58:59], vcc
	s_and_b64 vcc, exec, vcc
	s_or_b64 s[54:55], vcc, s[54:55]
	s_andn2_b64 exec, exec, s[54:55]
	s_cbranch_execz .LBB3_69
.LBB3_65:                               ;   Parent Loop BB3_47 Depth=1
                                        ;     Parent Loop BB3_57 Depth=2
                                        ; =>    This Inner Loop Header: Depth=3
	s_sleep 1
	flat_load_dwordx2 v[32:33], v[22:23] sc0 sc1
	v_and_b32_e32 v9, 64, v62
	v_cmp_eq_u32_e32 vcc, 0, v9
	s_andn2_b64 s[56:57], s[56:57], exec
	s_and_saveexec_b64 s[58:59], vcc
	s_cbranch_execz .LBB3_64
; %bb.66:                               ;   in Loop: Header=BB3_65 Depth=3
	v_add_u32_e32 v9, 1, v2
	v_cmp_lt_i32_e32 vcc, s72, v2
	s_mov_b64 s[62:63], -1
	s_and_saveexec_b64 s[60:61], vcc
	s_cbranch_execz .LBB3_63
; %bb.67:                               ;   in Loop: Header=BB3_65 Depth=3
	s_trap 2
	ds_read_b64 v[14:15], v0
	s_waitcnt vmcnt(0) lgkmcnt(0)
	flat_load_dword v2, v[14:15] sc0 sc1
	s_waitcnt vmcnt(0) lgkmcnt(0)
	buffer_inv sc0 sc1
	v_cmp_ne_u32_e32 vcc, 0, v2
	s_and_saveexec_b64 s[64:65], vcc
	s_cbranch_execz .LBB3_62
; %bb.68:                               ;   in Loop: Header=BB3_65 Depth=3
	v_or_b32_e32 v62, 64, v62
	s_xor_b64 s[62:63], exec, -1
	ds_write_b32 v0, v2
	s_trap 2
	s_branch .LBB3_62
.LBB3_69:                               ;   in Loop: Header=BB3_57 Depth=2
	s_or_b64 exec, exec, s[54:55]
	v_and_b32_e32 v2, 8, v62
.LBB3_70:                               ;   in Loop: Header=BB3_57 Depth=2
	s_or_b64 exec, exec, s[52:53]
	v_cmp_eq_u32_e32 vcc, 0, v2
	s_orn2_b64 s[52:53], vcc, exec
	;;#ASMSTART
	s_wakeup
	;;#ASMEND
.LBB3_71:                               ;   in Loop: Header=BB3_57 Depth=2
	s_or_b64 exec, exec, s[22:23]
	v_sub_u32_e32 v2, v30, v10
	s_xor_b64 s[22:23], s[52:53], -1
	v_min_i32_e32 v8, v8, v2
	s_and_saveexec_b64 s[52:53], s[22:23]
	s_cbranch_execz .LBB3_81
; %bb.72:                               ;   in Loop: Header=BB3_57 Depth=2
	v_and_b32_e32 v2, 0x100, v62
	v_cmp_ne_u32_e32 vcc, 0, v2
	v_and_b32_e32 v2, 7, v20
	s_mov_b64 s[22:23], -1
                                        ; implicit-def: $vgpr4_vgpr5
	s_and_saveexec_b64 s[54:55], vcc
	s_cbranch_execz .LBB3_76
; %bb.73:                               ;   in Loop: Header=BB3_57 Depth=2
	v_mad_u64_u32 v[14:15], s[22:23], v2, 24, v[6:7]
	flat_load_dword v11, v[14:15]
	v_ashrrev_i32_e32 v9, 31, v8
	v_lshlrev_b64 v[4:5], 1, v[8:9]
	flat_store_dwordx2 v[14:15], v[4:5] offset:8
                                        ; implicit-def: $vgpr4_vgpr5
	s_waitcnt vmcnt(0) lgkmcnt(0)
	v_cmp_ne_u32_e32 vcc, 1, v11
	v_cmp_eq_u32_e64 s[22:23], 1, v11
	s_and_saveexec_b64 s[56:57], s[22:23]
	s_cbranch_execz .LBB3_75
; %bb.74:                               ;   in Loop: Header=BB3_57 Depth=2
	flat_load_dword v4, v[14:15] offset:4 sc0 sc1
	s_waitcnt vmcnt(0) lgkmcnt(0)
	v_ashrrev_i32_e32 v5, 31, v4
	v_lshrrev_b64 v[4:5], 1, v[4:5]
.LBB3_75:                               ;   in Loop: Header=BB3_57 Depth=2
	s_or_b64 exec, exec, s[56:57]
	s_orn2_b64 s[22:23], vcc, exec
.LBB3_76:                               ;   in Loop: Header=BB3_57 Depth=2
	s_or_b64 exec, exec, s[54:55]
	s_and_saveexec_b64 vcc, s[22:23]
; %bb.77:                               ;   in Loop: Header=BB3_57 Depth=2
	v_mad_i64_i32 v[4:5], s[22:23], v2, v24, 0
; %bb.78:                               ;   in Loop: Header=BB3_57 Depth=2
	s_or_b64 exec, exec, vcc
	v_and_b32_e32 v2, 0x2000, v62
	v_lshl_add_u64 v[4:5], v[4:5], 1, v[26:27]
	v_cmp_ne_u32_e32 vcc, 0, v2
	ds_write_b64 v0, v[4:5] offset:784
	s_and_saveexec_b64 s[22:23], vcc
	s_cbranch_execz .LBB3_80
; %bb.79:                               ;   in Loop: Header=BB3_57 Depth=2
	ds_read_b64 v[4:5], v0 offset:584
	s_waitcnt lgkmcnt(0)
	v_lshl_add_u64 v[4:5], v[4:5], 0, 1
	ds_write_b64 v0, v[4:5] offset:584
.LBB3_80:                               ;   in Loop: Header=BB3_57 Depth=2
	s_or_b64 exec, exec, s[22:23]
	v_lshl_add_u64 v[20:21], v[20:21], 0, 2
.LBB3_81:                               ;   in Loop: Header=BB3_57 Depth=2
	s_or_b64 exec, exec, s[52:53]
	s_and_saveexec_b64 s[22:23], s[4:5]
	s_cbranch_execz .LBB3_100
; %bb.82:                               ;   in Loop: Header=BB3_57 Depth=2
	s_and_saveexec_b64 vcc, s[38:39]
	s_xor_b64 s[52:53], exec, vcc
	s_cbranch_execz .LBB3_97
; %bb.83:                               ;   in Loop: Header=BB3_57 Depth=2
	s_and_saveexec_b64 s[54:55], s[12:13]
	s_cbranch_execz .LBB3_96
; %bb.84:                               ;   in Loop: Header=BB3_57 Depth=2
	s_mov_b64 s[58:59], exec
	v_mbcnt_lo_u32_b32 v2, s58, 0
	v_mbcnt_hi_u32_b32 v2, s59, v2
	v_cmp_eq_u32_e32 vcc, 0, v2
	s_waitcnt lgkmcnt(0)
	s_and_saveexec_b64 s[56:57], vcc
	s_cbranch_execz .LBB3_86
; %bb.85:                               ;   in Loop: Header=BB3_57 Depth=2
	s_bcnt1_i32_b64 vcc_lo, s[58:59]
	v_mov_b32_e32 v2, vcc_lo
	ds_add_u64 v0, v[2:3]
	s_trap 2
.LBB3_86:                               ;   in Loop: Header=BB3_57 Depth=2
	s_or_b64 exec, exec, s[56:57]
	s_trap 2
	ds_read_b64 v[4:5], v0
	v_lshl_add_u64 v[12:13], v[12:13], 0, v[34:35]
	s_waitcnt lgkmcnt(0)
	v_cmp_lt_u64_e32 vcc, v[4:5], v[12:13]
	s_and_saveexec_b64 s[56:57], vcc
	s_cbranch_execz .LBB3_95
; %bb.87:                               ;   in Loop: Header=BB3_57 Depth=2
	s_mov_b32 s69, 0
	s_mov_b64 s[58:59], 0
                                        ; implicit-def: $sgpr60_sgpr61
                                        ; implicit-def: $sgpr62_sgpr63
	s_branch .LBB3_89
.LBB3_88:                               ;   in Loop: Header=BB3_89 Depth=3
	s_or_b64 exec, exec, s[66:67]
	s_and_b64 vcc, exec, vcc
	s_or_b64 s[58:59], vcc, s[58:59]
	s_andn2_b64 vcc, s[60:61], exec
	s_and_b64 s[60:61], s[62:63], exec
	s_or_b64 s[60:61], vcc, s[60:61]
	s_andn2_b64 exec, exec, s[58:59]
	s_cbranch_execz .LBB3_93
.LBB3_89:                               ;   Parent Loop BB3_47 Depth=1
                                        ;     Parent Loop BB3_57 Depth=2
                                        ; =>    This Inner Loop Header: Depth=3
	s_add_i32 s69, s69, 1
	s_cmpk_lg_i32 s69, 0x2710
	s_cselect_b64 s[64:65], -1, 0
	s_and_b64 vcc, exec, s[64:65]
                                        ; implicit-def: $sgpr66_sgpr67
	s_cbranch_vccnz .LBB3_91
; %bb.90:                               ;   in Loop: Header=BB3_89 Depth=3
	s_trap 2
	ds_read_b64 v[4:5], v0
	s_andn2_b64 s[64:65], s[64:65], exec
	s_mov_b32 s69, 0
	s_mov_b64 s[66:67], -1
	s_waitcnt lgkmcnt(0)
	flat_load_dword v2, v[4:5] sc0 sc1
	s_waitcnt vmcnt(0) lgkmcnt(0)
	buffer_inv sc0 sc1
	v_cmp_eq_u32_e32 vcc, 0, v2
	s_and_b64 vcc, vcc, exec
	s_or_b64 s[64:65], s[64:65], vcc
.LBB3_91:                               ;   in Loop: Header=BB3_89 Depth=3
	s_andn2_b64 s[62:63], s[62:63], exec
	s_and_b64 s[66:67], s[66:67], exec
	s_mov_b64 vcc, -1
	s_or_b64 s[62:63], s[62:63], s[66:67]
	s_and_saveexec_b64 s[66:67], s[64:65]
	s_cbranch_execz .LBB3_88
; %bb.92:                               ;   in Loop: Header=BB3_89 Depth=3
	s_sleep 1
	s_trap 2
	ds_read_b64 v[4:5], v0
	s_andn2_b64 s[62:63], s[62:63], exec
	s_waitcnt lgkmcnt(0)
	v_cmp_ge_u64_e32 vcc, v[4:5], v[12:13]
	s_orn2_b64 vcc, vcc, exec
	s_branch .LBB3_88
.LBB3_93:                               ;   in Loop: Header=BB3_57 Depth=2
	s_or_b64 exec, exec, s[58:59]
	s_and_saveexec_b64 vcc, s[60:61]
	s_xor_b64 vcc, exec, vcc
	s_cbranch_execz .LBB3_95
; %bb.94:                               ;   in Loop: Header=BB3_57 Depth=2
	ds_write_b32 v0, v56
	s_trap 2
.LBB3_95:                               ;   in Loop: Header=BB3_57 Depth=2
	s_or_b64 exec, exec, s[56:57]
	;;#ASMSTART
	s_wakeup
	;;#ASMEND
.LBB3_96:                               ;   in Loop: Header=BB3_57 Depth=2
	s_or_b64 exec, exec, s[54:55]
.LBB3_97:                               ;   in Loop: Header=BB3_57 Depth=2
	s_andn2_saveexec_b64 vcc, s[52:53]
	s_cbranch_execz .LBB3_99
; %bb.98:                               ;   in Loop: Header=BB3_57 Depth=2
	s_waitcnt lgkmcnt(0)
	s_barrier
.LBB3_99:                               ;   in Loop: Header=BB3_57 Depth=2
	s_or_b64 exec, exec, vcc
.LBB3_100:                              ;   in Loop: Header=BB3_57 Depth=2
	s_or_b64 exec, exec, s[22:23]
	s_trap 2
	ds_read_b32 v4, v0
	v_and_b32_e32 v2, 0x4000, v62
	v_cmp_ne_u32_e32 vcc, 0, v2
	s_xor_b64 s[22:23], s[2:3], -1
	s_and_b64 vcc, s[22:23], vcc
	s_and_saveexec_b64 s[22:23], vcc
	s_cbranch_execz .LBB3_119
; %bb.101:                              ;   in Loop: Header=BB3_57 Depth=2
	s_and_saveexec_b64 vcc, s[38:39]
	s_xor_b64 s[52:53], exec, vcc
	s_cbranch_execz .LBB3_116
; %bb.102:                              ;   in Loop: Header=BB3_57 Depth=2
	s_and_saveexec_b64 s[54:55], s[12:13]
	s_cbranch_execz .LBB3_115
; %bb.103:                              ;   in Loop: Header=BB3_57 Depth=2
	s_mov_b64 s[58:59], exec
	v_mbcnt_lo_u32_b32 v2, s58, 0
	v_mbcnt_hi_u32_b32 v2, s59, v2
	v_cmp_eq_u32_e32 vcc, 0, v2
	s_waitcnt lgkmcnt(0)
	s_and_saveexec_b64 s[56:57], vcc
	s_cbranch_execz .LBB3_105
; %bb.104:                              ;   in Loop: Header=BB3_57 Depth=2
	s_bcnt1_i32_b64 vcc_lo, s[58:59]
	v_mov_b32_e32 v2, vcc_lo
	ds_add_u64 v0, v[2:3]
	s_trap 2
.LBB3_105:                              ;   in Loop: Header=BB3_57 Depth=2
	s_or_b64 exec, exec, s[56:57]
	s_trap 2
	ds_read_b64 v[14:15], v0
	v_lshl_add_u64 v[12:13], v[12:13], 0, v[34:35]
	s_waitcnt lgkmcnt(0)
	v_cmp_lt_u64_e32 vcc, v[14:15], v[12:13]
	s_and_saveexec_b64 s[56:57], vcc
	s_cbranch_execz .LBB3_114
; %bb.106:                              ;   in Loop: Header=BB3_57 Depth=2
	s_mov_b32 s69, 0
	s_mov_b64 s[58:59], 0
                                        ; implicit-def: $sgpr60_sgpr61
                                        ; implicit-def: $sgpr62_sgpr63
	s_branch .LBB3_108
.LBB3_107:                              ;   in Loop: Header=BB3_108 Depth=3
	s_or_b64 exec, exec, s[66:67]
	s_and_b64 vcc, exec, vcc
	s_or_b64 s[58:59], vcc, s[58:59]
	s_andn2_b64 vcc, s[60:61], exec
	s_and_b64 s[60:61], s[62:63], exec
	s_or_b64 s[60:61], vcc, s[60:61]
	s_andn2_b64 exec, exec, s[58:59]
	s_cbranch_execz .LBB3_112
.LBB3_108:                              ;   Parent Loop BB3_47 Depth=1
                                        ;     Parent Loop BB3_57 Depth=2
                                        ; =>    This Inner Loop Header: Depth=3
	s_add_i32 s69, s69, 1
	s_cmpk_lg_i32 s69, 0x2710
	s_cselect_b64 s[64:65], -1, 0
	s_and_b64 vcc, exec, s[64:65]
                                        ; implicit-def: $sgpr66_sgpr67
	s_cbranch_vccnz .LBB3_110
; %bb.109:                              ;   in Loop: Header=BB3_108 Depth=3
	s_trap 2
	ds_read_b64 v[14:15], v0
	s_andn2_b64 s[64:65], s[64:65], exec
	s_mov_b32 s69, 0
	s_mov_b64 s[66:67], -1
	s_waitcnt lgkmcnt(0)
	flat_load_dword v2, v[14:15] sc0 sc1
	s_waitcnt vmcnt(0) lgkmcnt(0)
	buffer_inv sc0 sc1
	v_cmp_eq_u32_e32 vcc, 0, v2
	s_and_b64 vcc, vcc, exec
	s_or_b64 s[64:65], s[64:65], vcc
.LBB3_110:                              ;   in Loop: Header=BB3_108 Depth=3
	s_andn2_b64 s[62:63], s[62:63], exec
	s_and_b64 s[66:67], s[66:67], exec
	s_mov_b64 vcc, -1
	s_or_b64 s[62:63], s[62:63], s[66:67]
	s_and_saveexec_b64 s[66:67], s[64:65]
	s_cbranch_execz .LBB3_107
; %bb.111:                              ;   in Loop: Header=BB3_108 Depth=3
	s_sleep 1
	s_trap 2
	ds_read_b64 v[14:15], v0
	s_andn2_b64 s[62:63], s[62:63], exec
	s_waitcnt lgkmcnt(0)
	v_cmp_ge_u64_e32 vcc, v[14:15], v[12:13]
	s_orn2_b64 vcc, vcc, exec
	s_branch .LBB3_107
.LBB3_112:                              ;   in Loop: Header=BB3_57 Depth=2
	s_or_b64 exec, exec, s[58:59]
	s_and_saveexec_b64 vcc, s[60:61]
	s_xor_b64 vcc, exec, vcc
	s_cbranch_execz .LBB3_114
; %bb.113:                              ;   in Loop: Header=BB3_57 Depth=2
	ds_write_b32 v0, v56
	s_trap 2
.LBB3_114:                              ;   in Loop: Header=BB3_57 Depth=2
	s_or_b64 exec, exec, s[56:57]
	;;#ASMSTART
	s_wakeup
	;;#ASMEND
.LBB3_115:                              ;   in Loop: Header=BB3_57 Depth=2
	s_or_b64 exec, exec, s[54:55]
.LBB3_116:                              ;   in Loop: Header=BB3_57 Depth=2
	s_andn2_saveexec_b64 vcc, s[52:53]
	s_cbranch_execz .LBB3_118
; %bb.117:                              ;   in Loop: Header=BB3_57 Depth=2
	s_waitcnt lgkmcnt(0)
	s_barrier
.LBB3_118:                              ;   in Loop: Header=BB3_57 Depth=2
	s_or_b64 exec, exec, vcc
.LBB3_119:                              ;   in Loop: Header=BB3_57 Depth=2
	s_or_b64 exec, exec, s[22:23]
	s_trap 2
	ds_read_b64 v[14:15], v0
	v_mov_b32_e32 v9, 0
	s_waitcnt lgkmcnt(0)
	v_readfirstlane_b32 s22, v14
	v_readfirstlane_b32 s23, v15
	s_cmp_eq_u64 s[22:23], 0
	s_cselect_b64 s[22:23], -1, 0
	s_or_b64 s[22:23], s[22:23], s[22:23]
	s_and_b64 vcc, exec, s[22:23]
	s_cbranch_vccnz .LBB3_140
; %bb.120:                              ;   in Loop: Header=BB3_57 Depth=2
	s_mov_b64 s[22:23], -1
	s_and_saveexec_b64 s[52:53], s[14:15]
	s_cbranch_execz .LBB3_122
; %bb.121:                              ;   in Loop: Header=BB3_57 Depth=2
	ds_read_b32 v2, v0 offset:720
	s_waitcnt lgkmcnt(0)
	v_and_b32_e32 v2, 15, v2
	v_cmp_eq_u32_e32 vcc, 0, v2
	s_orn2_b64 s[22:23], vcc, exec
.LBB3_122:                              ;   in Loop: Header=BB3_57 Depth=2
	s_or_b64 exec, exec, s[52:53]
	s_and_saveexec_b64 s[52:53], s[16:17]
	s_cbranch_execz .LBB3_124
; %bb.123:                              ;   in Loop: Header=BB3_57 Depth=2
	ds_read_b32 v2, v0 offset:784
	s_waitcnt lgkmcnt(0)
	v_and_b32_e32 v2, 15, v2
	v_cmp_eq_u32_e32 vcc, 0, v2
	s_and_b64 vcc, s[22:23], vcc
	s_andn2_b64 s[22:23], s[22:23], exec
	s_and_b64 vcc, vcc, exec
	s_or_b64 s[22:23], s[22:23], vcc
.LBB3_124:                              ;   in Loop: Header=BB3_57 Depth=2
	s_or_b64 exec, exec, s[52:53]
	v_cmp_eq_u32_e32 vcc, 0, v4
	s_xor_b64 s[22:23], s[22:23], -1
	v_cndmask_b32_e64 v4, 0, 1, s[22:23]
	v_cndmask_b32_e32 v9, 0, v8, vcc
	v_mov_b32_e32 v11, 0
	v_lshlrev_b32_e32 v2, 1, v9
	s_mov_b64 s[54:55], -1
	;;#ASMSTART
	;;#ASMEND
	s_nop 0
	v_cmp_ne_u32_e32 vcc, 0, v4
	s_cbranch_vccz .LBB3_141
; %bb.125:                              ;   in Loop: Header=BB3_57 Depth=2
	v_mov_b32_e32 v25, v60
	v_mov_b32_e32 v14, v61
	s_and_saveexec_b64 s[22:23], s[54:55]
	s_cbranch_execz .LBB3_154
.LBB3_126:                              ;   in Loop: Header=BB3_57 Depth=2
	v_ashrrev_i32_e32 v4, 31, v2
	v_lshrrev_b32_e32 v4, 23, v4
	v_add_u32_e32 v4, v2, v4
	v_ashrrev_i32_e32 v37, 9, v4
	v_sub_u32_e32 v31, v37, v14
	v_ashrrev_i32_e32 v4, 31, v25
	v_cmp_lt_i32_e32 vcc, 0, v31
	v_lshrrev_b32_e32 v36, 26, v4
	s_and_saveexec_b64 s[52:53], vcc
	s_cbranch_execz .LBB3_130
; %bb.127:                              ;   in Loop: Header=BB3_57 Depth=2
	s_trap 2
	ds_read_b64 v[4:5], v0
	v_add_u32_e32 v15, v25, v36
	v_and_b32_e32 v15, 0x7fffffc0, v15
	v_sub_u32_e32 v15, v25, v15
	v_lshlrev_b32_e32 v15, 1, v15
	v_lshlrev_b32_e32 v14, 9, v14
	v_add3_u32 v14, v15, v11, v14
	v_ashrrev_i32_e32 v15, 31, v14
	s_mov_b64 s[54:55], 0
	s_waitcnt lgkmcnt(0)
	v_mov_b64_e32 v[18:19], v[4:5]
.LBB3_128:                              ;   Parent Loop BB3_47 Depth=1
                                        ;     Parent Loop BB3_57 Depth=2
                                        ; =>    This Inner Loop Header: Depth=3
	v_lshl_add_u64 v[48:49], v[14:15], 0, v[18:19]
	flat_load_ushort v52, v[48:49] nt
	flat_load_ushort v53, v[48:49] offset:128 nt
	flat_load_ushort v54, v[48:49] offset:256 nt
	;; [unrolled: 1-line block ×3, first 2 shown]
	v_sub_u32_e32 v31, v31, v34
	v_cmp_gt_i32_e32 vcc, 1, v31
	v_lshl_add_u64 v[48:49], v[14:15], 0, v[4:5]
	v_lshl_add_u64 v[18:19], v[18:19], 0, v[40:41]
	;; [unrolled: 1-line block ×3, first 2 shown]
	s_or_b64 s[54:55], vcc, s[54:55]
	s_waitcnt vmcnt(0) lgkmcnt(0)
	flat_store_short v[48:49], v52 nt
	flat_store_short v[48:49], v53 offset:128 nt
	flat_store_short v[48:49], v54 offset:256 nt
	;; [unrolled: 1-line block ×3, first 2 shown]
	s_andn2_b64 exec, exec, s[54:55]
	s_cbranch_execnz .LBB3_128
; %bb.129:                              ;   in Loop: Header=BB3_57 Depth=2
	s_or_b64 exec, exec, s[54:55]
	v_accvgpr_read_b32 v55, a21
	v_accvgpr_read_b32 v54, a20
.LBB3_130:                              ;   in Loop: Header=BB3_57 Depth=2
	s_or_b64 exec, exec, s[52:53]
	v_lshlrev_b32_e32 v4, 9, v37
	v_cmp_ne_u32_e32 vcc, v2, v4
	s_and_saveexec_b64 s[52:53], vcc
	s_cbranch_execz .LBB3_134
; %bb.131:                              ;   in Loop: Header=BB3_57 Depth=2
	v_add_u32_e32 v5, v25, v36
	v_and_b32_e32 v5, 0xffffffc0, v5
	v_sub_u32_e32 v5, v25, v5
	v_lshlrev_b32_e32 v14, 6, v31
	v_sub_u32_e32 v5, v5, v14
	v_ashrrev_i32_e32 v14, 31, v5
	v_lshrrev_b32_e32 v14, 26, v14
	v_add_u32_e32 v14, v5, v14
	v_and_b32_e32 v15, 0x7fffffc0, v14
	v_sub_u32_e32 v5, v5, v15
	v_lshlrev_b32_e32 v14, 1, v14
	v_and_b32_e32 v14, 0xffffff80, v14
	v_lshlrev_b32_e32 v5, 1, v5
	v_add3_u32 v14, v14, v5, v4
	v_sub_u32_e32 v2, v2, v14
	v_cmp_lt_i32_e32 vcc, 1, v2
	s_and_b64 exec, exec, vcc
	s_cbranch_execz .LBB3_134
; %bb.132:                              ;   in Loop: Header=BB3_57 Depth=2
	s_trap 2
	ds_read_b64 v[4:5], v0
	v_add_u32_e32 v14, v14, v11
	v_ashrrev_i32_e32 v15, 31, v14
	s_mov_b64 s[54:55], 0
.LBB3_133:                              ;   Parent Loop BB3_47 Depth=1
                                        ;     Parent Loop BB3_57 Depth=2
                                        ; =>    This Inner Loop Header: Depth=3
	s_waitcnt lgkmcnt(0)
	v_lshl_add_u64 v[18:19], v[4:5], 0, v[14:15]
	flat_load_ushort v11, v[18:19] nt
	v_sub_u32_e32 v2, v2, v39
	v_cmp_gt_i32_e32 vcc, 2, v2
	v_lshl_add_u64 v[14:15], v[14:15], 0, v[44:45]
	s_or_b64 s[54:55], vcc, s[54:55]
	s_waitcnt vmcnt(0) lgkmcnt(0)
	flat_store_short v[18:19], v11 nt
	s_andn2_b64 exec, exec, s[54:55]
	s_cbranch_execnz .LBB3_133
.LBB3_134:                              ;   in Loop: Header=BB3_57 Depth=2
	s_or_b64 exec, exec, s[52:53]
	s_or_b64 exec, exec, s[22:23]
	s_and_saveexec_b64 s[22:23], s[4:5]
	s_cbranch_execnz .LBB3_155
.LBB3_135:                              ;   in Loop: Header=BB3_57 Depth=2
	s_or_b64 exec, exec, s[22:23]
                                        ; implicit-def: $vgpr2
	s_and_saveexec_b64 s[22:23], s[20:21]
	s_xor_b64 s[52:53], exec, s[22:23]
	s_cbranch_execz .LBB3_173
.LBB3_136:                              ;   in Loop: Header=BB3_57 Depth=2
	v_and_b32_e32 v4, 16, v62
	v_cmp_lt_i32_e32 vcc, 0, v9
	v_cmp_ne_u32_e64 s[22:23], 0, v4
	v_and_b32_e32 v2, 16, v62
	s_and_b64 vcc, s[22:23], vcc
	s_and_saveexec_b64 s[22:23], vcc
	s_cbranch_execz .LBB3_138
; %bb.137:                              ;   in Loop: Header=BB3_57 Depth=2
	v_mov_b32_e32 v2, 1
	buffer_wbl2 sc1
	s_waitcnt vmcnt(0) lgkmcnt(0)
	buffer_inv sc1
.LBB3_138:                              ;   in Loop: Header=BB3_57 Depth=2
	s_or_b64 exec, exec, s[22:23]
	s_andn2_saveexec_b64 s[22:23], s[52:53]
	s_cbranch_execnz .LBB3_174
.LBB3_139:                              ;   in Loop: Header=BB3_57 Depth=2
	s_or_b64 exec, exec, s[22:23]
	v_cmp_ne_u32_e32 vcc, 0, v2
	s_and_saveexec_b64 s[22:23], vcc
	s_cbranch_execz .LBB3_56
	s_branch .LBB3_192
.LBB3_140:                              ;   in Loop: Header=BB3_57 Depth=2
	s_and_saveexec_b64 s[22:23], s[4:5]
	s_cbranch_execnz .LBB3_155
	s_branch .LBB3_135
.LBB3_141:                              ;   in Loop: Header=BB3_57 Depth=2
	v_ashrrev_i32_e32 v4, 31, v2
	v_lshrrev_b32_e32 v4, 21, v4
	v_add_u32_e32 v4, v2, v4
	v_ashrrev_i32_e32 v11, 11, v4
	v_sub_u32_e32 v19, v11, v61
	v_cmp_lt_i32_e32 vcc, 0, v19
	s_and_saveexec_b64 s[22:23], vcc
	s_cbranch_execz .LBB3_145
; %bb.142:                              ;   in Loop: Header=BB3_57 Depth=2
	s_trap 2
	ds_read_b64 v[4:5], v0
	v_accvgpr_read_b32 v14, a24
	s_mov_b64 s[52:53], 0
	v_accvgpr_read_b32 v15, a25
.LBB3_143:                              ;   Parent Loop BB3_47 Depth=1
                                        ;     Parent Loop BB3_57 Depth=2
                                        ; =>    This Inner Loop Header: Depth=3
	s_waitcnt lgkmcnt(0)
	v_lshl_add_u64 v[36:37], v[4:5], 0, v[14:15]
	global_load_dwordx4 v[46:49], v[36:37], off nt
	global_load_dwordx4 v[58:61], v[36:37], off offset:1024 nt
	v_sub_u32_e32 v19, v19, v34
	v_cmp_gt_i32_e32 vcc, 1, v19
	v_lshl_add_u64 v[14:15], v[14:15], 0, v[54:55]
	s_or_b64 s[52:53], vcc, s[52:53]
	s_waitcnt vmcnt(0)
	global_store_dwordx4 v[36:37], v[46:49], off nt
	s_waitcnt vmcnt(1)
	global_store_dwordx4 v[36:37], v[58:61], off offset:1024 nt
	s_andn2_b64 exec, exec, s[52:53]
	s_cbranch_execnz .LBB3_143
; %bb.144:                              ;   in Loop: Header=BB3_57 Depth=2
	s_or_b64 exec, exec, s[52:53]
	v_accvgpr_read_b32 v59, a19
	v_accvgpr_read_b32 v60, a3
	;; [unrolled: 1-line block ×4, first 2 shown]
.LBB3_145:                              ;   in Loop: Header=BB3_57 Depth=2
	s_or_b64 exec, exec, s[22:23]
	v_lshlrev_b32_e32 v18, 11, v11
	v_cmp_ne_u32_e32 vcc, v2, v18
	s_mov_b64 s[54:55], 0
	v_mov_b32_e32 v11, 0
                                        ; implicit-def: $vgpr25
                                        ; implicit-def: $vgpr14
	s_and_saveexec_b64 s[52:53], vcc
	s_cbranch_execz .LBB3_153
; %bb.146:                              ;   in Loop: Header=BB3_57 Depth=2
	v_lshlrev_b32_e32 v5, 6, v19
	v_accvgpr_read_b32 v11, a22
	v_sub_u32_e32 v5, v11, v5
	v_ashrrev_i32_e32 v11, 31, v5
	v_lshrrev_b32_e32 v11, 26, v11
	v_add_u32_e32 v11, v5, v11
	v_ashrrev_i32_e32 v15, 6, v11
	v_and_b32_e32 v11, 0xffffffc0, v11
	v_sub_u32_e32 v19, v5, v11
	v_sub_u32_e32 v4, v2, v18
	v_lshlrev_b32_e32 v5, 4, v19
	v_lshl_add_u32 v14, v15, 10, v5
	v_ashrrev_i32_e32 v5, 31, v4
	v_lshrrev_b32_e32 v5, 22, v5
	v_add_u32_e32 v5, v4, v5
	v_and_b32_e32 v31, 0xfffffc00, v5
	v_sub_u32_e32 v37, v4, v31
	v_ashrrev_i32_e32 v25, 10, v5
	v_cmp_lt_i32_e32 vcc, 15, v37
	v_sub_u32_e32 v11, v4, v14
	s_nop 0
	v_addc_co_u32_e64 v4, s[22:23], 0, v25, vcc
	v_sub_u32_e32 v36, v4, v15
	v_cmp_lt_i32_e64 s[22:23], 15, v11
	s_and_saveexec_b64 s[54:55], s[22:23]
	s_cbranch_execz .LBB3_150
; %bb.147:                              ;   in Loop: Header=BB3_57 Depth=2
	s_trap 2
	ds_read_b64 v[4:5], v0
	v_add_u32_e32 v14, v14, v18
	v_ashrrev_i32_e32 v15, 31, v14
	s_mov_b64 s[56:57], 0
.LBB3_148:                              ;   Parent Loop BB3_47 Depth=1
                                        ;     Parent Loop BB3_57 Depth=2
                                        ; =>    This Inner Loop Header: Depth=3
	s_waitcnt lgkmcnt(0)
	v_lshl_add_u64 v[52:53], v[4:5], 0, v[14:15]
	global_load_dwordx4 v[46:49], v[52:53], off nt
	v_sub_u32_e32 v11, v11, v38
	v_cmp_gt_i32_e64 s[22:23], 16, v11
	v_sub_u32_e32 v36, v36, v34
	v_lshl_add_u64 v[14:15], v[14:15], 0, v[42:43]
	s_or_b64 s[56:57], s[22:23], s[56:57]
	s_waitcnt vmcnt(0)
	global_store_dwordx4 v[52:53], v[46:49], off nt
	s_andn2_b64 exec, exec, s[56:57]
	s_cbranch_execnz .LBB3_148
; %bb.149:                              ;   in Loop: Header=BB3_57 Depth=2
	s_or_b64 exec, exec, s[56:57]
.LBB3_150:                              ;   in Loop: Header=BB3_57 Depth=2
	s_or_b64 exec, exec, s[54:55]
	v_and_b32_e32 v4, 14, v2
	v_cndmask_b32_e32 v2, v37, v4, vcc
	v_cmp_ne_u32_e64 s[22:23], 0, v2
	s_mov_b64 s[54:55], 0
	v_mov_b32_e32 v11, 0
                                        ; implicit-def: $vgpr25
                                        ; implicit-def: $vgpr14
	s_and_saveexec_b64 s[56:57], s[22:23]
	s_cbranch_execz .LBB3_152
; %bb.151:                              ;   in Loop: Header=BB3_57 Depth=2
	v_sub_u32_e32 v4, v37, v4
	v_cndmask_b32_e32 v4, 0, v4, vcc
	v_cmp_lt_i32_e32 vcc, 0, v36
	v_add3_u32 v11, v31, v18, v4
	s_mov_b64 s[54:55], exec
	v_cndmask_b32_e32 v4, 0, v34, vcc
	v_sub_u32_e32 v4, v4, v36
	v_lshl_add_u32 v25, v4, 6, v19
	v_ashrrev_i32_e32 v4, 31, v25
	v_lshrrev_b32_e32 v4, 26, v4
	v_add_u32_e32 v4, v25, v4
	v_ashrrev_i32_e32 v14, 6, v4
.LBB3_152:                              ;   in Loop: Header=BB3_57 Depth=2
	s_or_b64 exec, exec, s[56:57]
	s_and_b64 s[54:55], s[54:55], exec
.LBB3_153:                              ;   in Loop: Header=BB3_57 Depth=2
	s_or_b64 exec, exec, s[52:53]
	s_and_saveexec_b64 s[22:23], s[54:55]
	s_cbranch_execnz .LBB3_126
.LBB3_154:                              ;   in Loop: Header=BB3_57 Depth=2
	s_or_b64 exec, exec, s[22:23]
	s_and_saveexec_b64 s[22:23], s[4:5]
	s_cbranch_execz .LBB3_135
.LBB3_155:                              ;   in Loop: Header=BB3_57 Depth=2
	s_and_saveexec_b64 vcc, s[38:39]
	s_xor_b64 s[52:53], exec, vcc
	s_cbranch_execz .LBB3_170
; %bb.156:                              ;   in Loop: Header=BB3_57 Depth=2
	s_and_saveexec_b64 s[54:55], s[12:13]
	s_cbranch_execz .LBB3_169
; %bb.157:                              ;   in Loop: Header=BB3_57 Depth=2
	s_mov_b64 s[58:59], exec
	v_mbcnt_lo_u32_b32 v2, s58, 0
	v_mbcnt_hi_u32_b32 v2, s59, v2
	v_cmp_eq_u32_e32 vcc, 0, v2
	s_waitcnt lgkmcnt(0)
	s_and_saveexec_b64 s[56:57], vcc
	s_cbranch_execz .LBB3_159
; %bb.158:                              ;   in Loop: Header=BB3_57 Depth=2
	s_bcnt1_i32_b64 vcc_lo, s[58:59]
	v_mov_b32_e32 v2, vcc_lo
	ds_add_u64 v0, v[2:3]
	s_trap 2
.LBB3_159:                              ;   in Loop: Header=BB3_57 Depth=2
	s_or_b64 exec, exec, s[56:57]
	s_trap 2
	ds_read_b64 v[4:5], v0
	v_lshl_add_u64 v[12:13], v[12:13], 0, v[34:35]
	s_waitcnt lgkmcnt(0)
	v_cmp_lt_u64_e32 vcc, v[4:5], v[12:13]
	s_and_saveexec_b64 s[56:57], vcc
	s_cbranch_execz .LBB3_168
; %bb.160:                              ;   in Loop: Header=BB3_57 Depth=2
	s_mov_b32 s69, 0
	s_mov_b64 s[58:59], 0
                                        ; implicit-def: $sgpr60_sgpr61
                                        ; implicit-def: $sgpr62_sgpr63
	s_branch .LBB3_162
.LBB3_161:                              ;   in Loop: Header=BB3_162 Depth=3
	s_or_b64 exec, exec, s[66:67]
	s_and_b64 vcc, exec, vcc
	s_or_b64 s[58:59], vcc, s[58:59]
	s_andn2_b64 vcc, s[60:61], exec
	s_and_b64 s[60:61], s[62:63], exec
	s_or_b64 s[60:61], vcc, s[60:61]
	s_andn2_b64 exec, exec, s[58:59]
	s_cbranch_execz .LBB3_166
.LBB3_162:                              ;   Parent Loop BB3_47 Depth=1
                                        ;     Parent Loop BB3_57 Depth=2
                                        ; =>    This Inner Loop Header: Depth=3
	s_add_i32 s69, s69, 1
	s_cmpk_lg_i32 s69, 0x2710
	s_cselect_b64 s[64:65], -1, 0
	s_and_b64 vcc, exec, s[64:65]
                                        ; implicit-def: $sgpr66_sgpr67
	s_cbranch_vccnz .LBB3_164
; %bb.163:                              ;   in Loop: Header=BB3_162 Depth=3
	s_trap 2
	ds_read_b64 v[4:5], v0
	s_andn2_b64 s[64:65], s[64:65], exec
	s_mov_b32 s69, 0
	s_mov_b64 s[66:67], -1
	s_waitcnt vmcnt(0) lgkmcnt(0)
	flat_load_dword v2, v[4:5] sc0 sc1
	s_waitcnt vmcnt(0) lgkmcnt(0)
	buffer_inv sc0 sc1
	v_cmp_eq_u32_e32 vcc, 0, v2
	s_and_b64 vcc, vcc, exec
	s_or_b64 s[64:65], s[64:65], vcc
.LBB3_164:                              ;   in Loop: Header=BB3_162 Depth=3
	s_andn2_b64 s[62:63], s[62:63], exec
	s_and_b64 s[66:67], s[66:67], exec
	s_mov_b64 vcc, -1
	s_or_b64 s[62:63], s[62:63], s[66:67]
	s_and_saveexec_b64 s[66:67], s[64:65]
	s_cbranch_execz .LBB3_161
; %bb.165:                              ;   in Loop: Header=BB3_162 Depth=3
	s_sleep 1
	s_trap 2
	ds_read_b64 v[4:5], v0
	s_andn2_b64 s[62:63], s[62:63], exec
	s_waitcnt lgkmcnt(0)
	v_cmp_ge_u64_e32 vcc, v[4:5], v[12:13]
	s_orn2_b64 vcc, vcc, exec
	s_branch .LBB3_161
.LBB3_166:                              ;   in Loop: Header=BB3_57 Depth=2
	s_or_b64 exec, exec, s[58:59]
	s_and_saveexec_b64 vcc, s[60:61]
	s_xor_b64 vcc, exec, vcc
	s_cbranch_execz .LBB3_168
; %bb.167:                              ;   in Loop: Header=BB3_57 Depth=2
	ds_write_b32 v0, v56
	s_trap 2
.LBB3_168:                              ;   in Loop: Header=BB3_57 Depth=2
	s_or_b64 exec, exec, s[56:57]
	;;#ASMSTART
	s_wakeup
	;;#ASMEND
.LBB3_169:                              ;   in Loop: Header=BB3_57 Depth=2
	s_or_b64 exec, exec, s[54:55]
.LBB3_170:                              ;   in Loop: Header=BB3_57 Depth=2
	s_andn2_saveexec_b64 vcc, s[52:53]
	s_cbranch_execz .LBB3_172
; %bb.171:                              ;   in Loop: Header=BB3_57 Depth=2
	s_waitcnt lgkmcnt(0)
	s_barrier
.LBB3_172:                              ;   in Loop: Header=BB3_57 Depth=2
	s_or_b64 exec, exec, vcc
	s_or_b64 exec, exec, s[22:23]
                                        ; implicit-def: $vgpr2
	s_and_saveexec_b64 s[22:23], s[20:21]
	s_xor_b64 s[52:53], exec, s[22:23]
	s_cbranch_execnz .LBB3_136
.LBB3_173:                              ;   in Loop: Header=BB3_57 Depth=2
	s_andn2_saveexec_b64 s[22:23], s[52:53]
	s_cbranch_execz .LBB3_139
.LBB3_174:                              ;   in Loop: Header=BB3_57 Depth=2
	s_and_saveexec_b64 vcc, s[38:39]
	s_xor_b64 s[52:53], exec, vcc
	s_cbranch_execz .LBB3_189
; %bb.175:                              ;   in Loop: Header=BB3_57 Depth=2
	s_and_saveexec_b64 s[54:55], s[12:13]
	s_cbranch_execz .LBB3_188
; %bb.176:                              ;   in Loop: Header=BB3_57 Depth=2
	s_mov_b64 s[58:59], exec
	v_mbcnt_lo_u32_b32 v2, s58, 0
	v_mbcnt_hi_u32_b32 v2, s59, v2
	v_cmp_eq_u32_e32 vcc, 0, v2
	;;#ASMSTART
	s_waitcnt lgkmcnt(0) vmcnt(0)
	;;#ASMEND
	s_and_saveexec_b64 s[56:57], vcc
	s_cbranch_execz .LBB3_178
; %bb.177:                              ;   in Loop: Header=BB3_57 Depth=2
	s_bcnt1_i32_b64 vcc_lo, s[58:59]
	v_mov_b32_e32 v2, vcc_lo
	ds_add_u64 v0, v[2:3]
	s_trap 2
.LBB3_178:                              ;   in Loop: Header=BB3_57 Depth=2
	s_or_b64 exec, exec, s[56:57]
	s_trap 2
	ds_read_b64 v[4:5], v0
	v_lshl_add_u64 v[12:13], v[12:13], 0, v[34:35]
	s_waitcnt lgkmcnt(0)
	v_cmp_lt_u64_e32 vcc, v[4:5], v[12:13]
	s_and_saveexec_b64 s[56:57], vcc
	s_cbranch_execz .LBB3_187
; %bb.179:                              ;   in Loop: Header=BB3_57 Depth=2
	s_mov_b32 s69, 0
	s_mov_b64 s[58:59], 0
                                        ; implicit-def: $sgpr60_sgpr61
                                        ; implicit-def: $sgpr62_sgpr63
	s_branch .LBB3_181
.LBB3_180:                              ;   in Loop: Header=BB3_181 Depth=3
	s_or_b64 exec, exec, s[66:67]
	s_and_b64 vcc, exec, vcc
	s_or_b64 s[58:59], vcc, s[58:59]
	s_andn2_b64 vcc, s[60:61], exec
	s_and_b64 s[60:61], s[62:63], exec
	s_or_b64 s[60:61], vcc, s[60:61]
	s_andn2_b64 exec, exec, s[58:59]
	s_cbranch_execz .LBB3_185
.LBB3_181:                              ;   Parent Loop BB3_47 Depth=1
                                        ;     Parent Loop BB3_57 Depth=2
                                        ; =>    This Inner Loop Header: Depth=3
	s_add_i32 s69, s69, 1
	s_cmpk_lg_i32 s69, 0x2710
	s_cselect_b64 s[64:65], -1, 0
	s_and_b64 vcc, exec, s[64:65]
                                        ; implicit-def: $sgpr66_sgpr67
	s_cbranch_vccnz .LBB3_183
; %bb.182:                              ;   in Loop: Header=BB3_181 Depth=3
	s_trap 2
	ds_read_b64 v[4:5], v0
	s_andn2_b64 s[64:65], s[64:65], exec
	s_mov_b32 s69, 0
	s_mov_b64 s[66:67], -1
	s_waitcnt vmcnt(0) lgkmcnt(0)
	flat_load_dword v2, v[4:5] sc0 sc1
	s_waitcnt vmcnt(0) lgkmcnt(0)
	buffer_inv sc0 sc1
	v_cmp_eq_u32_e32 vcc, 0, v2
	s_and_b64 vcc, vcc, exec
	s_or_b64 s[64:65], s[64:65], vcc
.LBB3_183:                              ;   in Loop: Header=BB3_181 Depth=3
	s_andn2_b64 s[62:63], s[62:63], exec
	s_and_b64 s[66:67], s[66:67], exec
	s_mov_b64 vcc, -1
	s_or_b64 s[62:63], s[62:63], s[66:67]
	s_and_saveexec_b64 s[66:67], s[64:65]
	s_cbranch_execz .LBB3_180
; %bb.184:                              ;   in Loop: Header=BB3_181 Depth=3
	s_sleep 1
	s_trap 2
	ds_read_b64 v[4:5], v0
	s_andn2_b64 s[62:63], s[62:63], exec
	s_waitcnt lgkmcnt(0)
	v_cmp_ge_u64_e32 vcc, v[4:5], v[12:13]
	s_orn2_b64 vcc, vcc, exec
	s_branch .LBB3_180
.LBB3_185:                              ;   in Loop: Header=BB3_57 Depth=2
	s_or_b64 exec, exec, s[58:59]
	s_and_saveexec_b64 vcc, s[60:61]
	s_xor_b64 vcc, exec, vcc
	s_cbranch_execz .LBB3_187
; %bb.186:                              ;   in Loop: Header=BB3_57 Depth=2
	ds_write_b32 v0, v56
	s_trap 2
.LBB3_187:                              ;   in Loop: Header=BB3_57 Depth=2
	s_or_b64 exec, exec, s[56:57]
	;;#ASMSTART
	s_wakeup
	;;#ASMEND
.LBB3_188:                              ;   in Loop: Header=BB3_57 Depth=2
	s_or_b64 exec, exec, s[54:55]
.LBB3_189:                              ;   in Loop: Header=BB3_57 Depth=2
	s_andn2_saveexec_b64 vcc, s[52:53]
	s_cbranch_execz .LBB3_191
; %bb.190:                              ;   in Loop: Header=BB3_57 Depth=2
	;;#ASMSTART
	s_waitcnt lgkmcnt(0) vmcnt(0)
	;;#ASMEND
	s_barrier
.LBB3_191:                              ;   in Loop: Header=BB3_57 Depth=2
	s_or_b64 exec, exec, vcc
	v_and_b32_e32 v2, 16, v62
	s_or_b64 exec, exec, s[22:23]
	v_cmp_ne_u32_e32 vcc, 0, v2
	s_and_saveexec_b64 s[22:23], vcc
	s_cbranch_execz .LBB3_56
.LBB3_192:                              ;   in Loop: Header=BB3_57 Depth=2
	s_and_saveexec_b64 vcc, s[10:11]
	s_cbranch_execz .LBB3_55
; %bb.193:                              ;   in Loop: Header=BB3_57 Depth=2
	flat_store_dword v[28:29], v56 sc0 sc1
	s_branch .LBB3_55
.LBB3_194:                              ;   in Loop: Header=BB3_47 Depth=1
	s_or_b64 exec, exec, s[26:27]
.LBB3_195:                              ;   in Loop: Header=BB3_47 Depth=1
	s_or_b64 exec, exec, s[24:25]
	v_cmp_gt_i32_e32 vcc, 2, v2
	s_and_saveexec_b64 s[24:25], vcc
	s_cbranch_execz .LBB3_267
; %bb.196:                              ;   in Loop: Header=BB3_47 Depth=1
	v_cmp_eq_u32_e64 s[22:23], 0, v2
	s_mov_b64 s[26:27], 0
	s_branch .LBB3_199
.LBB3_197:                              ;   in Loop: Header=BB3_199 Depth=2
	s_or_b64 exec, exec, s[28:29]
	v_lshl_add_u64 v[20:21], v[20:21], 0, 2
	flat_store_dwordx2 v[22:23], v[20:21] sc0 sc1
.LBB3_198:                              ;   in Loop: Header=BB3_199 Depth=2
	s_or_b64 exec, exec, s[22:23]
	v_add_u32_e32 v10, v8, v10
	s_mov_b64 s[22:23], 0
	s_andn2_b64 exec, exec, s[26:27]
	s_cbranch_execz .LBB3_266
.LBB3_199:                              ;   Parent Loop BB3_47 Depth=1
                                        ; =>  This Loop Header: Depth=2
                                        ;       Child Loop BB3_205 Depth 3
                                        ;       Child Loop BB3_234 Depth 3
                                        ;       Child Loop BB3_253 Depth 3
	v_and_b32_e32 v2, 8, v62
	s_mov_b64 s[52:53], -1
	v_cmp_ne_u32_e32 vcc, 0, v2
	s_and_saveexec_b64 s[28:29], vcc
	s_cbranch_execz .LBB3_211
; %bb.200:                              ;   in Loop: Header=BB3_199 Depth=2
	v_lshl_add_u64 v[14:15], v[32:33], 0, 8
	v_lshl_add_u64 v[4:5], v[20:21], 0, 2
	v_cmp_lt_u64_e32 vcc, v[14:15], v[4:5]
	v_mov_b32_e32 v2, 1
	s_and_saveexec_b64 s[52:53], vcc
	s_cbranch_execz .LBB3_210
; %bb.201:                              ;   in Loop: Header=BB3_199 Depth=2
	s_mov_b64 s[54:55], 0
	v_mov_b32_e32 v2, 0
                                        ; implicit-def: $sgpr56_sgpr57
	s_branch .LBB3_205
.LBB3_202:                              ;   in Loop: Header=BB3_205 Depth=3
	s_or_b64 exec, exec, s[64:65]
	v_mov_b32_e32 v9, 0
	s_orn2_b64 s[62:63], s[62:63], exec
.LBB3_203:                              ;   in Loop: Header=BB3_205 Depth=3
	s_or_b64 exec, exec, s[60:61]
	s_andn2_b64 vcc, s[56:57], exec
	s_and_b64 s[56:57], s[62:63], exec
	s_or_b64 s[56:57], vcc, s[56:57]
	v_mov_b32_e32 v2, v9
.LBB3_204:                              ;   in Loop: Header=BB3_205 Depth=3
	s_or_b64 exec, exec, s[58:59]
	s_waitcnt vmcnt(0) lgkmcnt(0)
	v_lshl_add_u64 v[14:15], v[32:33], 0, 8
	v_cmp_ge_u64_e32 vcc, v[14:15], v[4:5]
	s_xor_b64 s[58:59], s[56:57], -1
	s_or_b64 vcc, s[58:59], vcc
	s_and_b64 vcc, exec, vcc
	s_or_b64 s[54:55], vcc, s[54:55]
	s_andn2_b64 exec, exec, s[54:55]
	s_cbranch_execz .LBB3_209
.LBB3_205:                              ;   Parent Loop BB3_47 Depth=1
                                        ;     Parent Loop BB3_199 Depth=2
                                        ; =>    This Inner Loop Header: Depth=3
	s_sleep 1
	flat_load_dwordx2 v[32:33], v[22:23] sc0 sc1
	v_and_b32_e32 v9, 64, v62
	v_cmp_eq_u32_e32 vcc, 0, v9
	s_andn2_b64 s[56:57], s[56:57], exec
	s_and_saveexec_b64 s[58:59], vcc
	s_cbranch_execz .LBB3_204
; %bb.206:                              ;   in Loop: Header=BB3_205 Depth=3
	v_add_u32_e32 v9, 1, v2
	v_cmp_lt_i32_e32 vcc, s72, v2
	s_mov_b64 s[62:63], -1
	s_and_saveexec_b64 s[60:61], vcc
	s_cbranch_execz .LBB3_203
; %bb.207:                              ;   in Loop: Header=BB3_205 Depth=3
	s_trap 2
	ds_read_b64 v[14:15], v0
	s_waitcnt vmcnt(0) lgkmcnt(0)
	flat_load_dword v2, v[14:15] sc0 sc1
	s_waitcnt vmcnt(0) lgkmcnt(0)
	buffer_inv sc0 sc1
	v_cmp_ne_u32_e32 vcc, 0, v2
	s_and_saveexec_b64 s[64:65], vcc
	s_cbranch_execz .LBB3_202
; %bb.208:                              ;   in Loop: Header=BB3_205 Depth=3
	v_or_b32_e32 v62, 64, v62
	s_xor_b64 s[62:63], exec, -1
	ds_write_b32 v0, v2
	s_trap 2
	s_branch .LBB3_202
.LBB3_209:                              ;   in Loop: Header=BB3_199 Depth=2
	s_or_b64 exec, exec, s[54:55]
	v_and_b32_e32 v2, 8, v62
.LBB3_210:                              ;   in Loop: Header=BB3_199 Depth=2
	s_or_b64 exec, exec, s[52:53]
	v_cmp_eq_u32_e32 vcc, 0, v2
	s_orn2_b64 s[52:53], vcc, exec
	;;#ASMSTART
	s_wakeup
	;;#ASMEND
.LBB3_211:                              ;   in Loop: Header=BB3_199 Depth=2
	s_or_b64 exec, exec, s[28:29]
	s_xor_b64 s[22:23], s[22:23], -1
	s_and_b64 s[22:23], exec, s[22:23]
	s_or_b64 s[26:27], s[22:23], s[26:27]
	v_sub_u32_e32 v2, v30, v10
	s_xor_b64 s[22:23], s[52:53], -1
	v_min_i32_e32 v8, v8, v2
	s_and_saveexec_b64 s[28:29], s[22:23]
	s_cbranch_execz .LBB3_226
; %bb.212:                              ;   in Loop: Header=BB3_199 Depth=2
	v_and_b32_e32 v2, 0x100, v62
	v_cmp_ne_u32_e32 vcc, 0, v2
	v_and_b32_e32 v2, 7, v20
	s_mov_b64 s[22:23], -1
                                        ; implicit-def: $vgpr4_vgpr5
	s_and_saveexec_b64 s[52:53], vcc
	s_cbranch_execz .LBB3_216
; %bb.213:                              ;   in Loop: Header=BB3_199 Depth=2
	v_mad_u64_u32 v[14:15], s[22:23], v2, 24, v[6:7]
	flat_load_dword v11, v[14:15]
	v_ashrrev_i32_e32 v9, 31, v8
	v_lshlrev_b64 v[4:5], 1, v[8:9]
	flat_store_dwordx2 v[14:15], v[4:5] offset:8
                                        ; implicit-def: $vgpr4_vgpr5
	s_waitcnt vmcnt(0) lgkmcnt(0)
	v_cmp_ne_u32_e32 vcc, 1, v11
	v_cmp_eq_u32_e64 s[22:23], 1, v11
	s_and_saveexec_b64 s[54:55], s[22:23]
	s_cbranch_execz .LBB3_215
; %bb.214:                              ;   in Loop: Header=BB3_199 Depth=2
	flat_load_dword v4, v[14:15] offset:4 sc0 sc1
	s_waitcnt vmcnt(0) lgkmcnt(0)
	v_ashrrev_i32_e32 v5, 31, v4
	v_lshrrev_b64 v[4:5], 1, v[4:5]
.LBB3_215:                              ;   in Loop: Header=BB3_199 Depth=2
	s_or_b64 exec, exec, s[54:55]
	s_orn2_b64 s[22:23], vcc, exec
.LBB3_216:                              ;   in Loop: Header=BB3_199 Depth=2
	s_or_b64 exec, exec, s[52:53]
	s_and_saveexec_b64 vcc, s[22:23]
; %bb.217:                              ;   in Loop: Header=BB3_199 Depth=2
	v_mad_i64_i32 v[4:5], s[22:23], v2, v24, 0
; %bb.218:                              ;   in Loop: Header=BB3_199 Depth=2
	s_or_b64 exec, exec, vcc
	v_and_b32_e32 v2, 0x2000, v62
	v_lshl_add_u64 v[4:5], v[4:5], 1, v[26:27]
	v_cmp_ne_u32_e32 vcc, 0, v2
	ds_write_b64 v0, v[4:5] offset:784
	s_and_saveexec_b64 s[22:23], vcc
	s_cbranch_execz .LBB3_220
; %bb.219:                              ;   in Loop: Header=BB3_199 Depth=2
	ds_read_b64 v[4:5], v0 offset:584
	s_waitcnt lgkmcnt(0)
	v_lshl_add_u64 v[4:5], v[4:5], 0, 1
	ds_write_b64 v0, v[4:5] offset:584
.LBB3_220:                              ;   in Loop: Header=BB3_199 Depth=2
	s_or_b64 exec, exec, s[22:23]
	v_lshl_add_u64 v[20:21], v[20:21], 0, 2
	s_or_b64 exec, exec, s[28:29]
	s_and_saveexec_b64 s[22:23], s[4:5]
	s_cbranch_execnz .LBB3_227
.LBB3_221:                              ;   in Loop: Header=BB3_199 Depth=2
	s_or_b64 exec, exec, s[22:23]
                                        ; implicit-def: $vgpr2
	s_and_saveexec_b64 s[22:23], s[20:21]
	s_xor_b64 s[22:23], exec, s[22:23]
	s_cbranch_execz .LBB3_245
.LBB3_222:                              ;   in Loop: Header=BB3_199 Depth=2
	s_trap 2
	ds_read_b32 v4, v0
	v_cmp_lt_i32_e32 vcc, 0, v8
	v_and_b32_e32 v5, 16, v62
	v_and_b32_e32 v2, 16, v62
	s_waitcnt lgkmcnt(0)
	v_readfirstlane_b32 s28, v4
	s_cmp_eq_u32 s28, 0
	s_cselect_b64 s[28:29], -1, 0
	s_and_b64 s[28:29], vcc, s[28:29]
	v_cmp_ne_u32_e32 vcc, 0, v5
	s_and_b64 vcc, vcc, s[28:29]
	s_and_saveexec_b64 s[28:29], vcc
	s_cbranch_execz .LBB3_224
; %bb.223:                              ;   in Loop: Header=BB3_199 Depth=2
	v_mov_b32_e32 v2, 1
	buffer_wbl2 sc1
	s_waitcnt vmcnt(0)
	buffer_inv sc1
.LBB3_224:                              ;   in Loop: Header=BB3_199 Depth=2
	s_or_b64 exec, exec, s[28:29]
	s_andn2_saveexec_b64 s[22:23], s[22:23]
	s_cbranch_execnz .LBB3_246
.LBB3_225:                              ;   in Loop: Header=BB3_199 Depth=2
	s_or_b64 exec, exec, s[22:23]
	v_cmp_ne_u32_e32 vcc, 0, v2
	s_and_saveexec_b64 s[22:23], vcc
	s_cbranch_execz .LBB3_198
	s_branch .LBB3_264
.LBB3_226:                              ;   in Loop: Header=BB3_199 Depth=2
	s_or_b64 exec, exec, s[28:29]
	s_and_saveexec_b64 s[22:23], s[4:5]
	s_cbranch_execz .LBB3_221
.LBB3_227:                              ;   in Loop: Header=BB3_199 Depth=2
	s_and_saveexec_b64 s[28:29], s[38:39]
	s_xor_b64 s[28:29], exec, s[28:29]
	s_cbranch_execz .LBB3_242
; %bb.228:                              ;   in Loop: Header=BB3_199 Depth=2
	s_and_saveexec_b64 s[52:53], s[12:13]
	s_cbranch_execz .LBB3_241
; %bb.229:                              ;   in Loop: Header=BB3_199 Depth=2
	s_mov_b64 s[56:57], exec
	v_mbcnt_lo_u32_b32 v2, s56, 0
	v_mbcnt_hi_u32_b32 v2, s57, v2
	v_cmp_eq_u32_e32 vcc, 0, v2
	s_waitcnt lgkmcnt(0)
	s_and_saveexec_b64 s[54:55], vcc
	s_cbranch_execz .LBB3_231
; %bb.230:                              ;   in Loop: Header=BB3_199 Depth=2
	s_bcnt1_i32_b64 vcc_lo, s[56:57]
	v_mov_b32_e32 v2, vcc_lo
	ds_add_u64 v0, v[2:3]
	s_trap 2
.LBB3_231:                              ;   in Loop: Header=BB3_199 Depth=2
	s_or_b64 exec, exec, s[54:55]
	s_trap 2
	ds_read_b64 v[4:5], v0
	v_lshl_add_u64 v[12:13], v[12:13], 0, v[34:35]
	s_waitcnt lgkmcnt(0)
	v_cmp_lt_u64_e32 vcc, v[4:5], v[12:13]
	s_and_saveexec_b64 s[54:55], vcc
	s_cbranch_execz .LBB3_240
; %bb.232:                              ;   in Loop: Header=BB3_199 Depth=2
	s_mov_b32 s66, 0
	s_mov_b64 s[56:57], 0
                                        ; implicit-def: $sgpr58_sgpr59
                                        ; implicit-def: $sgpr60_sgpr61
	s_branch .LBB3_234
.LBB3_233:                              ;   in Loop: Header=BB3_234 Depth=3
	s_or_b64 exec, exec, s[64:65]
	s_and_b64 vcc, exec, vcc
	s_or_b64 s[56:57], vcc, s[56:57]
	s_andn2_b64 vcc, s[58:59], exec
	s_and_b64 s[58:59], s[60:61], exec
	s_or_b64 s[58:59], vcc, s[58:59]
	s_andn2_b64 exec, exec, s[56:57]
	s_cbranch_execz .LBB3_238
.LBB3_234:                              ;   Parent Loop BB3_47 Depth=1
                                        ;     Parent Loop BB3_199 Depth=2
                                        ; =>    This Inner Loop Header: Depth=3
	s_add_i32 s66, s66, 1
	s_cmpk_lg_i32 s66, 0x2710
	s_cselect_b64 s[62:63], -1, 0
	s_and_b64 vcc, exec, s[62:63]
                                        ; implicit-def: $sgpr64_sgpr65
	s_cbranch_vccnz .LBB3_236
; %bb.235:                              ;   in Loop: Header=BB3_234 Depth=3
	s_trap 2
	ds_read_b64 v[4:5], v0
	s_andn2_b64 s[62:63], s[62:63], exec
	s_mov_b32 s66, 0
	s_mov_b64 s[64:65], -1
	s_waitcnt vmcnt(0) lgkmcnt(0)
	flat_load_dword v2, v[4:5] sc0 sc1
	s_waitcnt vmcnt(0) lgkmcnt(0)
	buffer_inv sc0 sc1
	v_cmp_eq_u32_e32 vcc, 0, v2
	s_and_b64 vcc, vcc, exec
	s_or_b64 s[62:63], s[62:63], vcc
.LBB3_236:                              ;   in Loop: Header=BB3_234 Depth=3
	s_andn2_b64 s[60:61], s[60:61], exec
	s_and_b64 s[64:65], s[64:65], exec
	s_mov_b64 vcc, -1
	s_or_b64 s[60:61], s[60:61], s[64:65]
	s_and_saveexec_b64 s[64:65], s[62:63]
	s_cbranch_execz .LBB3_233
; %bb.237:                              ;   in Loop: Header=BB3_234 Depth=3
	s_sleep 1
	s_trap 2
	ds_read_b64 v[4:5], v0
	s_andn2_b64 s[60:61], s[60:61], exec
	s_waitcnt lgkmcnt(0)
	v_cmp_ge_u64_e32 vcc, v[4:5], v[12:13]
	s_orn2_b64 vcc, vcc, exec
	s_branch .LBB3_233
.LBB3_238:                              ;   in Loop: Header=BB3_199 Depth=2
	s_or_b64 exec, exec, s[56:57]
	s_and_saveexec_b64 vcc, s[58:59]
	s_xor_b64 vcc, exec, vcc
	s_cbranch_execz .LBB3_240
; %bb.239:                              ;   in Loop: Header=BB3_199 Depth=2
	ds_write_b32 v0, v56
	s_trap 2
.LBB3_240:                              ;   in Loop: Header=BB3_199 Depth=2
	s_or_b64 exec, exec, s[54:55]
	;;#ASMSTART
	s_wakeup
	;;#ASMEND
.LBB3_241:                              ;   in Loop: Header=BB3_199 Depth=2
	s_or_b64 exec, exec, s[52:53]
.LBB3_242:                              ;   in Loop: Header=BB3_199 Depth=2
	s_andn2_saveexec_b64 s[28:29], s[28:29]
	s_cbranch_execz .LBB3_244
; %bb.243:                              ;   in Loop: Header=BB3_199 Depth=2
	s_waitcnt lgkmcnt(0)
	s_barrier
.LBB3_244:                              ;   in Loop: Header=BB3_199 Depth=2
	s_or_b64 exec, exec, s[28:29]
	s_or_b64 exec, exec, s[22:23]
                                        ; implicit-def: $vgpr2
	s_and_saveexec_b64 s[22:23], s[20:21]
	s_xor_b64 s[22:23], exec, s[22:23]
	s_cbranch_execnz .LBB3_222
.LBB3_245:                              ;   in Loop: Header=BB3_199 Depth=2
	s_andn2_saveexec_b64 s[22:23], s[22:23]
	s_cbranch_execz .LBB3_225
.LBB3_246:                              ;   in Loop: Header=BB3_199 Depth=2
	s_and_saveexec_b64 s[28:29], s[38:39]
	s_xor_b64 s[28:29], exec, s[28:29]
	s_cbranch_execz .LBB3_261
; %bb.247:                              ;   in Loop: Header=BB3_199 Depth=2
	s_and_saveexec_b64 s[52:53], s[12:13]
	s_cbranch_execz .LBB3_260
; %bb.248:                              ;   in Loop: Header=BB3_199 Depth=2
	s_mov_b64 s[56:57], exec
	v_mbcnt_lo_u32_b32 v2, s56, 0
	v_mbcnt_hi_u32_b32 v2, s57, v2
	v_cmp_eq_u32_e32 vcc, 0, v2
	;;#ASMSTART
	s_waitcnt lgkmcnt(0) vmcnt(0)
	;;#ASMEND
	s_and_saveexec_b64 s[54:55], vcc
	s_cbranch_execz .LBB3_250
; %bb.249:                              ;   in Loop: Header=BB3_199 Depth=2
	s_bcnt1_i32_b64 vcc_lo, s[56:57]
	v_mov_b32_e32 v2, vcc_lo
	ds_add_u64 v0, v[2:3]
	s_trap 2
.LBB3_250:                              ;   in Loop: Header=BB3_199 Depth=2
	s_or_b64 exec, exec, s[54:55]
	s_trap 2
	ds_read_b64 v[4:5], v0
	v_lshl_add_u64 v[12:13], v[12:13], 0, v[34:35]
	s_waitcnt lgkmcnt(0)
	v_cmp_lt_u64_e32 vcc, v[4:5], v[12:13]
	s_and_saveexec_b64 s[54:55], vcc
	s_cbranch_execz .LBB3_259
; %bb.251:                              ;   in Loop: Header=BB3_199 Depth=2
	s_mov_b32 s66, 0
	s_mov_b64 s[56:57], 0
                                        ; implicit-def: $sgpr58_sgpr59
                                        ; implicit-def: $sgpr60_sgpr61
	s_branch .LBB3_253
.LBB3_252:                              ;   in Loop: Header=BB3_253 Depth=3
	s_or_b64 exec, exec, s[64:65]
	s_and_b64 vcc, exec, vcc
	s_or_b64 s[56:57], vcc, s[56:57]
	s_andn2_b64 vcc, s[58:59], exec
	s_and_b64 s[58:59], s[60:61], exec
	s_or_b64 s[58:59], vcc, s[58:59]
	s_andn2_b64 exec, exec, s[56:57]
	s_cbranch_execz .LBB3_257
.LBB3_253:                              ;   Parent Loop BB3_47 Depth=1
                                        ;     Parent Loop BB3_199 Depth=2
                                        ; =>    This Inner Loop Header: Depth=3
	s_add_i32 s66, s66, 1
	s_cmpk_lg_i32 s66, 0x2710
	s_cselect_b64 s[62:63], -1, 0
	s_and_b64 vcc, exec, s[62:63]
                                        ; implicit-def: $sgpr64_sgpr65
	s_cbranch_vccnz .LBB3_255
; %bb.254:                              ;   in Loop: Header=BB3_253 Depth=3
	s_trap 2
	ds_read_b64 v[4:5], v0
	s_andn2_b64 s[62:63], s[62:63], exec
	s_mov_b32 s66, 0
	s_mov_b64 s[64:65], -1
	s_waitcnt vmcnt(0) lgkmcnt(0)
	flat_load_dword v2, v[4:5] sc0 sc1
	s_waitcnt vmcnt(0) lgkmcnt(0)
	buffer_inv sc0 sc1
	v_cmp_eq_u32_e32 vcc, 0, v2
	s_and_b64 vcc, vcc, exec
	s_or_b64 s[62:63], s[62:63], vcc
.LBB3_255:                              ;   in Loop: Header=BB3_253 Depth=3
	s_andn2_b64 s[60:61], s[60:61], exec
	s_and_b64 s[64:65], s[64:65], exec
	s_mov_b64 vcc, -1
	s_or_b64 s[60:61], s[60:61], s[64:65]
	s_and_saveexec_b64 s[64:65], s[62:63]
	s_cbranch_execz .LBB3_252
; %bb.256:                              ;   in Loop: Header=BB3_253 Depth=3
	s_sleep 1
	s_trap 2
	ds_read_b64 v[4:5], v0
	s_andn2_b64 s[60:61], s[60:61], exec
	s_waitcnt lgkmcnt(0)
	v_cmp_ge_u64_e32 vcc, v[4:5], v[12:13]
	s_orn2_b64 vcc, vcc, exec
	s_branch .LBB3_252
.LBB3_257:                              ;   in Loop: Header=BB3_199 Depth=2
	s_or_b64 exec, exec, s[56:57]
	s_and_saveexec_b64 vcc, s[58:59]
	s_xor_b64 vcc, exec, vcc
	s_cbranch_execz .LBB3_259
; %bb.258:                              ;   in Loop: Header=BB3_199 Depth=2
	ds_write_b32 v0, v56
	s_trap 2
.LBB3_259:                              ;   in Loop: Header=BB3_199 Depth=2
	s_or_b64 exec, exec, s[54:55]
	;;#ASMSTART
	s_wakeup
	;;#ASMEND
.LBB3_260:                              ;   in Loop: Header=BB3_199 Depth=2
	s_or_b64 exec, exec, s[52:53]
.LBB3_261:                              ;   in Loop: Header=BB3_199 Depth=2
	s_andn2_saveexec_b64 s[28:29], s[28:29]
	s_cbranch_execz .LBB3_263
; %bb.262:                              ;   in Loop: Header=BB3_199 Depth=2
	;;#ASMSTART
	s_waitcnt lgkmcnt(0) vmcnt(0)
	;;#ASMEND
	s_barrier
.LBB3_263:                              ;   in Loop: Header=BB3_199 Depth=2
	s_or_b64 exec, exec, s[28:29]
	v_and_b32_e32 v2, 16, v62
	s_or_b64 exec, exec, s[22:23]
	v_cmp_ne_u32_e32 vcc, 0, v2
	s_and_saveexec_b64 s[22:23], vcc
	s_cbranch_execz .LBB3_198
.LBB3_264:                              ;   in Loop: Header=BB3_199 Depth=2
	s_and_saveexec_b64 s[28:29], s[10:11]
	s_cbranch_execz .LBB3_197
; %bb.265:                              ;   in Loop: Header=BB3_199 Depth=2
	flat_store_dword v[28:29], v56 sc0 sc1
	s_branch .LBB3_197
.LBB3_266:                              ;   in Loop: Header=BB3_47 Depth=1
	s_or_b64 exec, exec, s[26:27]
.LBB3_267:                              ;   in Loop: Header=BB3_47 Depth=1
	s_or_b64 exec, exec, s[24:25]
	v_cndmask_b32_e64 v2, 0, 1, s[46:47]
	v_cmp_ne_u32_e64 s[22:23], 1, v2
	s_andn2_b64 vcc, exec, s[46:47]
	s_cbranch_vccnz .LBB3_488
; %bb.268:                              ;   in Loop: Header=BB3_47 Depth=1
	s_mov_b32 s81, 2
	s_branch .LBB3_271
.LBB3_269:                              ;   in Loop: Header=BB3_271 Depth=2
	s_or_b64 exec, exec, s[28:29]
.LBB3_270:                              ;   in Loop: Header=BB3_271 Depth=2
	s_or_b64 exec, exec, s[26:27]
	s_add_i32 s81, s81, 1
	s_cmp_eq_u32 s81, s70
	s_cbranch_scc1 .LBB3_488
.LBB3_271:                              ;   Parent Loop BB3_47 Depth=1
                                        ; =>  This Loop Header: Depth=2
                                        ;       Child Loop BB3_274 Depth 3
                                        ;         Child Loop BB3_282 Depth 4
                                        ;         Child Loop BB3_308 Depth 4
	;; [unrolled: 1-line block ×9, first 2 shown]
                                        ;       Child Loop BB3_418 Depth 3
                                        ;         Child Loop BB3_424 Depth 4
                                        ;         Child Loop BB3_462 Depth 4
	;; [unrolled: 1-line block ×3, first 2 shown]
	s_sub_i32 s24, s73, s81
	s_cmp_le_i32 s70, s24
	s_cselect_b32 s25, s70, 0
	s_sub_i32 s24, s24, s25
	v_accvgpr_read_b32 v8, a26
	s_ashr_i32 s25, s24, 31
	v_accvgpr_read_b32 v9, a27
	v_mul_lo_u32 v2, v8, s25
	v_mul_lo_u32 v4, v9, s24
	v_mad_u64_u32 v[16:17], s[24:25], v8, s24, 0
	v_add3_u32 v17, v17, v2, v4
	v_accvgpr_read_b32 v4, a28
	v_accvgpr_read_b32 v5, a29
	v_sub_co_u32_e32 v4, vcc, v4, v16
	v_mov_b32_e32 v10, 0
	s_nop 0
	v_subb_co_u32_e32 v5, vcc, v5, v17, vcc
	v_cmp_lt_i64_e32 vcc, v[8:9], v[4:5]
	s_nop 1
	v_cndmask_b32_e32 v2, v4, v8, vcc
	v_max_i32_e32 v30, 0, v2
	v_add_u32_e32 v4, 31, v30
	v_ashrrev_i32_e32 v5, 31, v4
	v_lshrrev_b32_e32 v5, 27, v5
	v_add_u32_e32 v4, v4, v5
	v_ashrrev_i32_e32 v4, 5, v4
	v_lshlrev_b32_e32 v4, 4, v4
	v_cmp_lt_i32_e32 vcc, 0, v2
	v_max_i32_e32 v8, s76, v4
	s_and_b64 s[24:25], s[50:51], vcc
	v_mov_b32_e32 v2, 0
	s_and_saveexec_b64 s[26:27], s[24:25]
	s_cbranch_execz .LBB3_415
; %bb.272:                              ;   in Loop: Header=BB3_271 Depth=2
	s_mov_b32 s82, 1
	s_mov_b64 s[52:53], -1
	s_mov_b64 s[28:29], 0
	v_mov_b32_e32 v10, 0
	s_branch .LBB3_274
.LBB3_273:                              ;   in Loop: Header=BB3_274 Depth=3
	s_or_b64 exec, exec, s[24:25]
	v_add_u32_e32 v10, v8, v10
	v_cmp_ge_i32_e32 vcc, v10, v30
	s_xor_b64 s[24:25], s[52:53], -1
	s_or_b64 s[24:25], s[24:25], vcc
	s_and_b64 s[24:25], exec, s[24:25]
	s_or_b64 s[28:29], s[24:25], s[28:29]
	s_mov_b64 s[52:53], 0
	v_mov_b32_e32 v2, s82
	s_mov_b32 s82, 2
	s_andn2_b64 exec, exec, s[28:29]
	s_cbranch_execz .LBB3_414
.LBB3_274:                              ;   Parent Loop BB3_47 Depth=1
                                        ;     Parent Loop BB3_271 Depth=2
                                        ; =>    This Loop Header: Depth=3
                                        ;         Child Loop BB3_282 Depth 4
                                        ;         Child Loop BB3_308 Depth 4
	;; [unrolled: 1-line block ×9, first 2 shown]
	s_and_saveexec_b64 s[24:25], s[0:1]
	s_cbranch_execz .LBB3_276
; %bb.275:                              ;   in Loop: Header=BB3_274 Depth=3
	s_trap 2
	ds_read_b64 v[4:5], v0
	v_accvgpr_read_b32 v14, a30
	v_accvgpr_read_b32 v15, a31
	v_ashrrev_i32_e32 v11, 31, v10
	v_mov_b32_e32 v2, v3
	s_waitcnt lgkmcnt(0)
	v_lshl_add_u64 v[4:5], v[14:15], 1, v[4:5]
	v_lshl_add_u64 v[4:5], v[16:17], 1, v[4:5]
	;; [unrolled: 1-line block ×3, first 2 shown]
	ds_write_b64 v0, v[4:5]
	ds_write_b64 v0, v[2:3]
.LBB3_276:                              ;   in Loop: Header=BB3_274 Depth=3
	s_or_b64 exec, exec, s[24:25]
	v_and_b32_e32 v2, 12, v62
	v_cmp_ne_u32_e32 vcc, 0, v2
	s_mov_b64 s[54:55], -1
	s_and_saveexec_b64 s[24:25], vcc
	s_cbranch_execz .LBB3_288
; %bb.277:                              ;   in Loop: Header=BB3_274 Depth=3
	v_and_b32_e32 v2, 8, v62
	v_lshl_add_u64 v[14:15], v[32:33], 0, v[2:3]
	v_lshl_add_u64 v[4:5], v[20:21], 0, 2
	v_cmp_lt_u64_e32 vcc, v[14:15], v[4:5]
	v_mov_b32_e32 v9, 1
	s_and_saveexec_b64 s[54:55], vcc
	s_cbranch_execz .LBB3_287
; %bb.278:                              ;   in Loop: Header=BB3_274 Depth=3
	s_mov_b64 s[56:57], 0
	v_mov_b32_e32 v9, 0
                                        ; implicit-def: $sgpr58_sgpr59
	s_branch .LBB3_282
.LBB3_279:                              ;   in Loop: Header=BB3_282 Depth=4
	s_or_b64 exec, exec, s[66:67]
	v_mov_b32_e32 v11, 0
	s_orn2_b64 s[64:65], s[64:65], exec
.LBB3_280:                              ;   in Loop: Header=BB3_282 Depth=4
	s_or_b64 exec, exec, s[62:63]
	s_andn2_b64 vcc, s[58:59], exec
	s_and_b64 s[58:59], s[64:65], exec
	s_or_b64 s[58:59], vcc, s[58:59]
	v_mov_b32_e32 v9, v11
.LBB3_281:                              ;   in Loop: Header=BB3_282 Depth=4
	s_or_b64 exec, exec, s[60:61]
	s_waitcnt vmcnt(0) lgkmcnt(0)
	v_lshl_add_u64 v[14:15], v[32:33], 0, v[2:3]
	v_cmp_ge_u64_e32 vcc, v[14:15], v[4:5]
	s_xor_b64 s[60:61], s[58:59], -1
	s_or_b64 vcc, s[60:61], vcc
	s_and_b64 vcc, exec, vcc
	s_or_b64 s[56:57], vcc, s[56:57]
	s_andn2_b64 exec, exec, s[56:57]
	s_cbranch_execz .LBB3_286
.LBB3_282:                              ;   Parent Loop BB3_47 Depth=1
                                        ;     Parent Loop BB3_271 Depth=2
                                        ;       Parent Loop BB3_274 Depth=3
                                        ; =>      This Inner Loop Header: Depth=4
	s_sleep 1
	flat_load_dwordx2 v[32:33], v[22:23] sc0 sc1
	v_and_b32_e32 v11, 64, v62
	v_cmp_eq_u32_e32 vcc, 0, v11
	s_andn2_b64 s[58:59], s[58:59], exec
	s_and_saveexec_b64 s[60:61], vcc
	s_cbranch_execz .LBB3_281
; %bb.283:                              ;   in Loop: Header=BB3_282 Depth=4
	v_add_u32_e32 v11, 1, v9
	v_cmp_lt_i32_e32 vcc, s72, v9
	s_mov_b64 s[64:65], -1
	s_and_saveexec_b64 s[62:63], vcc
	s_cbranch_execz .LBB3_280
; %bb.284:                              ;   in Loop: Header=BB3_282 Depth=4
	s_trap 2
	ds_read_b64 v[14:15], v0
	s_waitcnt vmcnt(0) lgkmcnt(0)
	flat_load_dword v9, v[14:15] sc0 sc1
	s_waitcnt vmcnt(0) lgkmcnt(0)
	buffer_inv sc0 sc1
	v_cmp_ne_u32_e32 vcc, 0, v9
	s_and_saveexec_b64 s[66:67], vcc
	s_cbranch_execz .LBB3_279
; %bb.285:                              ;   in Loop: Header=BB3_282 Depth=4
	v_or_b32_e32 v62, 64, v62
	s_xor_b64 s[64:65], exec, -1
	ds_write_b32 v0, v9
	s_trap 2
	s_branch .LBB3_279
.LBB3_286:                              ;   in Loop: Header=BB3_274 Depth=3
	s_or_b64 exec, exec, s[56:57]
	v_and_b32_e32 v9, 12, v62
.LBB3_287:                              ;   in Loop: Header=BB3_274 Depth=3
	s_or_b64 exec, exec, s[54:55]
	v_cmp_eq_u32_e32 vcc, 0, v9
	s_orn2_b64 s[54:55], vcc, exec
	;;#ASMSTART
	s_wakeup
	;;#ASMEND
.LBB3_288:                              ;   in Loop: Header=BB3_274 Depth=3
	s_or_b64 exec, exec, s[24:25]
	v_sub_u32_e32 v2, v30, v10
	s_xor_b64 s[24:25], s[54:55], -1
	v_min_i32_e32 v8, v8, v2
	s_and_saveexec_b64 s[54:55], s[24:25]
	s_cbranch_execz .LBB3_300
; %bb.289:                              ;   in Loop: Header=BB3_274 Depth=3
	v_and_b32_e32 v2, 0x108, v62
	v_cmp_ne_u32_e32 vcc, s80, v2
	v_and_b32_e32 v2, 7, v20
	s_and_saveexec_b64 s[24:25], vcc
	s_xor_b64 s[24:25], exec, s[24:25]
	s_andn2_saveexec_b64 s[24:25], s[24:25]
	s_cbranch_execz .LBB3_291
; %bb.290:                              ;   in Loop: Header=BB3_274 Depth=3
	v_ashrrev_i32_e32 v9, 31, v8
	v_mad_u64_u32 v[4:5], vcc, v2, 24, v[6:7]
	v_lshlrev_b64 v[14:15], 1, v[8:9]
	flat_store_dwordx2 v[4:5], v[14:15] offset:8
.LBB3_291:                              ;   in Loop: Header=BB3_274 Depth=3
	s_or_b64 exec, exec, s[24:25]
	v_and_b32_e32 v4, 0x100, v62
	v_cmp_ne_u32_e32 vcc, 0, v4
	s_mov_b64 s[24:25], -1
                                        ; implicit-def: $vgpr4_vgpr5
	s_and_saveexec_b64 s[56:57], vcc
	s_cbranch_execz .LBB3_295
; %bb.292:                              ;   in Loop: Header=BB3_274 Depth=3
	v_mad_u64_u32 v[14:15], s[24:25], v2, 24, v[6:7]
	v_mov_b32_e32 v4, v15
	v_mad_u64_u32 v[4:5], s[24:25], v3, 24, v[4:5]
	v_mov_b32_e32 v15, v4
	flat_load_dword v4, v[14:15]
	s_waitcnt vmcnt(0) lgkmcnt(0)
	v_cmp_ne_u32_e32 vcc, 1, v4
	v_cmp_eq_u32_e64 s[24:25], 1, v4
                                        ; implicit-def: $vgpr4_vgpr5
	s_and_saveexec_b64 s[58:59], s[24:25]
	s_cbranch_execz .LBB3_294
; %bb.293:                              ;   in Loop: Header=BB3_274 Depth=3
	flat_load_dword v4, v[14:15] offset:4 sc0 sc1
	s_waitcnt vmcnt(0) lgkmcnt(0)
	v_ashrrev_i32_e32 v5, 31, v4
	v_lshrrev_b64 v[4:5], 1, v[4:5]
.LBB3_294:                              ;   in Loop: Header=BB3_274 Depth=3
	s_or_b64 exec, exec, s[58:59]
	s_orn2_b64 s[24:25], vcc, exec
.LBB3_295:                              ;   in Loop: Header=BB3_274 Depth=3
	s_or_b64 exec, exec, s[56:57]
	s_and_saveexec_b64 vcc, s[24:25]
; %bb.296:                              ;   in Loop: Header=BB3_274 Depth=3
	v_mul_lo_u32 v9, v3, v24
	v_mul_lo_u32 v11, v2, v57
	v_mad_u64_u32 v[4:5], s[24:25], v2, v24, 0
	v_add3_u32 v5, v5, v11, v9
; %bb.297:                              ;   in Loop: Header=BB3_274 Depth=3
	s_or_b64 exec, exec, vcc
	v_and_b32_e32 v2, 0x2000, v62
	v_lshl_add_u64 v[4:5], v[4:5], 1, v[26:27]
	v_cmp_ne_u32_e32 vcc, 0, v2
	s_trap 2
	ds_write_b64 v0, v[4:5]
	s_and_saveexec_b64 s[24:25], vcc
	s_cbranch_execz .LBB3_299
; %bb.298:                              ;   in Loop: Header=BB3_274 Depth=3
	ds_read_b64 v[4:5], v0 offset:584
	s_waitcnt lgkmcnt(0)
	v_lshl_add_u64 v[4:5], v[4:5], 0, 1
	ds_write_b64 v0, v[4:5] offset:584
.LBB3_299:                              ;   in Loop: Header=BB3_274 Depth=3
	s_or_b64 exec, exec, s[24:25]
	v_lshl_add_u64 v[20:21], v[20:21], 0, 2
.LBB3_300:                              ;   in Loop: Header=BB3_274 Depth=3
	s_or_b64 exec, exec, s[54:55]
	s_and_saveexec_b64 s[24:25], s[4:5]
	s_cbranch_execz .LBB3_319
; %bb.301:                              ;   in Loop: Header=BB3_274 Depth=3
	s_and_saveexec_b64 vcc, s[38:39]
	s_xor_b64 s[54:55], exec, vcc
	s_cbranch_execz .LBB3_316
; %bb.302:                              ;   in Loop: Header=BB3_274 Depth=3
	s_and_saveexec_b64 s[56:57], s[12:13]
	s_cbranch_execz .LBB3_315
; %bb.303:                              ;   in Loop: Header=BB3_274 Depth=3
	s_mov_b64 s[60:61], exec
	v_mbcnt_lo_u32_b32 v2, s60, 0
	v_mbcnt_hi_u32_b32 v2, s61, v2
	v_cmp_eq_u32_e32 vcc, 0, v2
	s_waitcnt lgkmcnt(0)
	s_and_saveexec_b64 s[58:59], vcc
	s_cbranch_execz .LBB3_305
; %bb.304:                              ;   in Loop: Header=BB3_274 Depth=3
	s_bcnt1_i32_b64 vcc_lo, s[60:61]
	v_mov_b32_e32 v2, vcc_lo
	ds_add_u64 v0, v[2:3]
	s_trap 2
.LBB3_305:                              ;   in Loop: Header=BB3_274 Depth=3
	s_or_b64 exec, exec, s[58:59]
	s_trap 2
	ds_read_b64 v[4:5], v0
	v_lshl_add_u64 v[12:13], v[12:13], 0, v[34:35]
	s_waitcnt lgkmcnt(0)
	v_cmp_lt_u64_e32 vcc, v[4:5], v[12:13]
	s_and_saveexec_b64 s[58:59], vcc
	s_cbranch_execz .LBB3_314
; %bb.306:                              ;   in Loop: Header=BB3_274 Depth=3
	s_mov_b32 s83, 0
	s_mov_b64 s[60:61], 0
                                        ; implicit-def: $sgpr62_sgpr63
                                        ; implicit-def: $sgpr64_sgpr65
	s_branch .LBB3_308
.LBB3_307:                              ;   in Loop: Header=BB3_308 Depth=4
	s_or_b64 exec, exec, s[68:69]
	s_and_b64 vcc, exec, vcc
	s_or_b64 s[60:61], vcc, s[60:61]
	s_andn2_b64 vcc, s[62:63], exec
	s_and_b64 s[62:63], s[64:65], exec
	s_or_b64 s[62:63], vcc, s[62:63]
	s_andn2_b64 exec, exec, s[60:61]
	s_cbranch_execz .LBB3_312
.LBB3_308:                              ;   Parent Loop BB3_47 Depth=1
                                        ;     Parent Loop BB3_271 Depth=2
                                        ;       Parent Loop BB3_274 Depth=3
                                        ; =>      This Inner Loop Header: Depth=4
	s_add_i32 s83, s83, 1
	s_cmpk_lg_i32 s83, 0x2710
	s_cselect_b64 s[66:67], -1, 0
	s_and_b64 vcc, exec, s[66:67]
                                        ; implicit-def: $sgpr68_sgpr69
	s_cbranch_vccnz .LBB3_310
; %bb.309:                              ;   in Loop: Header=BB3_308 Depth=4
	s_trap 2
	ds_read_b64 v[4:5], v0
	s_andn2_b64 s[66:67], s[66:67], exec
	s_mov_b32 s83, 0
	s_mov_b64 s[68:69], -1
	s_waitcnt vmcnt(0) lgkmcnt(0)
	flat_load_dword v2, v[4:5] sc0 sc1
	s_waitcnt vmcnt(0) lgkmcnt(0)
	buffer_inv sc0 sc1
	v_cmp_eq_u32_e32 vcc, 0, v2
	s_and_b64 vcc, vcc, exec
	s_or_b64 s[66:67], s[66:67], vcc
.LBB3_310:                              ;   in Loop: Header=BB3_308 Depth=4
	s_andn2_b64 s[64:65], s[64:65], exec
	s_and_b64 s[68:69], s[68:69], exec
	s_mov_b64 vcc, -1
	s_or_b64 s[64:65], s[64:65], s[68:69]
	s_and_saveexec_b64 s[68:69], s[66:67]
	s_cbranch_execz .LBB3_307
; %bb.311:                              ;   in Loop: Header=BB3_308 Depth=4
	s_sleep 1
	s_trap 2
	ds_read_b64 v[4:5], v0
	s_andn2_b64 s[64:65], s[64:65], exec
	s_waitcnt lgkmcnt(0)
	v_cmp_ge_u64_e32 vcc, v[4:5], v[12:13]
	s_orn2_b64 vcc, vcc, exec
	s_branch .LBB3_307
.LBB3_312:                              ;   in Loop: Header=BB3_274 Depth=3
	s_or_b64 exec, exec, s[60:61]
	s_and_saveexec_b64 vcc, s[62:63]
	s_xor_b64 vcc, exec, vcc
	s_cbranch_execz .LBB3_314
; %bb.313:                              ;   in Loop: Header=BB3_274 Depth=3
	ds_write_b32 v0, v56
	s_trap 2
.LBB3_314:                              ;   in Loop: Header=BB3_274 Depth=3
	s_or_b64 exec, exec, s[58:59]
	;;#ASMSTART
	s_wakeup
	;;#ASMEND
.LBB3_315:                              ;   in Loop: Header=BB3_274 Depth=3
	s_or_b64 exec, exec, s[56:57]
.LBB3_316:                              ;   in Loop: Header=BB3_274 Depth=3
	s_andn2_saveexec_b64 vcc, s[54:55]
	s_cbranch_execz .LBB3_318
; %bb.317:                              ;   in Loop: Header=BB3_274 Depth=3
	s_waitcnt lgkmcnt(0)
	s_barrier
.LBB3_318:                              ;   in Loop: Header=BB3_274 Depth=3
	s_or_b64 exec, exec, vcc
.LBB3_319:                              ;   in Loop: Header=BB3_274 Depth=3
	s_or_b64 exec, exec, s[24:25]
	s_trap 2
	ds_read_b32 v4, v0
	v_and_b32_e32 v2, 0x4000, v62
	v_cmp_ne_u32_e32 vcc, 0, v2
	s_xor_b64 s[24:25], s[2:3], -1
	s_and_b64 vcc, s[24:25], vcc
	s_and_saveexec_b64 s[24:25], vcc
	s_cbranch_execz .LBB3_338
; %bb.320:                              ;   in Loop: Header=BB3_274 Depth=3
	s_and_saveexec_b64 vcc, s[38:39]
	s_xor_b64 s[54:55], exec, vcc
	s_cbranch_execz .LBB3_335
; %bb.321:                              ;   in Loop: Header=BB3_274 Depth=3
	s_and_saveexec_b64 s[56:57], s[12:13]
	s_cbranch_execz .LBB3_334
; %bb.322:                              ;   in Loop: Header=BB3_274 Depth=3
	s_mov_b64 s[60:61], exec
	v_mbcnt_lo_u32_b32 v2, s60, 0
	v_mbcnt_hi_u32_b32 v2, s61, v2
	v_cmp_eq_u32_e32 vcc, 0, v2
	s_waitcnt lgkmcnt(0)
	s_and_saveexec_b64 s[58:59], vcc
	s_cbranch_execz .LBB3_324
; %bb.323:                              ;   in Loop: Header=BB3_274 Depth=3
	s_bcnt1_i32_b64 vcc_lo, s[60:61]
	v_mov_b32_e32 v2, vcc_lo
	ds_add_u64 v0, v[2:3]
	s_trap 2
.LBB3_324:                              ;   in Loop: Header=BB3_274 Depth=3
	s_or_b64 exec, exec, s[58:59]
	s_trap 2
	ds_read_b64 v[14:15], v0
	v_lshl_add_u64 v[12:13], v[12:13], 0, v[34:35]
	s_waitcnt lgkmcnt(0)
	v_cmp_lt_u64_e32 vcc, v[14:15], v[12:13]
	s_and_saveexec_b64 s[58:59], vcc
	s_cbranch_execz .LBB3_333
; %bb.325:                              ;   in Loop: Header=BB3_274 Depth=3
	s_mov_b32 s83, 0
	s_mov_b64 s[60:61], 0
                                        ; implicit-def: $sgpr62_sgpr63
                                        ; implicit-def: $sgpr64_sgpr65
	s_branch .LBB3_327
.LBB3_326:                              ;   in Loop: Header=BB3_327 Depth=4
	s_or_b64 exec, exec, s[68:69]
	s_and_b64 vcc, exec, vcc
	s_or_b64 s[60:61], vcc, s[60:61]
	s_andn2_b64 vcc, s[62:63], exec
	s_and_b64 s[62:63], s[64:65], exec
	s_or_b64 s[62:63], vcc, s[62:63]
	s_andn2_b64 exec, exec, s[60:61]
	s_cbranch_execz .LBB3_331
.LBB3_327:                              ;   Parent Loop BB3_47 Depth=1
                                        ;     Parent Loop BB3_271 Depth=2
                                        ;       Parent Loop BB3_274 Depth=3
                                        ; =>      This Inner Loop Header: Depth=4
	s_add_i32 s83, s83, 1
	s_cmpk_lg_i32 s83, 0x2710
	s_cselect_b64 s[66:67], -1, 0
	s_and_b64 vcc, exec, s[66:67]
                                        ; implicit-def: $sgpr68_sgpr69
	s_cbranch_vccnz .LBB3_329
; %bb.328:                              ;   in Loop: Header=BB3_327 Depth=4
	s_trap 2
	ds_read_b64 v[14:15], v0
	s_andn2_b64 s[66:67], s[66:67], exec
	s_mov_b32 s83, 0
	s_mov_b64 s[68:69], -1
	s_waitcnt vmcnt(0) lgkmcnt(0)
	flat_load_dword v2, v[14:15] sc0 sc1
	s_waitcnt vmcnt(0) lgkmcnt(0)
	buffer_inv sc0 sc1
	v_cmp_eq_u32_e32 vcc, 0, v2
	s_and_b64 vcc, vcc, exec
	s_or_b64 s[66:67], s[66:67], vcc
.LBB3_329:                              ;   in Loop: Header=BB3_327 Depth=4
	s_andn2_b64 s[64:65], s[64:65], exec
	s_and_b64 s[68:69], s[68:69], exec
	s_mov_b64 vcc, -1
	s_or_b64 s[64:65], s[64:65], s[68:69]
	s_and_saveexec_b64 s[68:69], s[66:67]
	s_cbranch_execz .LBB3_326
; %bb.330:                              ;   in Loop: Header=BB3_327 Depth=4
	s_sleep 1
	s_trap 2
	ds_read_b64 v[14:15], v0
	s_andn2_b64 s[64:65], s[64:65], exec
	s_waitcnt lgkmcnt(0)
	v_cmp_ge_u64_e32 vcc, v[14:15], v[12:13]
	s_orn2_b64 vcc, vcc, exec
	s_branch .LBB3_326
.LBB3_331:                              ;   in Loop: Header=BB3_274 Depth=3
	s_or_b64 exec, exec, s[60:61]
	s_and_saveexec_b64 vcc, s[62:63]
	s_xor_b64 vcc, exec, vcc
	s_cbranch_execz .LBB3_333
; %bb.332:                              ;   in Loop: Header=BB3_274 Depth=3
	ds_write_b32 v0, v56
	s_trap 2
.LBB3_333:                              ;   in Loop: Header=BB3_274 Depth=3
	s_or_b64 exec, exec, s[58:59]
	;;#ASMSTART
	s_wakeup
	;;#ASMEND
.LBB3_334:                              ;   in Loop: Header=BB3_274 Depth=3
	s_or_b64 exec, exec, s[56:57]
.LBB3_335:                              ;   in Loop: Header=BB3_274 Depth=3
	s_andn2_saveexec_b64 vcc, s[54:55]
	s_cbranch_execz .LBB3_337
; %bb.336:                              ;   in Loop: Header=BB3_274 Depth=3
	s_waitcnt lgkmcnt(0)
	s_barrier
.LBB3_337:                              ;   in Loop: Header=BB3_274 Depth=3
	s_or_b64 exec, exec, vcc
.LBB3_338:                              ;   in Loop: Header=BB3_274 Depth=3
	s_or_b64 exec, exec, s[24:25]
	s_trap 2
	ds_read_b64 v[14:15], v0
	v_mov_b32_e32 v9, 0
	s_waitcnt lgkmcnt(0)
	v_readfirstlane_b32 s24, v14
	v_readfirstlane_b32 s25, v15
	s_cmp_eq_u64 s[24:25], 0
	s_cselect_b64 s[24:25], -1, 0
	s_or_b64 s[24:25], s[24:25], s[24:25]
	s_and_b64 vcc, exec, s[24:25]
	s_cbranch_vccnz .LBB3_358
; %bb.339:                              ;   in Loop: Header=BB3_274 Depth=3
	s_mov_b64 s[24:25], -1
	s_and_saveexec_b64 s[54:55], s[18:19]
	s_cbranch_execz .LBB3_341
; %bb.340:                              ;   in Loop: Header=BB3_274 Depth=3
	ds_read_b32 v2, v0 offset:720
	s_waitcnt lgkmcnt(0)
	v_and_b32_e32 v2, 15, v2
	v_cmp_eq_u32_e32 vcc, 0, v2
	s_orn2_b64 s[24:25], vcc, exec
.LBB3_341:                              ;   in Loop: Header=BB3_274 Depth=3
	s_or_b64 exec, exec, s[54:55]
	s_and_saveexec_b64 s[54:55], s[16:17]
	s_cbranch_execz .LBB3_343
; %bb.342:                              ;   in Loop: Header=BB3_274 Depth=3
	ds_read_b32 v2, v0 offset:784
	s_waitcnt lgkmcnt(0)
	v_and_b32_e32 v2, 15, v2
	v_cmp_eq_u32_e32 vcc, 0, v2
	s_and_b64 vcc, s[24:25], vcc
	s_andn2_b64 s[24:25], s[24:25], exec
	s_and_b64 vcc, vcc, exec
	s_or_b64 s[24:25], s[24:25], vcc
.LBB3_343:                              ;   in Loop: Header=BB3_274 Depth=3
	s_or_b64 exec, exec, s[54:55]
	v_cmp_eq_u32_e32 vcc, 0, v4
	s_xor_b64 s[24:25], s[24:25], -1
	v_cndmask_b32_e64 v4, 0, 1, s[24:25]
	v_cndmask_b32_e32 v9, 0, v8, vcc
	v_mov_b32_e32 v11, 0
	v_lshlrev_b32_e32 v2, 1, v9
	s_mov_b64 s[56:57], -1
	;;#ASMSTART
	;;#ASMEND
	s_nop 0
	v_cmp_ne_u32_e32 vcc, 0, v4
	s_cbranch_vccz .LBB3_359
; %bb.344:                              ;   in Loop: Header=BB3_274 Depth=3
	v_mov_b32_e32 v31, v60
	v_mov_b32_e32 v4, v61
	s_and_saveexec_b64 s[24:25], s[56:57]
	s_cbranch_execz .LBB3_372
.LBB3_345:                              ;   in Loop: Header=BB3_274 Depth=3
	v_ashrrev_i32_e32 v5, 31, v2
	v_lshrrev_b32_e32 v5, 23, v5
	v_add_u32_e32 v5, v2, v5
	v_ashrrev_i32_e32 v37, 9, v5
	v_sub_u32_e32 v25, v37, v4
	v_ashrrev_i32_e32 v5, 31, v31
	v_cmp_lt_i32_e32 vcc, 0, v25
	v_lshrrev_b32_e32 v36, 26, v5
	s_and_saveexec_b64 s[54:55], vcc
	s_cbranch_execz .LBB3_349
; %bb.346:                              ;   in Loop: Header=BB3_274 Depth=3
	v_add_u32_e32 v5, v31, v36
	s_trap 2
	v_and_b32_e32 v5, 0x7fffffc0, v5
	ds_read_b128 v[52:55], v0
	ds_read_b64 v[18:19], v0
	v_sub_u32_e32 v5, v31, v5
	v_lshlrev_b32_e32 v5, 1, v5
	v_lshlrev_b32_e32 v4, 9, v4
	v_add3_u32 v48, v5, v11, v4
	v_ashrrev_i32_e32 v49, 31, v48
	s_waitcnt lgkmcnt(0)
	v_lshl_add_u64 v[4:5], v[52:53], 0, v[48:49]
	v_lshl_add_u64 v[14:15], v[54:55], 0, v[48:49]
	;; [unrolled: 1-line block ×3, first 2 shown]
	s_mov_b64 s[56:57], 0
.LBB3_347:                              ;   Parent Loop BB3_47 Depth=1
                                        ;     Parent Loop BB3_271 Depth=2
                                        ;       Parent Loop BB3_274 Depth=3
                                        ; =>      This Inner Loop Header: Depth=4
	flat_load_ushort v48, v[4:5] nt
	flat_load_ushort v49, v[4:5] offset:128 nt
	flat_load_ushort v52, v[4:5] offset:256 nt
	;; [unrolled: 1-line block ×3, first 2 shown]
	flat_load_ushort v54, v[14:15] nt
	flat_load_ushort v55, v[14:15] offset:128 nt
	flat_load_ushort v46, v[14:15] offset:256 nt
	;; [unrolled: 1-line block ×3, first 2 shown]
	v_sub_u32_e32 v25, v25, v34
	v_cmp_gt_i32_e32 vcc, 1, v25
	v_lshl_add_u64 v[4:5], v[4:5], 0, v[40:41]
	v_lshl_add_u64 v[14:15], v[14:15], 0, v[40:41]
	s_or_b64 s[56:57], vcc, s[56:57]
	s_waitcnt vmcnt(0) lgkmcnt(0)
	v_mul_f16_e32 v48, v48, v54
	v_mul_f16_e32 v49, v49, v55
	;; [unrolled: 1-line block ×4, first 2 shown]
	flat_store_short v[18:19], v48 nt
	flat_store_short v[18:19], v49 offset:128 nt
	flat_store_short v[18:19], v52 offset:256 nt
	;; [unrolled: 1-line block ×3, first 2 shown]
	v_lshl_add_u64 v[18:19], v[18:19], 0, v[40:41]
	s_andn2_b64 exec, exec, s[56:57]
	s_cbranch_execnz .LBB3_347
; %bb.348:                              ;   in Loop: Header=BB3_274 Depth=3
	s_or_b64 exec, exec, s[56:57]
	v_accvgpr_read_b32 v55, a21
	v_accvgpr_read_b32 v54, a20
.LBB3_349:                              ;   in Loop: Header=BB3_274 Depth=3
	s_or_b64 exec, exec, s[54:55]
	v_lshlrev_b32_e32 v4, 9, v37
	v_cmp_ne_u32_e32 vcc, v2, v4
	s_and_saveexec_b64 s[54:55], vcc
	s_cbranch_execz .LBB3_353
; %bb.350:                              ;   in Loop: Header=BB3_274 Depth=3
	v_add_u32_e32 v5, v31, v36
	v_and_b32_e32 v5, 0xffffffc0, v5
	v_sub_u32_e32 v5, v31, v5
	v_lshlrev_b32_e32 v14, 6, v25
	v_sub_u32_e32 v5, v5, v14
	v_ashrrev_i32_e32 v14, 31, v5
	v_lshrrev_b32_e32 v14, 26, v14
	v_add_u32_e32 v14, v5, v14
	v_and_b32_e32 v15, 0x7fffffc0, v14
	v_sub_u32_e32 v5, v5, v15
	v_lshlrev_b32_e32 v14, 1, v14
	v_and_b32_e32 v14, 0xffffff80, v14
	v_lshlrev_b32_e32 v5, 1, v5
	v_add3_u32 v4, v14, v5, v4
	v_sub_u32_e32 v2, v2, v4
	v_cmp_lt_i32_e32 vcc, 1, v2
	s_and_b64 exec, exec, vcc
	s_cbranch_execz .LBB3_353
; %bb.351:                              ;   in Loop: Header=BB3_274 Depth=3
	s_trap 2
	ds_read_b128 v[52:55], v0
	ds_read_b64 v[18:19], v0
	v_add_u32_e32 v36, v4, v11
	v_ashrrev_i32_e32 v37, 31, v36
	s_mov_b64 s[56:57], 0
	s_waitcnt lgkmcnt(0)
	v_lshl_add_u64 v[14:15], v[54:55], 0, v[36:37]
	v_accvgpr_read_b32 v55, a21
	v_lshl_add_u64 v[4:5], v[52:53], 0, v[36:37]
	v_accvgpr_read_b32 v54, a20
	v_lshl_add_u64 v[18:19], v[18:19], 0, v[36:37]
.LBB3_352:                              ;   Parent Loop BB3_47 Depth=1
                                        ;     Parent Loop BB3_271 Depth=2
                                        ;       Parent Loop BB3_274 Depth=3
                                        ; =>      This Inner Loop Header: Depth=4
	flat_load_ushort v11, v[4:5] nt
	flat_load_ushort v25, v[14:15] nt
	v_sub_u32_e32 v2, v2, v39
	v_cmp_gt_i32_e32 vcc, 2, v2
	v_lshl_add_u64 v[4:5], v[4:5], 0, v[44:45]
	v_lshl_add_u64 v[14:15], v[14:15], 0, v[44:45]
	s_or_b64 s[56:57], vcc, s[56:57]
	s_waitcnt vmcnt(0) lgkmcnt(0)
	v_mul_f16_e32 v11, v11, v25
	flat_store_short v[18:19], v11 nt
	v_lshl_add_u64 v[18:19], v[18:19], 0, v[44:45]
	s_andn2_b64 exec, exec, s[56:57]
	s_cbranch_execnz .LBB3_352
.LBB3_353:                              ;   in Loop: Header=BB3_274 Depth=3
	s_or_b64 exec, exec, s[54:55]
	s_or_b64 exec, exec, s[24:25]
	s_and_saveexec_b64 s[24:25], s[4:5]
	s_cbranch_execnz .LBB3_373
.LBB3_354:                              ;   in Loop: Header=BB3_274 Depth=3
	s_or_b64 exec, exec, s[24:25]
                                        ; implicit-def: $vgpr2
	s_and_saveexec_b64 s[24:25], s[20:21]
	s_xor_b64 s[54:55], exec, s[24:25]
	s_cbranch_execz .LBB3_391
.LBB3_355:                              ;   in Loop: Header=BB3_274 Depth=3
	v_and_b32_e32 v4, 16, v62
	v_cmp_lt_i32_e32 vcc, 0, v9
	v_cmp_ne_u32_e64 s[24:25], 0, v4
	v_and_b32_e32 v2, 16, v62
	s_and_b64 vcc, s[24:25], vcc
	s_and_saveexec_b64 s[24:25], vcc
	s_cbranch_execz .LBB3_357
; %bb.356:                              ;   in Loop: Header=BB3_274 Depth=3
	v_mov_b32_e32 v2, 1
	buffer_wbl2 sc1
	s_waitcnt vmcnt(0) lgkmcnt(0)
	buffer_inv sc1
.LBB3_357:                              ;   in Loop: Header=BB3_274 Depth=3
	s_or_b64 exec, exec, s[24:25]
	s_andn2_saveexec_b64 s[24:25], s[54:55]
	s_cbranch_execz .LBB3_410
	s_branch .LBB3_392
.LBB3_358:                              ;   in Loop: Header=BB3_274 Depth=3
	s_and_saveexec_b64 s[24:25], s[4:5]
	s_cbranch_execnz .LBB3_373
	s_branch .LBB3_354
.LBB3_359:                              ;   in Loop: Header=BB3_274 Depth=3
	v_accvgpr_read_b32 v4, a14
	v_sub_u32_e32 v11, v2, v4
	v_ashrrev_i32_e32 v4, 31, v2
	v_lshrrev_b32_e32 v4, 22, v4
	v_add_u32_e32 v4, v2, v4
	v_and_b32_e32 v25, 0xfffffc00, v4
	v_accvgpr_read_b32 v5, a15
	v_sub_u32_e32 v48, v2, v25
	v_ashrrev_i32_e32 v5, 10, v4
	v_cmp_lt_i32_e32 vcc, 15, v48
	v_accvgpr_read_b32 v4, a23
	s_nop 0
	v_addc_co_u32_e64 v37, s[24:25], v5, v4, vcc
	v_cmp_lt_i32_e64 s[24:25], 15, v11
	s_and_saveexec_b64 s[54:55], s[24:25]
	s_cbranch_execz .LBB3_363
; %bb.360:                              ;   in Loop: Header=BB3_274 Depth=3
	s_trap 2
	ds_read_b128 v[56:59], v0
	ds_read_b64 v[18:19], v0
	v_accvgpr_read_b32 v53, a15
	v_accvgpr_read_b32 v52, a14
	s_mov_b64 s[56:57], 0
	s_waitcnt lgkmcnt(0)
	v_lshl_add_u64 v[4:5], v[56:57], 0, v[52:53]
	v_lshl_add_u64 v[14:15], v[58:59], 0, v[52:53]
	;; [unrolled: 1-line block ×3, first 2 shown]
.LBB3_361:                              ;   Parent Loop BB3_47 Depth=1
                                        ;     Parent Loop BB3_271 Depth=2
                                        ;       Parent Loop BB3_274 Depth=3
                                        ; =>      This Inner Loop Header: Depth=4
	global_load_dwordx4 v[56:59], v[4:5], off nt
	global_load_dwordx4 v[52:55], v[14:15], off nt
	v_sub_u32_e32 v11, v11, v38
	v_cmp_gt_i32_e64 s[24:25], 16, v11
	v_lshl_add_u64 v[4:5], v[4:5], 0, v[42:43]
	v_lshl_add_u64 v[14:15], v[14:15], 0, v[42:43]
	v_sub_u32_e32 v37, v37, v34
	s_or_b64 s[56:57], s[24:25], s[56:57]
	s_waitcnt vmcnt(0)
	v_mul_f16_e32 v31, v56, v52
	v_mul_f16_sdwa v36, v56, v52 dst_sel:WORD_1 dst_unused:UNUSED_PAD src0_sel:WORD_1 src1_sel:WORD_1
	v_mul_f16_e32 v49, v57, v53
	v_mul_f16_sdwa v52, v57, v53 dst_sel:WORD_1 dst_unused:UNUSED_PAD src0_sel:WORD_1 src1_sel:WORD_1
	;; [unrolled: 2-line block ×4, first 2 shown]
	v_or_b32_e32 v53, v52, v49
	v_or_b32_e32 v52, v36, v31
	;; [unrolled: 1-line block ×4, first 2 shown]
	global_store_dwordx4 v[18:19], v[52:55], off nt
	v_lshl_add_u64 v[18:19], v[18:19], 0, v[42:43]
	s_andn2_b64 exec, exec, s[56:57]
	s_cbranch_execnz .LBB3_361
; %bb.362:                              ;   in Loop: Header=BB3_274 Depth=3
	s_or_b64 exec, exec, s[56:57]
	v_accvgpr_read_b32 v59, a19
	v_accvgpr_read_b32 v55, a21
	;; [unrolled: 1-line block ×5, first 2 shown]
	v_mov_b32_e32 v56, 1
.LBB3_363:                              ;   in Loop: Header=BB3_274 Depth=3
	s_or_b64 exec, exec, s[54:55]
	v_and_b32_e32 v5, 14, v2
	v_cndmask_b32_e32 v36, v48, v5, vcc
	v_cmp_ne_u32_e64 s[24:25], 0, v36
	s_mov_b64 s[56:57], 0
	v_mov_b32_e32 v11, 0
                                        ; implicit-def: $vgpr2
                                        ; implicit-def: $vgpr31
                                        ; implicit-def: $vgpr4
	s_and_saveexec_b64 s[54:55], s[24:25]
	s_cbranch_execz .LBB3_371
; %bb.364:                              ;   in Loop: Header=BB3_274 Depth=3
	v_sub_u32_e32 v2, v48, v5
	v_cndmask_b32_e32 v2, 0, v2, vcc
	v_cmp_lt_i32_e32 vcc, 0, v37
	v_add_u32_e32 v25, v2, v25
	v_accvgpr_read_b32 v4, a22
	v_cndmask_b32_e32 v2, 0, v34, vcc
	v_sub_u32_e32 v2, v2, v37
	v_lshl_add_u32 v2, v2, 6, v4
	v_ashrrev_i32_e32 v4, 31, v2
	v_lshrrev_b32_e32 v4, 26, v4
	v_ashrrev_i32_e32 v11, 31, v36
	v_add_u32_e32 v4, v2, v4
	v_lshrrev_b32_e32 v11, 22, v11
	v_ashrrev_i32_e32 v5, 6, v4
	v_and_b32_e32 v4, 0xffffffc0, v4
	v_add_u32_e32 v11, v36, v11
	v_sub_u32_e32 v37, v2, v4
	v_and_b32_e32 v48, 0xfffffc00, v11
	v_lshlrev_b32_e32 v2, 4, v37
	v_sub_u32_e32 v46, v36, v48
	v_lshl_add_u32 v4, v5, 10, v2
	v_ashrrev_i32_e32 v14, 10, v11
	v_cmp_lt_i32_e32 vcc, 15, v46
	v_sub_u32_e32 v2, v36, v4
	s_nop 0
	v_addc_co_u32_e64 v11, s[24:25], 0, v14, vcc
	v_sub_u32_e32 v49, v11, v5
	v_cmp_lt_i32_e64 s[24:25], 15, v2
	s_and_saveexec_b64 s[56:57], s[24:25]
	s_cbranch_execz .LBB3_368
; %bb.365:                              ;   in Loop: Header=BB3_274 Depth=3
	s_trap 2
	ds_read_b128 v[52:55], v0
	ds_read_b64 v[18:19], v0
	v_add_u32_e32 v56, v4, v25
	v_ashrrev_i32_e32 v57, 31, v56
	s_mov_b64 s[58:59], 0
	s_waitcnt lgkmcnt(0)
	v_lshl_add_u64 v[4:5], v[52:53], 0, v[56:57]
	v_lshl_add_u64 v[14:15], v[54:55], 0, v[56:57]
	;; [unrolled: 1-line block ×3, first 2 shown]
.LBB3_366:                              ;   Parent Loop BB3_47 Depth=1
                                        ;     Parent Loop BB3_271 Depth=2
                                        ;       Parent Loop BB3_274 Depth=3
                                        ; =>      This Inner Loop Header: Depth=4
	global_load_dwordx4 v[52:55], v[4:5], off nt
	global_load_dwordx4 v[56:59], v[14:15], off nt
	v_sub_u32_e32 v2, v2, v38
	v_cmp_gt_i32_e64 s[24:25], 16, v2
	v_lshl_add_u64 v[4:5], v[4:5], 0, v[42:43]
	v_lshl_add_u64 v[14:15], v[14:15], 0, v[42:43]
	v_sub_u32_e32 v49, v49, v34
	s_or_b64 s[58:59], s[24:25], s[58:59]
	s_waitcnt vmcnt(0)
	v_mul_f16_e32 v11, v52, v56
	v_mul_f16_sdwa v31, v52, v56 dst_sel:WORD_1 dst_unused:UNUSED_PAD src0_sel:WORD_1 src1_sel:WORD_1
	v_mul_f16_e32 v52, v53, v57
	v_mul_f16_sdwa v53, v53, v57 dst_sel:WORD_1 dst_unused:UNUSED_PAD src0_sel:WORD_1 src1_sel:WORD_1
	;; [unrolled: 2-line block ×4, first 2 shown]
	v_or_b32_e32 v53, v53, v52
	v_or_b32_e32 v52, v31, v11
	;; [unrolled: 1-line block ×4, first 2 shown]
	global_store_dwordx4 v[18:19], v[52:55], off nt
	v_lshl_add_u64 v[18:19], v[18:19], 0, v[42:43]
	s_andn2_b64 exec, exec, s[58:59]
	s_cbranch_execnz .LBB3_366
; %bb.367:                              ;   in Loop: Header=BB3_274 Depth=3
	s_or_b64 exec, exec, s[58:59]
	v_accvgpr_read_b32 v59, a19
	v_accvgpr_read_b32 v55, a21
	;; [unrolled: 1-line block ×5, first 2 shown]
	v_mov_b32_e32 v56, 1
.LBB3_368:                              ;   in Loop: Header=BB3_274 Depth=3
	s_or_b64 exec, exec, s[56:57]
	v_and_b32_e32 v5, 14, v36
	v_cndmask_b32_e32 v2, v46, v5, vcc
	v_cmp_ne_u32_e64 s[24:25], 0, v2
	s_mov_b64 s[56:57], 0
	v_mov_b32_e32 v11, 0
                                        ; implicit-def: $vgpr31
                                        ; implicit-def: $vgpr4
	s_and_saveexec_b64 s[58:59], s[24:25]
	s_cbranch_execz .LBB3_370
; %bb.369:                              ;   in Loop: Header=BB3_274 Depth=3
	v_sub_u32_e32 v4, v46, v5
	v_cndmask_b32_e32 v4, 0, v4, vcc
	v_cmp_lt_i32_e32 vcc, 0, v49
	v_add3_u32 v11, v48, v25, v4
	s_mov_b64 s[56:57], exec
	v_cndmask_b32_e32 v4, 0, v34, vcc
	v_sub_u32_e32 v4, v4, v49
	v_lshl_add_u32 v31, v4, 6, v37
	v_ashrrev_i32_e32 v4, 31, v31
	v_lshrrev_b32_e32 v4, 26, v4
	v_add_u32_e32 v4, v31, v4
	v_ashrrev_i32_e32 v4, 6, v4
.LBB3_370:                              ;   in Loop: Header=BB3_274 Depth=3
	s_or_b64 exec, exec, s[58:59]
	s_and_b64 s[56:57], s[56:57], exec
.LBB3_371:                              ;   in Loop: Header=BB3_274 Depth=3
	s_or_b64 exec, exec, s[54:55]
	s_and_saveexec_b64 s[24:25], s[56:57]
	s_cbranch_execnz .LBB3_345
.LBB3_372:                              ;   in Loop: Header=BB3_274 Depth=3
	s_or_b64 exec, exec, s[24:25]
	s_and_saveexec_b64 s[24:25], s[4:5]
	s_cbranch_execz .LBB3_354
.LBB3_373:                              ;   in Loop: Header=BB3_274 Depth=3
	s_and_saveexec_b64 vcc, s[38:39]
	s_xor_b64 s[54:55], exec, vcc
	s_cbranch_execz .LBB3_388
; %bb.374:                              ;   in Loop: Header=BB3_274 Depth=3
	s_and_saveexec_b64 s[56:57], s[12:13]
	s_cbranch_execz .LBB3_387
; %bb.375:                              ;   in Loop: Header=BB3_274 Depth=3
	s_mov_b64 s[60:61], exec
	v_mbcnt_lo_u32_b32 v2, s60, 0
	v_mbcnt_hi_u32_b32 v2, s61, v2
	v_cmp_eq_u32_e32 vcc, 0, v2
	s_waitcnt lgkmcnt(0)
	s_and_saveexec_b64 s[58:59], vcc
	s_cbranch_execz .LBB3_377
; %bb.376:                              ;   in Loop: Header=BB3_274 Depth=3
	s_bcnt1_i32_b64 vcc_lo, s[60:61]
	v_mov_b32_e32 v2, vcc_lo
	ds_add_u64 v0, v[2:3]
	s_trap 2
.LBB3_377:                              ;   in Loop: Header=BB3_274 Depth=3
	s_or_b64 exec, exec, s[58:59]
	s_trap 2
	ds_read_b64 v[4:5], v0
	v_lshl_add_u64 v[12:13], v[12:13], 0, v[34:35]
	s_waitcnt lgkmcnt(0)
	v_cmp_lt_u64_e32 vcc, v[4:5], v[12:13]
	s_and_saveexec_b64 s[58:59], vcc
	s_cbranch_execz .LBB3_386
; %bb.378:                              ;   in Loop: Header=BB3_274 Depth=3
	s_mov_b32 s83, 0
	s_mov_b64 s[60:61], 0
                                        ; implicit-def: $sgpr62_sgpr63
                                        ; implicit-def: $sgpr64_sgpr65
	s_branch .LBB3_380
.LBB3_379:                              ;   in Loop: Header=BB3_380 Depth=4
	s_or_b64 exec, exec, s[68:69]
	s_and_b64 vcc, exec, vcc
	s_or_b64 s[60:61], vcc, s[60:61]
	s_andn2_b64 vcc, s[62:63], exec
	s_and_b64 s[62:63], s[64:65], exec
	s_or_b64 s[62:63], vcc, s[62:63]
	s_andn2_b64 exec, exec, s[60:61]
	s_cbranch_execz .LBB3_384
.LBB3_380:                              ;   Parent Loop BB3_47 Depth=1
                                        ;     Parent Loop BB3_271 Depth=2
                                        ;       Parent Loop BB3_274 Depth=3
                                        ; =>      This Inner Loop Header: Depth=4
	s_add_i32 s83, s83, 1
	s_cmpk_lg_i32 s83, 0x2710
	s_cselect_b64 s[66:67], -1, 0
	s_and_b64 vcc, exec, s[66:67]
                                        ; implicit-def: $sgpr68_sgpr69
	s_cbranch_vccnz .LBB3_382
; %bb.381:                              ;   in Loop: Header=BB3_380 Depth=4
	s_trap 2
	ds_read_b64 v[4:5], v0
	s_andn2_b64 s[66:67], s[66:67], exec
	s_mov_b32 s83, 0
	s_mov_b64 s[68:69], -1
	s_waitcnt vmcnt(0) lgkmcnt(0)
	flat_load_dword v2, v[4:5] sc0 sc1
	s_waitcnt vmcnt(0) lgkmcnt(0)
	buffer_inv sc0 sc1
	v_cmp_eq_u32_e32 vcc, 0, v2
	s_and_b64 vcc, vcc, exec
	s_or_b64 s[66:67], s[66:67], vcc
.LBB3_382:                              ;   in Loop: Header=BB3_380 Depth=4
	s_andn2_b64 s[64:65], s[64:65], exec
	s_and_b64 s[68:69], s[68:69], exec
	s_mov_b64 vcc, -1
	s_or_b64 s[64:65], s[64:65], s[68:69]
	s_and_saveexec_b64 s[68:69], s[66:67]
	s_cbranch_execz .LBB3_379
; %bb.383:                              ;   in Loop: Header=BB3_380 Depth=4
	s_sleep 1
	s_trap 2
	ds_read_b64 v[4:5], v0
	s_andn2_b64 s[64:65], s[64:65], exec
	s_waitcnt lgkmcnt(0)
	v_cmp_ge_u64_e32 vcc, v[4:5], v[12:13]
	s_orn2_b64 vcc, vcc, exec
	s_branch .LBB3_379
.LBB3_384:                              ;   in Loop: Header=BB3_274 Depth=3
	s_or_b64 exec, exec, s[60:61]
	s_and_saveexec_b64 vcc, s[62:63]
	s_xor_b64 vcc, exec, vcc
	s_cbranch_execz .LBB3_386
; %bb.385:                              ;   in Loop: Header=BB3_274 Depth=3
	ds_write_b32 v0, v56
	s_trap 2
.LBB3_386:                              ;   in Loop: Header=BB3_274 Depth=3
	s_or_b64 exec, exec, s[58:59]
	;;#ASMSTART
	s_wakeup
	;;#ASMEND
.LBB3_387:                              ;   in Loop: Header=BB3_274 Depth=3
	s_or_b64 exec, exec, s[56:57]
.LBB3_388:                              ;   in Loop: Header=BB3_274 Depth=3
	s_andn2_saveexec_b64 vcc, s[54:55]
	s_cbranch_execz .LBB3_390
; %bb.389:                              ;   in Loop: Header=BB3_274 Depth=3
	s_waitcnt lgkmcnt(0)
	s_barrier
.LBB3_390:                              ;   in Loop: Header=BB3_274 Depth=3
	s_or_b64 exec, exec, vcc
	s_or_b64 exec, exec, s[24:25]
                                        ; implicit-def: $vgpr2
	s_and_saveexec_b64 s[24:25], s[20:21]
	s_xor_b64 s[54:55], exec, s[24:25]
	s_cbranch_execnz .LBB3_355
.LBB3_391:                              ;   in Loop: Header=BB3_274 Depth=3
	s_andn2_saveexec_b64 s[24:25], s[54:55]
	s_cbranch_execz .LBB3_410
.LBB3_392:                              ;   in Loop: Header=BB3_274 Depth=3
	s_and_saveexec_b64 vcc, s[38:39]
	s_xor_b64 s[54:55], exec, vcc
	s_cbranch_execz .LBB3_407
; %bb.393:                              ;   in Loop: Header=BB3_274 Depth=3
	s_and_saveexec_b64 s[56:57], s[12:13]
	s_cbranch_execz .LBB3_406
; %bb.394:                              ;   in Loop: Header=BB3_274 Depth=3
	s_mov_b64 s[60:61], exec
	v_mbcnt_lo_u32_b32 v2, s60, 0
	v_mbcnt_hi_u32_b32 v2, s61, v2
	v_cmp_eq_u32_e32 vcc, 0, v2
	;;#ASMSTART
	s_waitcnt lgkmcnt(0) vmcnt(0)
	;;#ASMEND
	s_and_saveexec_b64 s[58:59], vcc
	s_cbranch_execz .LBB3_396
; %bb.395:                              ;   in Loop: Header=BB3_274 Depth=3
	s_bcnt1_i32_b64 vcc_lo, s[60:61]
	v_mov_b32_e32 v2, vcc_lo
	ds_add_u64 v0, v[2:3]
	s_trap 2
.LBB3_396:                              ;   in Loop: Header=BB3_274 Depth=3
	s_or_b64 exec, exec, s[58:59]
	s_trap 2
	ds_read_b64 v[4:5], v0
	v_lshl_add_u64 v[12:13], v[12:13], 0, v[34:35]
	s_waitcnt lgkmcnt(0)
	v_cmp_lt_u64_e32 vcc, v[4:5], v[12:13]
	s_and_saveexec_b64 s[58:59], vcc
	s_cbranch_execz .LBB3_405
; %bb.397:                              ;   in Loop: Header=BB3_274 Depth=3
	s_mov_b32 s83, 0
	s_mov_b64 s[60:61], 0
                                        ; implicit-def: $sgpr62_sgpr63
                                        ; implicit-def: $sgpr64_sgpr65
	s_branch .LBB3_399
.LBB3_398:                              ;   in Loop: Header=BB3_399 Depth=4
	s_or_b64 exec, exec, s[68:69]
	s_and_b64 vcc, exec, vcc
	s_or_b64 s[60:61], vcc, s[60:61]
	s_andn2_b64 vcc, s[62:63], exec
	s_and_b64 s[62:63], s[64:65], exec
	s_or_b64 s[62:63], vcc, s[62:63]
	s_andn2_b64 exec, exec, s[60:61]
	s_cbranch_execz .LBB3_403
.LBB3_399:                              ;   Parent Loop BB3_47 Depth=1
                                        ;     Parent Loop BB3_271 Depth=2
                                        ;       Parent Loop BB3_274 Depth=3
                                        ; =>      This Inner Loop Header: Depth=4
	s_add_i32 s83, s83, 1
	s_cmpk_lg_i32 s83, 0x2710
	s_cselect_b64 s[66:67], -1, 0
	s_and_b64 vcc, exec, s[66:67]
                                        ; implicit-def: $sgpr68_sgpr69
	s_cbranch_vccnz .LBB3_401
; %bb.400:                              ;   in Loop: Header=BB3_399 Depth=4
	s_trap 2
	ds_read_b64 v[4:5], v0
	s_andn2_b64 s[66:67], s[66:67], exec
	s_mov_b32 s83, 0
	s_mov_b64 s[68:69], -1
	s_waitcnt vmcnt(0) lgkmcnt(0)
	flat_load_dword v2, v[4:5] sc0 sc1
	s_waitcnt vmcnt(0) lgkmcnt(0)
	buffer_inv sc0 sc1
	v_cmp_eq_u32_e32 vcc, 0, v2
	s_and_b64 vcc, vcc, exec
	s_or_b64 s[66:67], s[66:67], vcc
.LBB3_401:                              ;   in Loop: Header=BB3_399 Depth=4
	s_andn2_b64 s[64:65], s[64:65], exec
	s_and_b64 s[68:69], s[68:69], exec
	s_mov_b64 vcc, -1
	s_or_b64 s[64:65], s[64:65], s[68:69]
	s_and_saveexec_b64 s[68:69], s[66:67]
	s_cbranch_execz .LBB3_398
; %bb.402:                              ;   in Loop: Header=BB3_399 Depth=4
	s_sleep 1
	s_trap 2
	ds_read_b64 v[4:5], v0
	s_andn2_b64 s[64:65], s[64:65], exec
	s_waitcnt lgkmcnt(0)
	v_cmp_ge_u64_e32 vcc, v[4:5], v[12:13]
	s_orn2_b64 vcc, vcc, exec
	s_branch .LBB3_398
.LBB3_403:                              ;   in Loop: Header=BB3_274 Depth=3
	s_or_b64 exec, exec, s[60:61]
	s_and_saveexec_b64 vcc, s[62:63]
	s_xor_b64 vcc, exec, vcc
	s_cbranch_execz .LBB3_405
; %bb.404:                              ;   in Loop: Header=BB3_274 Depth=3
	ds_write_b32 v0, v56
	s_trap 2
.LBB3_405:                              ;   in Loop: Header=BB3_274 Depth=3
	s_or_b64 exec, exec, s[58:59]
	;;#ASMSTART
	s_wakeup
	;;#ASMEND
.LBB3_406:                              ;   in Loop: Header=BB3_274 Depth=3
	s_or_b64 exec, exec, s[56:57]
.LBB3_407:                              ;   in Loop: Header=BB3_274 Depth=3
	s_andn2_saveexec_b64 vcc, s[54:55]
	s_cbranch_execz .LBB3_409
; %bb.408:                              ;   in Loop: Header=BB3_274 Depth=3
	;;#ASMSTART
	s_waitcnt lgkmcnt(0) vmcnt(0)
	;;#ASMEND
	s_barrier
.LBB3_409:                              ;   in Loop: Header=BB3_274 Depth=3
	s_or_b64 exec, exec, vcc
	v_and_b32_e32 v2, 16, v62
.LBB3_410:                              ;   in Loop: Header=BB3_274 Depth=3
	s_or_b64 exec, exec, s[24:25]
	v_cmp_ne_u32_e32 vcc, 0, v2
	s_xor_b64 s[24:25], s[6:7], -1
	s_and_b64 vcc, vcc, s[24:25]
	s_and_saveexec_b64 s[24:25], vcc
	s_cbranch_execz .LBB3_412
; %bb.411:                              ;   in Loop: Header=BB3_274 Depth=3
	flat_store_dword v[28:29], v56 sc0 sc1
.LBB3_412:                              ;   in Loop: Header=BB3_274 Depth=3
	s_or_b64 exec, exec, s[24:25]
	v_and_b32_e32 v2, 48, v62
	v_cmp_ne_u32_e32 vcc, 0, v2
	s_and_saveexec_b64 s[24:25], vcc
	s_cbranch_execz .LBB3_273
; %bb.413:                              ;   in Loop: Header=BB3_274 Depth=3
	v_lshl_add_u64 v[20:21], v[20:21], 0, 2
	flat_store_dwordx2 v[22:23], v[20:21] sc0 sc1
	s_branch .LBB3_273
.LBB3_414:                              ;   in Loop: Header=BB3_271 Depth=2
	s_or_b64 exec, exec, s[28:29]
.LBB3_415:                              ;   in Loop: Header=BB3_271 Depth=2
	s_or_b64 exec, exec, s[26:27]
	v_cmp_gt_i32_e32 vcc, 2, v2
	s_and_saveexec_b64 s[26:27], vcc
	s_cbranch_execz .LBB3_270
; %bb.416:                              ;   in Loop: Header=BB3_271 Depth=2
	v_cmp_eq_u32_e64 s[24:25], 0, v2
	s_mov_b64 s[28:29], 0
	s_branch .LBB3_418
.LBB3_417:                              ;   in Loop: Header=BB3_418 Depth=3
	s_or_b64 exec, exec, s[24:25]
	v_add_u32_e32 v10, v8, v10
	s_mov_b64 s[24:25], 0
	s_andn2_b64 exec, exec, s[28:29]
	s_cbranch_execz .LBB3_269
.LBB3_418:                              ;   Parent Loop BB3_47 Depth=1
                                        ;     Parent Loop BB3_271 Depth=2
                                        ; =>    This Loop Header: Depth=3
                                        ;         Child Loop BB3_424 Depth 4
                                        ;         Child Loop BB3_462 Depth 4
	;; [unrolled: 1-line block ×3, first 2 shown]
	v_and_b32_e32 v2, 12, v62
	s_mov_b64 s[54:55], -1
	v_cmp_ne_u32_e32 vcc, 0, v2
	s_and_saveexec_b64 s[52:53], vcc
	s_cbranch_execz .LBB3_430
; %bb.419:                              ;   in Loop: Header=BB3_418 Depth=3
	v_and_b32_e32 v2, 8, v62
	v_lshl_add_u64 v[14:15], v[32:33], 0, v[2:3]
	v_lshl_add_u64 v[4:5], v[20:21], 0, 2
	v_cmp_lt_u64_e32 vcc, v[14:15], v[4:5]
	v_mov_b32_e32 v9, 1
	s_and_saveexec_b64 s[54:55], vcc
	s_cbranch_execz .LBB3_429
; %bb.420:                              ;   in Loop: Header=BB3_418 Depth=3
	s_mov_b64 s[56:57], 0
	v_mov_b32_e32 v9, 0
                                        ; implicit-def: $sgpr58_sgpr59
	s_branch .LBB3_424
.LBB3_421:                              ;   in Loop: Header=BB3_424 Depth=4
	s_or_b64 exec, exec, s[66:67]
	v_mov_b32_e32 v11, 0
	s_orn2_b64 s[64:65], s[64:65], exec
.LBB3_422:                              ;   in Loop: Header=BB3_424 Depth=4
	s_or_b64 exec, exec, s[62:63]
	s_andn2_b64 vcc, s[58:59], exec
	s_and_b64 s[58:59], s[64:65], exec
	s_or_b64 s[58:59], vcc, s[58:59]
	v_mov_b32_e32 v9, v11
.LBB3_423:                              ;   in Loop: Header=BB3_424 Depth=4
	s_or_b64 exec, exec, s[60:61]
	s_waitcnt vmcnt(0) lgkmcnt(0)
	v_lshl_add_u64 v[14:15], v[32:33], 0, v[2:3]
	v_cmp_ge_u64_e32 vcc, v[14:15], v[4:5]
	s_xor_b64 s[60:61], s[58:59], -1
	s_or_b64 vcc, s[60:61], vcc
	s_and_b64 vcc, exec, vcc
	s_or_b64 s[56:57], vcc, s[56:57]
	s_andn2_b64 exec, exec, s[56:57]
	s_cbranch_execz .LBB3_428
.LBB3_424:                              ;   Parent Loop BB3_47 Depth=1
                                        ;     Parent Loop BB3_271 Depth=2
                                        ;       Parent Loop BB3_418 Depth=3
                                        ; =>      This Inner Loop Header: Depth=4
	s_sleep 1
	flat_load_dwordx2 v[32:33], v[22:23] sc0 sc1
	v_and_b32_e32 v11, 64, v62
	v_cmp_eq_u32_e32 vcc, 0, v11
	s_andn2_b64 s[58:59], s[58:59], exec
	s_and_saveexec_b64 s[60:61], vcc
	s_cbranch_execz .LBB3_423
; %bb.425:                              ;   in Loop: Header=BB3_424 Depth=4
	v_add_u32_e32 v11, 1, v9
	v_cmp_lt_i32_e32 vcc, s72, v9
	s_mov_b64 s[64:65], -1
	s_and_saveexec_b64 s[62:63], vcc
	s_cbranch_execz .LBB3_422
; %bb.426:                              ;   in Loop: Header=BB3_424 Depth=4
	s_trap 2
	ds_read_b64 v[14:15], v0
	s_waitcnt vmcnt(0) lgkmcnt(0)
	flat_load_dword v9, v[14:15] sc0 sc1
	s_waitcnt vmcnt(0) lgkmcnt(0)
	buffer_inv sc0 sc1
	v_cmp_ne_u32_e32 vcc, 0, v9
	s_and_saveexec_b64 s[66:67], vcc
	s_cbranch_execz .LBB3_421
; %bb.427:                              ;   in Loop: Header=BB3_424 Depth=4
	v_or_b32_e32 v62, 64, v62
	s_xor_b64 s[64:65], exec, -1
	ds_write_b32 v0, v9
	s_trap 2
	s_branch .LBB3_421
.LBB3_428:                              ;   in Loop: Header=BB3_418 Depth=3
	s_or_b64 exec, exec, s[56:57]
	v_and_b32_e32 v9, 12, v62
.LBB3_429:                              ;   in Loop: Header=BB3_418 Depth=3
	s_or_b64 exec, exec, s[54:55]
	v_cmp_eq_u32_e32 vcc, 0, v9
	s_orn2_b64 s[54:55], vcc, exec
	;;#ASMSTART
	s_wakeup
	;;#ASMEND
.LBB3_430:                              ;   in Loop: Header=BB3_418 Depth=3
	s_or_b64 exec, exec, s[52:53]
	s_xor_b64 s[24:25], s[24:25], -1
	s_and_b64 s[24:25], exec, s[24:25]
	s_or_b64 s[28:29], s[24:25], s[28:29]
	v_sub_u32_e32 v2, v30, v10
	s_xor_b64 s[24:25], s[54:55], -1
	v_min_i32_e32 v8, v8, v2
	s_and_saveexec_b64 s[52:53], s[24:25]
	s_cbranch_execz .LBB3_454
; %bb.431:                              ;   in Loop: Header=BB3_418 Depth=3
	v_and_b32_e32 v2, 0x108, v62
	v_cmp_ne_u32_e32 vcc, s80, v2
	v_and_b32_e32 v2, 7, v20
	s_and_saveexec_b64 s[24:25], vcc
	s_xor_b64 s[24:25], exec, s[24:25]
	s_andn2_saveexec_b64 s[24:25], s[24:25]
	s_cbranch_execz .LBB3_433
; %bb.432:                              ;   in Loop: Header=BB3_418 Depth=3
	v_ashrrev_i32_e32 v9, 31, v8
	v_mad_u64_u32 v[4:5], vcc, v2, 24, v[6:7]
	v_lshlrev_b64 v[14:15], 1, v[8:9]
	flat_store_dwordx2 v[4:5], v[14:15] offset:8
.LBB3_433:                              ;   in Loop: Header=BB3_418 Depth=3
	s_or_b64 exec, exec, s[24:25]
	v_and_b32_e32 v4, 0x100, v62
	v_cmp_ne_u32_e32 vcc, 0, v4
	s_mov_b64 s[24:25], -1
                                        ; implicit-def: $vgpr4_vgpr5
	s_and_saveexec_b64 s[54:55], vcc
	s_cbranch_execz .LBB3_437
; %bb.434:                              ;   in Loop: Header=BB3_418 Depth=3
	v_mad_u64_u32 v[14:15], s[24:25], v2, 24, v[6:7]
	v_mov_b32_e32 v4, v15
	v_mad_u64_u32 v[4:5], s[24:25], v3, 24, v[4:5]
	v_mov_b32_e32 v15, v4
	flat_load_dword v4, v[14:15]
	s_waitcnt vmcnt(0) lgkmcnt(0)
	v_cmp_ne_u32_e32 vcc, 1, v4
	v_cmp_eq_u32_e64 s[24:25], 1, v4
                                        ; implicit-def: $vgpr4_vgpr5
	s_and_saveexec_b64 s[56:57], s[24:25]
	s_cbranch_execz .LBB3_436
; %bb.435:                              ;   in Loop: Header=BB3_418 Depth=3
	flat_load_dword v4, v[14:15] offset:4 sc0 sc1
	s_waitcnt vmcnt(0) lgkmcnt(0)
	v_ashrrev_i32_e32 v5, 31, v4
	v_lshrrev_b64 v[4:5], 1, v[4:5]
.LBB3_436:                              ;   in Loop: Header=BB3_418 Depth=3
	s_or_b64 exec, exec, s[56:57]
	s_orn2_b64 s[24:25], vcc, exec
.LBB3_437:                              ;   in Loop: Header=BB3_418 Depth=3
	s_or_b64 exec, exec, s[54:55]
	s_and_saveexec_b64 vcc, s[24:25]
; %bb.438:                              ;   in Loop: Header=BB3_418 Depth=3
	v_mul_lo_u32 v9, v3, v24
	v_mul_lo_u32 v11, v2, v57
	v_mad_u64_u32 v[4:5], s[24:25], v2, v24, 0
	v_add3_u32 v5, v5, v11, v9
; %bb.439:                              ;   in Loop: Header=BB3_418 Depth=3
	s_or_b64 exec, exec, vcc
	v_and_b32_e32 v2, 0x2000, v62
	v_lshl_add_u64 v[4:5], v[4:5], 1, v[26:27]
	v_cmp_ne_u32_e32 vcc, 0, v2
	s_trap 2
	ds_write_b64 v0, v[4:5]
	s_and_saveexec_b64 s[24:25], vcc
	s_cbranch_execz .LBB3_441
; %bb.440:                              ;   in Loop: Header=BB3_418 Depth=3
	ds_read_b64 v[4:5], v0 offset:584
	s_waitcnt lgkmcnt(0)
	v_lshl_add_u64 v[4:5], v[4:5], 0, 1
	ds_write_b64 v0, v[4:5] offset:584
.LBB3_441:                              ;   in Loop: Header=BB3_418 Depth=3
	s_or_b64 exec, exec, s[24:25]
	v_lshl_add_u64 v[20:21], v[20:21], 0, 2
	s_or_b64 exec, exec, s[52:53]
	s_and_saveexec_b64 s[24:25], s[4:5]
	s_cbranch_execnz .LBB3_455
.LBB3_442:                              ;   in Loop: Header=BB3_418 Depth=3
	s_or_b64 exec, exec, s[24:25]
                                        ; implicit-def: $vgpr2
	s_and_saveexec_b64 s[24:25], s[48:49]
	s_xor_b64 s[24:25], exec, s[24:25]
	s_cbranch_execz .LBB3_480
.LBB3_443:                              ;   in Loop: Header=BB3_418 Depth=3
	s_and_saveexec_b64 vcc, s[38:39]
	s_xor_b64 s[52:53], exec, vcc
	s_cbranch_execz .LBB3_470
; %bb.444:                              ;   in Loop: Header=BB3_418 Depth=3
	s_and_saveexec_b64 s[54:55], s[12:13]
	s_cbranch_execz .LBB3_469
; %bb.445:                              ;   in Loop: Header=BB3_418 Depth=3
	s_mov_b64 s[58:59], exec
	v_mbcnt_lo_u32_b32 v2, s58, 0
	v_mbcnt_hi_u32_b32 v2, s59, v2
	v_cmp_eq_u32_e32 vcc, 0, v2
	;;#ASMSTART
	s_waitcnt lgkmcnt(0) vmcnt(0)
	;;#ASMEND
	s_and_saveexec_b64 s[56:57], vcc
	s_cbranch_execz .LBB3_447
; %bb.446:                              ;   in Loop: Header=BB3_418 Depth=3
	s_bcnt1_i32_b64 vcc_lo, s[58:59]
	v_mov_b32_e32 v2, vcc_lo
	ds_add_u64 v0, v[2:3]
	s_trap 2
.LBB3_447:                              ;   in Loop: Header=BB3_418 Depth=3
	s_or_b64 exec, exec, s[56:57]
	s_trap 2
	ds_read_b64 v[4:5], v0
	v_lshl_add_u64 v[12:13], v[12:13], 0, v[34:35]
	s_waitcnt lgkmcnt(0)
	v_cmp_lt_u64_e32 vcc, v[4:5], v[12:13]
	s_and_saveexec_b64 s[56:57], vcc
	s_cbranch_execz .LBB3_468
; %bb.448:                              ;   in Loop: Header=BB3_418 Depth=3
	s_mov_b32 s68, 0
	s_mov_b64 s[58:59], 0
                                        ; implicit-def: $sgpr60_sgpr61
                                        ; implicit-def: $sgpr62_sgpr63
	s_branch .LBB3_450
.LBB3_449:                              ;   in Loop: Header=BB3_450 Depth=4
	s_or_b64 exec, exec, s[66:67]
	s_and_b64 vcc, exec, vcc
	s_or_b64 s[58:59], vcc, s[58:59]
	s_andn2_b64 vcc, s[60:61], exec
	s_and_b64 s[60:61], s[62:63], exec
	s_or_b64 s[60:61], vcc, s[60:61]
	s_andn2_b64 exec, exec, s[58:59]
	s_cbranch_execz .LBB3_466
.LBB3_450:                              ;   Parent Loop BB3_47 Depth=1
                                        ;     Parent Loop BB3_271 Depth=2
                                        ;       Parent Loop BB3_418 Depth=3
                                        ; =>      This Inner Loop Header: Depth=4
	s_add_i32 s68, s68, 1
	s_cmpk_lg_i32 s68, 0x2710
	s_cselect_b64 s[64:65], -1, 0
	s_and_b64 vcc, exec, s[64:65]
                                        ; implicit-def: $sgpr66_sgpr67
	s_cbranch_vccnz .LBB3_452
; %bb.451:                              ;   in Loop: Header=BB3_450 Depth=4
	s_trap 2
	ds_read_b64 v[4:5], v0
	s_andn2_b64 s[64:65], s[64:65], exec
	s_mov_b32 s68, 0
	s_mov_b64 s[66:67], -1
	s_waitcnt vmcnt(0) lgkmcnt(0)
	flat_load_dword v2, v[4:5] sc0 sc1
	s_waitcnt vmcnt(0) lgkmcnt(0)
	buffer_inv sc0 sc1
	v_cmp_eq_u32_e32 vcc, 0, v2
	s_and_b64 vcc, vcc, exec
	s_or_b64 s[64:65], s[64:65], vcc
.LBB3_452:                              ;   in Loop: Header=BB3_450 Depth=4
	s_andn2_b64 s[62:63], s[62:63], exec
	s_and_b64 s[66:67], s[66:67], exec
	s_mov_b64 vcc, -1
	s_or_b64 s[62:63], s[62:63], s[66:67]
	s_and_saveexec_b64 s[66:67], s[64:65]
	s_cbranch_execz .LBB3_449
; %bb.453:                              ;   in Loop: Header=BB3_450 Depth=4
	s_sleep 1
	s_trap 2
	ds_read_b64 v[4:5], v0
	s_andn2_b64 s[62:63], s[62:63], exec
	s_waitcnt lgkmcnt(0)
	v_cmp_ge_u64_e32 vcc, v[4:5], v[12:13]
	s_orn2_b64 vcc, vcc, exec
	s_branch .LBB3_449
.LBB3_454:                              ;   in Loop: Header=BB3_418 Depth=3
	s_or_b64 exec, exec, s[52:53]
	s_and_saveexec_b64 s[24:25], s[4:5]
	s_cbranch_execz .LBB3_442
.LBB3_455:                              ;   in Loop: Header=BB3_418 Depth=3
	s_and_saveexec_b64 vcc, s[38:39]
	s_xor_b64 s[52:53], exec, vcc
	s_cbranch_execz .LBB3_477
; %bb.456:                              ;   in Loop: Header=BB3_418 Depth=3
	s_and_saveexec_b64 s[54:55], s[12:13]
	s_cbranch_execz .LBB3_476
; %bb.457:                              ;   in Loop: Header=BB3_418 Depth=3
	s_mov_b64 s[58:59], exec
	v_mbcnt_lo_u32_b32 v2, s58, 0
	v_mbcnt_hi_u32_b32 v2, s59, v2
	v_cmp_eq_u32_e32 vcc, 0, v2
	s_waitcnt lgkmcnt(0)
	s_and_saveexec_b64 s[56:57], vcc
	s_cbranch_execz .LBB3_459
; %bb.458:                              ;   in Loop: Header=BB3_418 Depth=3
	s_bcnt1_i32_b64 vcc_lo, s[58:59]
	v_mov_b32_e32 v2, vcc_lo
	ds_add_u64 v0, v[2:3]
	s_trap 2
.LBB3_459:                              ;   in Loop: Header=BB3_418 Depth=3
	s_or_b64 exec, exec, s[56:57]
	s_trap 2
	ds_read_b64 v[4:5], v0
	v_lshl_add_u64 v[12:13], v[12:13], 0, v[34:35]
	s_waitcnt lgkmcnt(0)
	v_cmp_lt_u64_e32 vcc, v[4:5], v[12:13]
	s_and_saveexec_b64 s[56:57], vcc
	s_cbranch_execz .LBB3_475
; %bb.460:                              ;   in Loop: Header=BB3_418 Depth=3
	s_mov_b32 s68, 0
	s_mov_b64 s[58:59], 0
                                        ; implicit-def: $sgpr60_sgpr61
                                        ; implicit-def: $sgpr62_sgpr63
	s_branch .LBB3_462
.LBB3_461:                              ;   in Loop: Header=BB3_462 Depth=4
	s_or_b64 exec, exec, s[66:67]
	s_and_b64 vcc, exec, vcc
	s_or_b64 s[58:59], vcc, s[58:59]
	s_andn2_b64 vcc, s[60:61], exec
	s_and_b64 s[60:61], s[62:63], exec
	s_or_b64 s[60:61], vcc, s[60:61]
	s_andn2_b64 exec, exec, s[58:59]
	s_cbranch_execz .LBB3_473
.LBB3_462:                              ;   Parent Loop BB3_47 Depth=1
                                        ;     Parent Loop BB3_271 Depth=2
                                        ;       Parent Loop BB3_418 Depth=3
                                        ; =>      This Inner Loop Header: Depth=4
	s_add_i32 s68, s68, 1
	s_cmpk_lg_i32 s68, 0x2710
	s_cselect_b64 s[64:65], -1, 0
	s_and_b64 vcc, exec, s[64:65]
                                        ; implicit-def: $sgpr66_sgpr67
	s_cbranch_vccnz .LBB3_464
; %bb.463:                              ;   in Loop: Header=BB3_462 Depth=4
	s_trap 2
	ds_read_b64 v[4:5], v0
	s_andn2_b64 s[64:65], s[64:65], exec
	s_mov_b32 s68, 0
	s_mov_b64 s[66:67], -1
	s_waitcnt vmcnt(0) lgkmcnt(0)
	flat_load_dword v2, v[4:5] sc0 sc1
	s_waitcnt vmcnt(0) lgkmcnt(0)
	buffer_inv sc0 sc1
	v_cmp_eq_u32_e32 vcc, 0, v2
	s_and_b64 vcc, vcc, exec
	s_or_b64 s[64:65], s[64:65], vcc
.LBB3_464:                              ;   in Loop: Header=BB3_462 Depth=4
	s_andn2_b64 s[62:63], s[62:63], exec
	s_and_b64 s[66:67], s[66:67], exec
	s_mov_b64 vcc, -1
	s_or_b64 s[62:63], s[62:63], s[66:67]
	s_and_saveexec_b64 s[66:67], s[64:65]
	s_cbranch_execz .LBB3_461
; %bb.465:                              ;   in Loop: Header=BB3_462 Depth=4
	s_sleep 1
	s_trap 2
	ds_read_b64 v[4:5], v0
	s_andn2_b64 s[62:63], s[62:63], exec
	s_waitcnt lgkmcnt(0)
	v_cmp_ge_u64_e32 vcc, v[4:5], v[12:13]
	s_orn2_b64 vcc, vcc, exec
	s_branch .LBB3_461
.LBB3_466:                              ;   in Loop: Header=BB3_418 Depth=3
	s_or_b64 exec, exec, s[58:59]
	s_and_saveexec_b64 vcc, s[60:61]
	s_xor_b64 vcc, exec, vcc
	s_cbranch_execz .LBB3_468
; %bb.467:                              ;   in Loop: Header=BB3_418 Depth=3
	ds_write_b32 v0, v56
	s_trap 2
.LBB3_468:                              ;   in Loop: Header=BB3_418 Depth=3
	s_or_b64 exec, exec, s[56:57]
	;;#ASMSTART
	s_wakeup
	;;#ASMEND
.LBB3_469:                              ;   in Loop: Header=BB3_418 Depth=3
	s_or_b64 exec, exec, s[54:55]
.LBB3_470:                              ;   in Loop: Header=BB3_418 Depth=3
	s_andn2_saveexec_b64 vcc, s[52:53]
	s_cbranch_execz .LBB3_472
; %bb.471:                              ;   in Loop: Header=BB3_418 Depth=3
	;;#ASMSTART
	s_waitcnt lgkmcnt(0) vmcnt(0)
	;;#ASMEND
	s_barrier
.LBB3_472:                              ;   in Loop: Header=BB3_418 Depth=3
	s_or_b64 exec, exec, vcc
	v_and_b32_e32 v2, 16, v62
	s_andn2_saveexec_b64 s[24:25], s[24:25]
	s_cbranch_execz .LBB3_484
	s_branch .LBB3_481
.LBB3_473:                              ;   in Loop: Header=BB3_418 Depth=3
	s_or_b64 exec, exec, s[58:59]
	s_and_saveexec_b64 vcc, s[60:61]
	s_xor_b64 vcc, exec, vcc
	s_cbranch_execz .LBB3_475
; %bb.474:                              ;   in Loop: Header=BB3_418 Depth=3
	ds_write_b32 v0, v56
	s_trap 2
.LBB3_475:                              ;   in Loop: Header=BB3_418 Depth=3
	s_or_b64 exec, exec, s[56:57]
	;;#ASMSTART
	s_wakeup
	;;#ASMEND
.LBB3_476:                              ;   in Loop: Header=BB3_418 Depth=3
	s_or_b64 exec, exec, s[54:55]
.LBB3_477:                              ;   in Loop: Header=BB3_418 Depth=3
	s_andn2_saveexec_b64 vcc, s[52:53]
	s_cbranch_execz .LBB3_479
; %bb.478:                              ;   in Loop: Header=BB3_418 Depth=3
	s_waitcnt lgkmcnt(0)
	s_barrier
.LBB3_479:                              ;   in Loop: Header=BB3_418 Depth=3
	s_or_b64 exec, exec, vcc
	s_or_b64 exec, exec, s[24:25]
                                        ; implicit-def: $vgpr2
	s_and_saveexec_b64 s[24:25], s[48:49]
	s_xor_b64 s[24:25], exec, s[24:25]
	s_cbranch_execnz .LBB3_443
.LBB3_480:                              ;   in Loop: Header=BB3_418 Depth=3
	s_andn2_saveexec_b64 s[24:25], s[24:25]
	s_cbranch_execz .LBB3_484
.LBB3_481:                              ;   in Loop: Header=BB3_418 Depth=3
	s_trap 2
	ds_read_b32 v4, v0
	v_cmp_lt_i32_e32 vcc, 0, v8
	v_and_b32_e32 v5, 16, v62
	v_and_b32_e32 v2, 16, v62
	s_waitcnt lgkmcnt(0)
	v_readfirstlane_b32 s52, v4
	s_cmp_eq_u32 s52, 0
	s_cselect_b64 s[52:53], -1, 0
	s_and_b64 s[52:53], vcc, s[52:53]
	v_cmp_ne_u32_e32 vcc, 0, v5
	s_and_b64 s[52:53], vcc, s[52:53]
	s_and_saveexec_b64 vcc, s[52:53]
	s_cbranch_execz .LBB3_483
; %bb.482:                              ;   in Loop: Header=BB3_418 Depth=3
	v_mov_b32_e32 v2, 1
	buffer_wbl2 sc1
	s_waitcnt vmcnt(0)
	buffer_inv sc1
.LBB3_483:                              ;   in Loop: Header=BB3_418 Depth=3
	s_or_b64 exec, exec, vcc
.LBB3_484:                              ;   in Loop: Header=BB3_418 Depth=3
	s_or_b64 exec, exec, s[24:25]
	v_cmp_ne_u32_e32 vcc, 0, v2
	s_xor_b64 s[24:25], s[6:7], -1
	s_and_b64 vcc, vcc, s[24:25]
	s_and_saveexec_b64 s[24:25], vcc
	s_cbranch_execz .LBB3_486
; %bb.485:                              ;   in Loop: Header=BB3_418 Depth=3
	flat_store_dword v[28:29], v56 sc0 sc1
.LBB3_486:                              ;   in Loop: Header=BB3_418 Depth=3
	s_or_b64 exec, exec, s[24:25]
	v_and_b32_e32 v2, 48, v62
	v_cmp_ne_u32_e32 vcc, 0, v2
	s_and_saveexec_b64 s[24:25], vcc
	s_cbranch_execz .LBB3_417
; %bb.487:                              ;   in Loop: Header=BB3_418 Depth=3
	v_lshl_add_u64 v[20:21], v[20:21], 0, 2
	flat_store_dwordx2 v[22:23], v[20:21] sc0 sc1
	s_branch .LBB3_417
.LBB3_488:                              ;   in Loop: Header=BB3_47 Depth=1
	v_accvgpr_read_b32 v10, a26
	v_accvgpr_read_b32 v11, a27
	v_mul_lo_u32 v2, v11, s70
	v_mul_lo_u32 v8, v10, s71
	v_mad_u64_u32 v[4:5], s[24:25], v10, s70, 0
	v_add3_u32 v5, v5, v8, v2
	v_accvgpr_read_b32 v8, a28
	v_accvgpr_read_b32 v9, a29
	v_sub_co_u32_e32 v8, vcc, v8, v4
	v_mov_b32_e32 v18, 0
	s_nop 0
	v_subb_co_u32_e32 v9, vcc, v9, v5, vcc
	v_cmp_lt_i64_e32 vcc, v[10:11], v[8:9]
	s_nop 1
	v_cndmask_b32_e32 v2, v8, v10, vcc
	v_max_i32_e32 v46, 0, v2
	v_add_u32_e32 v8, 31, v46
	v_ashrrev_i32_e32 v9, 31, v8
	v_lshrrev_b32_e32 v9, 27, v9
	v_add_u32_e32 v8, v8, v9
	v_ashrrev_i32_e32 v8, 5, v8
	v_lshlrev_b32_e32 v8, 4, v8
	v_cmp_lt_i32_e32 vcc, 0, v2
	v_max_i32_e32 v16, s76, v8
	s_and_b64 s[24:25], s[50:51], vcc
	v_mov_b32_e32 v2, 0
	s_and_saveexec_b64 s[52:53], s[24:25]
	s_cbranch_execz .LBB3_668
; %bb.489:                              ;   in Loop: Header=BB3_47 Depth=1
	v_accvgpr_read_b32 v8, a30
	v_accvgpr_read_b32 v9, a31
	v_lshl_add_u64 v[4:5], v[4:5], 0, v[8:9]
	v_lshlrev_b64 v[4:5], 1, v[4:5]
	v_accvgpr_write_b32 a35, v5
	s_mov_b32 s81, 1
	s_mov_b64 s[56:57], -1
	s_mov_b64 s[54:55], 0
	v_mov_b32_e32 v18, 0
	v_accvgpr_write_b32 a34, v4
	v_accvgpr_write_b32 a32, v46
	s_branch .LBB3_491
.LBB3_490:                              ;   in Loop: Header=BB3_491 Depth=2
	s_or_b64 exec, exec, s[24:25]
	v_add_u32_e32 v18, v16, v18
	v_cmp_ge_i32_e32 vcc, v18, v46
	s_xor_b64 s[24:25], s[56:57], -1
	s_or_b64 s[24:25], s[24:25], vcc
	s_and_b64 s[24:25], exec, s[24:25]
	s_or_b64 s[54:55], s[24:25], s[54:55]
	s_mov_b64 s[56:57], 0
	v_mov_b32_e32 v2, s81
	s_mov_b32 s81, 2
	s_andn2_b64 exec, exec, s[54:55]
	s_cbranch_execz .LBB3_741
.LBB3_491:                              ;   Parent Loop BB3_47 Depth=1
                                        ; =>  This Loop Header: Depth=2
                                        ;       Child Loop BB3_499 Depth 3
                                        ;       Child Loop BB3_525 Depth 3
	;; [unrolled: 1-line block ×4, first 2 shown]
                                        ;         Child Loop BB3_566 Depth 4
                                        ;       Child Loop BB3_572 Depth 3
                                        ;         Child Loop BB3_573 Depth 4
                                        ;       Child Loop BB3_582 Depth 3
                                        ;       Child Loop BB3_587 Depth 3
                                        ;         Child Loop BB3_588 Depth 4
                                        ;       Child Loop BB3_601 Depth 3
                                        ;       Child Loop BB3_606 Depth 3
	;; [unrolled: 1-line block ×6, first 2 shown]
	s_and_saveexec_b64 s[24:25], s[0:1]
	s_cbranch_execz .LBB3_493
; %bb.492:                              ;   in Loop: Header=BB3_491 Depth=2
	s_trap 2
	ds_read2_b64 v[8:11], v0 offset1:1
	ds_read_b64 v[4:5], v0
	v_accvgpr_read_b32 v30, a34
	v_ashrrev_i32_e32 v19, 31, v18
	v_accvgpr_read_b32 v31, a35
	v_lshlrev_b64 v[14:15], 1, v[18:19]
	s_waitcnt lgkmcnt(0)
	v_lshl_add_u64 v[8:9], v[8:9], 0, v[30:31]
	v_lshl_add_u64 v[8:9], v[8:9], 0, v[14:15]
	ds_write_b64 v0, v[8:9]
	v_lshl_add_u64 v[8:9], v[10:11], 0, v[30:31]
	v_lshl_add_u64 v[8:9], v[8:9], 0, v[14:15]
	ds_write_b64 v0, v[8:9]
	v_lshl_add_u64 v[8:9], v[4:5], 0, v[30:31]
	v_lshl_add_u64 v[8:9], v[8:9], 0, v[14:15]
	v_cmp_ne_u64_e32 vcc, 0, v[4:5]
	s_nop 1
	v_cndmask_b32_e32 v5, 0, v9, vcc
	v_cndmask_b32_e32 v4, 0, v8, vcc
	ds_write_b64 v0, v[4:5]
.LBB3_493:                              ;   in Loop: Header=BB3_491 Depth=2
	s_or_b64 exec, exec, s[24:25]
	v_and_b32_e32 v2, 12, v62
	v_cmp_ne_u32_e32 vcc, 0, v2
	s_mov_b64 s[26:27], -1
	s_and_saveexec_b64 s[24:25], vcc
	s_cbranch_execz .LBB3_505
; %bb.494:                              ;   in Loop: Header=BB3_491 Depth=2
	v_and_b32_e32 v2, 8, v62
	v_lshl_add_u64 v[8:9], v[32:33], 0, v[2:3]
	v_lshl_add_u64 v[4:5], v[20:21], 0, 2
	v_cmp_lt_u64_e32 vcc, v[8:9], v[4:5]
	v_mov_b32_e32 v8, 1
	s_and_saveexec_b64 s[26:27], vcc
	s_cbranch_execz .LBB3_504
; %bb.495:                              ;   in Loop: Header=BB3_491 Depth=2
	s_mov_b64 s[28:29], 0
	v_mov_b32_e32 v8, 0
                                        ; implicit-def: $sgpr58_sgpr59
	s_branch .LBB3_499
.LBB3_496:                              ;   in Loop: Header=BB3_499 Depth=3
	s_or_b64 exec, exec, s[66:67]
	v_mov_b32_e32 v9, 0
	s_orn2_b64 s[64:65], s[64:65], exec
.LBB3_497:                              ;   in Loop: Header=BB3_499 Depth=3
	s_or_b64 exec, exec, s[62:63]
	s_andn2_b64 vcc, s[58:59], exec
	s_and_b64 s[58:59], s[64:65], exec
	s_or_b64 s[58:59], vcc, s[58:59]
	v_mov_b32_e32 v8, v9
.LBB3_498:                              ;   in Loop: Header=BB3_499 Depth=3
	s_or_b64 exec, exec, s[60:61]
	s_waitcnt vmcnt(0) lgkmcnt(0)
	v_lshl_add_u64 v[10:11], v[32:33], 0, v[2:3]
	v_cmp_ge_u64_e32 vcc, v[10:11], v[4:5]
	s_xor_b64 s[60:61], s[58:59], -1
	s_or_b64 vcc, s[60:61], vcc
	s_and_b64 vcc, exec, vcc
	s_or_b64 s[28:29], vcc, s[28:29]
	s_andn2_b64 exec, exec, s[28:29]
	s_cbranch_execz .LBB3_503
.LBB3_499:                              ;   Parent Loop BB3_47 Depth=1
                                        ;     Parent Loop BB3_491 Depth=2
                                        ; =>    This Inner Loop Header: Depth=3
	s_sleep 1
	flat_load_dwordx2 v[32:33], v[22:23] sc0 sc1
	v_and_b32_e32 v9, 64, v62
	v_cmp_eq_u32_e32 vcc, 0, v9
	s_andn2_b64 s[58:59], s[58:59], exec
	s_and_saveexec_b64 s[60:61], vcc
	s_cbranch_execz .LBB3_498
; %bb.500:                              ;   in Loop: Header=BB3_499 Depth=3
	v_add_u32_e32 v9, 1, v8
	v_cmp_lt_i32_e32 vcc, s72, v8
	s_mov_b64 s[64:65], -1
	s_and_saveexec_b64 s[62:63], vcc
	s_cbranch_execz .LBB3_497
; %bb.501:                              ;   in Loop: Header=BB3_499 Depth=3
	s_trap 2
	ds_read_b64 v[8:9], v0
	s_waitcnt vmcnt(0) lgkmcnt(0)
	flat_load_dword v8, v[8:9] sc0 sc1
	s_waitcnt vmcnt(0) lgkmcnt(0)
	buffer_inv sc0 sc1
	v_cmp_ne_u32_e32 vcc, 0, v8
	s_and_saveexec_b64 s[66:67], vcc
	s_cbranch_execz .LBB3_496
; %bb.502:                              ;   in Loop: Header=BB3_499 Depth=3
	v_or_b32_e32 v62, 64, v62
	s_xor_b64 s[64:65], exec, -1
	ds_write_b32 v0, v8
	s_trap 2
	s_branch .LBB3_496
.LBB3_503:                              ;   in Loop: Header=BB3_491 Depth=2
	s_or_b64 exec, exec, s[28:29]
	v_and_b32_e32 v8, 12, v62
.LBB3_504:                              ;   in Loop: Header=BB3_491 Depth=2
	s_or_b64 exec, exec, s[26:27]
	v_cmp_eq_u32_e32 vcc, 0, v8
	s_orn2_b64 s[26:27], vcc, exec
	;;#ASMSTART
	s_wakeup
	;;#ASMEND
.LBB3_505:                              ;   in Loop: Header=BB3_491 Depth=2
	s_or_b64 exec, exec, s[24:25]
	v_sub_u32_e32 v2, v46, v18
	s_xor_b64 s[24:25], s[26:27], -1
	v_min_i32_e32 v16, v16, v2
	s_and_saveexec_b64 s[26:27], s[24:25]
	s_cbranch_execz .LBB3_517
; %bb.506:                              ;   in Loop: Header=BB3_491 Depth=2
	v_and_b32_e32 v2, 0x108, v62
	v_cmp_ne_u32_e32 vcc, s80, v2
	v_and_b32_e32 v2, 7, v20
	s_and_saveexec_b64 s[24:25], vcc
	s_xor_b64 s[24:25], exec, s[24:25]
	s_andn2_saveexec_b64 s[24:25], s[24:25]
	s_cbranch_execz .LBB3_508
; %bb.507:                              ;   in Loop: Header=BB3_491 Depth=2
	v_ashrrev_i32_e32 v17, 31, v16
	v_mad_u64_u32 v[4:5], s[28:29], v2, 24, v[6:7]
	v_lshlrev_b64 v[8:9], 1, v[16:17]
	flat_store_dwordx2 v[4:5], v[8:9] offset:8
.LBB3_508:                              ;   in Loop: Header=BB3_491 Depth=2
	s_or_b64 exec, exec, s[24:25]
	v_and_b32_e32 v4, 0x100, v62
	v_cmp_ne_u32_e32 vcc, 0, v4
	s_mov_b64 s[24:25], -1
                                        ; implicit-def: $vgpr4_vgpr5
	s_and_saveexec_b64 s[28:29], vcc
	s_cbranch_execz .LBB3_512
; %bb.509:                              ;   in Loop: Header=BB3_491 Depth=2
	v_mad_u64_u32 v[8:9], s[24:25], v2, 24, v[6:7]
	v_mov_b32_e32 v4, v9
	v_mad_u64_u32 v[4:5], s[24:25], v3, 24, v[4:5]
	v_mov_b32_e32 v9, v4
	flat_load_dword v4, v[8:9]
	s_waitcnt vmcnt(0) lgkmcnt(0)
	v_cmp_ne_u32_e32 vcc, 1, v4
	v_cmp_eq_u32_e64 s[24:25], 1, v4
                                        ; implicit-def: $vgpr4_vgpr5
	s_and_saveexec_b64 s[58:59], s[24:25]
	s_cbranch_execz .LBB3_511
; %bb.510:                              ;   in Loop: Header=BB3_491 Depth=2
	flat_load_dword v4, v[8:9] offset:4 sc0 sc1
	s_waitcnt vmcnt(0) lgkmcnt(0)
	v_ashrrev_i32_e32 v5, 31, v4
	v_lshrrev_b64 v[4:5], 1, v[4:5]
.LBB3_511:                              ;   in Loop: Header=BB3_491 Depth=2
	s_or_b64 exec, exec, s[58:59]
	s_orn2_b64 s[24:25], vcc, exec
.LBB3_512:                              ;   in Loop: Header=BB3_491 Depth=2
	s_or_b64 exec, exec, s[28:29]
	s_and_saveexec_b64 s[28:29], s[24:25]
; %bb.513:                              ;   in Loop: Header=BB3_491 Depth=2
	v_mul_lo_u32 v8, v3, v24
	v_mul_lo_u32 v9, v2, v57
	v_mad_u64_u32 v[4:5], s[24:25], v2, v24, 0
	v_add3_u32 v5, v5, v9, v8
; %bb.514:                              ;   in Loop: Header=BB3_491 Depth=2
	s_or_b64 exec, exec, s[28:29]
	v_and_b32_e32 v2, 0x2000, v62
	v_lshl_add_u64 v[4:5], v[4:5], 1, v[26:27]
	v_cmp_ne_u32_e32 vcc, 0, v2
	s_trap 2
	ds_write_b64 v0, v[4:5]
	s_and_saveexec_b64 s[24:25], vcc
	s_cbranch_execz .LBB3_516
; %bb.515:                              ;   in Loop: Header=BB3_491 Depth=2
	ds_read_b64 v[4:5], v0 offset:584
	s_waitcnt lgkmcnt(0)
	v_lshl_add_u64 v[4:5], v[4:5], 0, 1
	ds_write_b64 v0, v[4:5] offset:584
.LBB3_516:                              ;   in Loop: Header=BB3_491 Depth=2
	s_or_b64 exec, exec, s[24:25]
	v_lshl_add_u64 v[20:21], v[20:21], 0, 2
.LBB3_517:                              ;   in Loop: Header=BB3_491 Depth=2
	s_or_b64 exec, exec, s[26:27]
	s_and_saveexec_b64 s[24:25], s[4:5]
	s_cbranch_execz .LBB3_536
; %bb.518:                              ;   in Loop: Header=BB3_491 Depth=2
	s_and_saveexec_b64 s[26:27], s[38:39]
	s_xor_b64 s[26:27], exec, s[26:27]
	s_cbranch_execz .LBB3_533
; %bb.519:                              ;   in Loop: Header=BB3_491 Depth=2
	s_and_saveexec_b64 s[28:29], s[12:13]
	s_cbranch_execz .LBB3_532
; %bb.520:                              ;   in Loop: Header=BB3_491 Depth=2
	s_mov_b64 s[60:61], exec
	v_mbcnt_lo_u32_b32 v2, s60, 0
	v_mbcnt_hi_u32_b32 v2, s61, v2
	v_cmp_eq_u32_e32 vcc, 0, v2
	s_waitcnt lgkmcnt(0)
	s_and_saveexec_b64 s[58:59], vcc
	s_cbranch_execz .LBB3_522
; %bb.521:                              ;   in Loop: Header=BB3_491 Depth=2
	s_bcnt1_i32_b64 vcc_lo, s[60:61]
	v_mov_b32_e32 v2, vcc_lo
	ds_add_u64 v0, v[2:3]
	s_trap 2
.LBB3_522:                              ;   in Loop: Header=BB3_491 Depth=2
	s_or_b64 exec, exec, s[58:59]
	s_trap 2
	ds_read_b64 v[4:5], v0
	v_lshl_add_u64 v[12:13], v[12:13], 0, v[34:35]
	s_waitcnt lgkmcnt(0)
	v_cmp_lt_u64_e32 vcc, v[4:5], v[12:13]
	s_and_saveexec_b64 s[58:59], vcc
	s_cbranch_execz .LBB3_531
; %bb.523:                              ;   in Loop: Header=BB3_491 Depth=2
	s_mov_b32 s82, 0
	s_mov_b64 s[60:61], 0
                                        ; implicit-def: $sgpr62_sgpr63
                                        ; implicit-def: $sgpr64_sgpr65
	s_branch .LBB3_525
.LBB3_524:                              ;   in Loop: Header=BB3_525 Depth=3
	s_or_b64 exec, exec, s[68:69]
	s_and_b64 vcc, exec, vcc
	s_or_b64 s[60:61], vcc, s[60:61]
	s_andn2_b64 vcc, s[62:63], exec
	s_and_b64 s[62:63], s[64:65], exec
	s_or_b64 s[62:63], vcc, s[62:63]
	s_andn2_b64 exec, exec, s[60:61]
	s_cbranch_execz .LBB3_529
.LBB3_525:                              ;   Parent Loop BB3_47 Depth=1
                                        ;     Parent Loop BB3_491 Depth=2
                                        ; =>    This Inner Loop Header: Depth=3
	s_add_i32 s82, s82, 1
	s_cmpk_lg_i32 s82, 0x2710
	s_cselect_b64 s[66:67], -1, 0
	s_and_b64 vcc, exec, s[66:67]
                                        ; implicit-def: $sgpr68_sgpr69
	s_cbranch_vccnz .LBB3_527
; %bb.526:                              ;   in Loop: Header=BB3_525 Depth=3
	s_trap 2
	ds_read_b64 v[4:5], v0
	s_andn2_b64 s[66:67], s[66:67], exec
	s_mov_b32 s82, 0
	s_mov_b64 s[68:69], -1
	s_waitcnt vmcnt(0) lgkmcnt(0)
	flat_load_dword v2, v[4:5] sc0 sc1
	s_waitcnt vmcnt(0) lgkmcnt(0)
	buffer_inv sc0 sc1
	v_cmp_eq_u32_e32 vcc, 0, v2
	s_and_b64 vcc, vcc, exec
	s_or_b64 s[66:67], s[66:67], vcc
.LBB3_527:                              ;   in Loop: Header=BB3_525 Depth=3
	s_andn2_b64 s[64:65], s[64:65], exec
	s_and_b64 s[68:69], s[68:69], exec
	s_mov_b64 vcc, -1
	s_or_b64 s[64:65], s[64:65], s[68:69]
	s_and_saveexec_b64 s[68:69], s[66:67]
	s_cbranch_execz .LBB3_524
; %bb.528:                              ;   in Loop: Header=BB3_525 Depth=3
	s_sleep 1
	s_trap 2
	ds_read_b64 v[4:5], v0
	s_andn2_b64 s[64:65], s[64:65], exec
	s_waitcnt lgkmcnt(0)
	v_cmp_ge_u64_e32 vcc, v[4:5], v[12:13]
	s_orn2_b64 vcc, vcc, exec
	s_branch .LBB3_524
.LBB3_529:                              ;   in Loop: Header=BB3_491 Depth=2
	s_or_b64 exec, exec, s[60:61]
	s_and_saveexec_b64 vcc, s[62:63]
	s_xor_b64 vcc, exec, vcc
	s_cbranch_execz .LBB3_531
; %bb.530:                              ;   in Loop: Header=BB3_491 Depth=2
	ds_write_b32 v0, v56
	s_trap 2
.LBB3_531:                              ;   in Loop: Header=BB3_491 Depth=2
	s_or_b64 exec, exec, s[58:59]
	;;#ASMSTART
	s_wakeup
	;;#ASMEND
.LBB3_532:                              ;   in Loop: Header=BB3_491 Depth=2
	s_or_b64 exec, exec, s[28:29]
.LBB3_533:                              ;   in Loop: Header=BB3_491 Depth=2
	s_andn2_saveexec_b64 s[26:27], s[26:27]
	s_cbranch_execz .LBB3_535
; %bb.534:                              ;   in Loop: Header=BB3_491 Depth=2
	s_waitcnt lgkmcnt(0)
	s_barrier
.LBB3_535:                              ;   in Loop: Header=BB3_491 Depth=2
	s_or_b64 exec, exec, s[26:27]
.LBB3_536:                              ;   in Loop: Header=BB3_491 Depth=2
	s_or_b64 exec, exec, s[24:25]
	s_trap 2
	ds_read_b32 v4, v0
	v_and_b32_e32 v2, 0x4000, v62
	v_cmp_ne_u32_e32 vcc, 0, v2
	s_xor_b64 s[24:25], s[2:3], -1
	s_and_b64 s[26:27], s[24:25], vcc
	s_and_saveexec_b64 s[24:25], s[26:27]
	s_cbranch_execz .LBB3_555
; %bb.537:                              ;   in Loop: Header=BB3_491 Depth=2
	s_and_saveexec_b64 s[26:27], s[38:39]
	s_xor_b64 s[26:27], exec, s[26:27]
	s_cbranch_execz .LBB3_552
; %bb.538:                              ;   in Loop: Header=BB3_491 Depth=2
	s_and_saveexec_b64 s[28:29], s[12:13]
	s_cbranch_execz .LBB3_551
; %bb.539:                              ;   in Loop: Header=BB3_491 Depth=2
	s_mov_b64 s[60:61], exec
	v_mbcnt_lo_u32_b32 v2, s60, 0
	v_mbcnt_hi_u32_b32 v2, s61, v2
	v_cmp_eq_u32_e32 vcc, 0, v2
	s_waitcnt lgkmcnt(0)
	s_and_saveexec_b64 s[58:59], vcc
	s_cbranch_execz .LBB3_541
; %bb.540:                              ;   in Loop: Header=BB3_491 Depth=2
	s_bcnt1_i32_b64 vcc_lo, s[60:61]
	v_mov_b32_e32 v2, vcc_lo
	ds_add_u64 v0, v[2:3]
	s_trap 2
.LBB3_541:                              ;   in Loop: Header=BB3_491 Depth=2
	s_or_b64 exec, exec, s[58:59]
	s_trap 2
	ds_read_b64 v[8:9], v0
	v_lshl_add_u64 v[12:13], v[12:13], 0, v[34:35]
	s_waitcnt lgkmcnt(0)
	v_cmp_lt_u64_e32 vcc, v[8:9], v[12:13]
	s_and_saveexec_b64 s[58:59], vcc
	s_cbranch_execz .LBB3_550
; %bb.542:                              ;   in Loop: Header=BB3_491 Depth=2
	s_mov_b32 s82, 0
	s_mov_b64 s[60:61], 0
                                        ; implicit-def: $sgpr62_sgpr63
                                        ; implicit-def: $sgpr64_sgpr65
	s_branch .LBB3_544
.LBB3_543:                              ;   in Loop: Header=BB3_544 Depth=3
	s_or_b64 exec, exec, s[68:69]
	s_and_b64 vcc, exec, vcc
	s_or_b64 s[60:61], vcc, s[60:61]
	s_andn2_b64 vcc, s[62:63], exec
	s_and_b64 s[62:63], s[64:65], exec
	s_or_b64 s[62:63], vcc, s[62:63]
	s_andn2_b64 exec, exec, s[60:61]
	s_cbranch_execz .LBB3_548
.LBB3_544:                              ;   Parent Loop BB3_47 Depth=1
                                        ;     Parent Loop BB3_491 Depth=2
                                        ; =>    This Inner Loop Header: Depth=3
	s_add_i32 s82, s82, 1
	s_cmpk_lg_i32 s82, 0x2710
	s_cselect_b64 s[66:67], -1, 0
	s_and_b64 vcc, exec, s[66:67]
                                        ; implicit-def: $sgpr68_sgpr69
	s_cbranch_vccnz .LBB3_546
; %bb.545:                              ;   in Loop: Header=BB3_544 Depth=3
	s_trap 2
	ds_read_b64 v[8:9], v0
	s_andn2_b64 s[66:67], s[66:67], exec
	s_mov_b32 s82, 0
	s_mov_b64 s[68:69], -1
	s_waitcnt vmcnt(0) lgkmcnt(0)
	flat_load_dword v2, v[8:9] sc0 sc1
	s_waitcnt vmcnt(0) lgkmcnt(0)
	buffer_inv sc0 sc1
	v_cmp_eq_u32_e32 vcc, 0, v2
	s_and_b64 vcc, vcc, exec
	s_or_b64 s[66:67], s[66:67], vcc
.LBB3_546:                              ;   in Loop: Header=BB3_544 Depth=3
	s_andn2_b64 s[64:65], s[64:65], exec
	s_and_b64 s[68:69], s[68:69], exec
	s_mov_b64 vcc, -1
	s_or_b64 s[64:65], s[64:65], s[68:69]
	s_and_saveexec_b64 s[68:69], s[66:67]
	s_cbranch_execz .LBB3_543
; %bb.547:                              ;   in Loop: Header=BB3_544 Depth=3
	s_sleep 1
	s_trap 2
	ds_read_b64 v[8:9], v0
	s_andn2_b64 s[64:65], s[64:65], exec
	s_waitcnt lgkmcnt(0)
	v_cmp_ge_u64_e32 vcc, v[8:9], v[12:13]
	s_orn2_b64 vcc, vcc, exec
	s_branch .LBB3_543
.LBB3_548:                              ;   in Loop: Header=BB3_491 Depth=2
	s_or_b64 exec, exec, s[60:61]
	s_and_saveexec_b64 vcc, s[62:63]
	s_xor_b64 vcc, exec, vcc
	s_cbranch_execz .LBB3_550
; %bb.549:                              ;   in Loop: Header=BB3_491 Depth=2
	ds_write_b32 v0, v56
	s_trap 2
.LBB3_550:                              ;   in Loop: Header=BB3_491 Depth=2
	s_or_b64 exec, exec, s[58:59]
	;;#ASMSTART
	s_wakeup
	;;#ASMEND
.LBB3_551:                              ;   in Loop: Header=BB3_491 Depth=2
	s_or_b64 exec, exec, s[28:29]
.LBB3_552:                              ;   in Loop: Header=BB3_491 Depth=2
	s_andn2_saveexec_b64 s[26:27], s[26:27]
	s_cbranch_execz .LBB3_554
; %bb.553:                              ;   in Loop: Header=BB3_491 Depth=2
	s_waitcnt lgkmcnt(0)
	s_barrier
.LBB3_554:                              ;   in Loop: Header=BB3_491 Depth=2
	s_or_b64 exec, exec, s[26:27]
.LBB3_555:                              ;   in Loop: Header=BB3_491 Depth=2
	s_or_b64 exec, exec, s[24:25]
	s_trap 2
	ds_read_b64 v[8:9], v0
	v_mov_b32_e32 v17, 0
	s_waitcnt lgkmcnt(0)
	v_readfirstlane_b32 s24, v8
	v_readfirstlane_b32 s25, v9
	s_cmp_eq_u64 s[24:25], 0
	s_cselect_b64 s[24:25], -1, 0
	s_or_b64 s[24:25], s[24:25], s[24:25]
	s_and_b64 vcc, exec, s[24:25]
	s_cbranch_vccnz .LBB3_622
; %bb.556:                              ;   in Loop: Header=BB3_491 Depth=2
	s_trap 2
	ds_read_b64 v[8:9], v0
	v_cmp_eq_u32_e32 vcc, 0, v4
	s_mov_b64 s[24:25], -1
	s_nop 0
	v_cndmask_b32_e32 v17, 0, v16, vcc
	s_waitcnt lgkmcnt(0)
	v_cmp_ne_u64_e32 vcc, 0, v[8:9]
	v_lshlrev_b32_e32 v2, 1, v17
	s_cbranch_vccz .LBB3_592
; %bb.557:                              ;   in Loop: Header=BB3_491 Depth=2
	s_and_saveexec_b64 s[26:27], s[18:19]
	s_cbranch_execz .LBB3_559
; %bb.558:                              ;   in Loop: Header=BB3_491 Depth=2
	ds_read_b32 v4, v0 offset:720
	s_waitcnt lgkmcnt(0)
	v_and_b32_e32 v4, 15, v4
	v_cmp_eq_u32_e32 vcc, 0, v4
	s_orn2_b64 s[24:25], vcc, exec
.LBB3_559:                              ;   in Loop: Header=BB3_491 Depth=2
	s_or_b64 exec, exec, s[26:27]
	s_and_saveexec_b64 s[26:27], s[18:19]
	s_cbranch_execz .LBB3_561
; %bb.560:                              ;   in Loop: Header=BB3_491 Depth=2
	ds_read_b32 v4, v0 offset:784
	s_waitcnt lgkmcnt(0)
	v_and_b32_e32 v4, 15, v4
	v_cmp_eq_u32_e32 vcc, 0, v4
	s_and_b64 s[28:29], s[24:25], vcc
	s_andn2_b64 s[24:25], s[24:25], exec
	s_and_b64 s[28:29], s[28:29], exec
	s_or_b64 s[24:25], s[24:25], s[28:29]
.LBB3_561:                              ;   in Loop: Header=BB3_491 Depth=2
	s_or_b64 exec, exec, s[26:27]
	s_xor_b64 s[24:25], s[24:25], -1
	v_cndmask_b32_e64 v4, 0, 1, s[24:25]
	;;#ASMSTART
	;;#ASMEND
	s_mov_b64 s[26:27], -1
	v_cmp_ne_u32_e32 vcc, 0, v4
	v_mov_b32_e32 v19, 0
	v_mov_b32_e32 v48, v2
	v_mov_b32_e32 v37, v60
	v_mov_b32_e32 v4, v61
	s_cbranch_vccz .LBB3_563
; %bb.562:                              ;   in Loop: Header=BB3_491 Depth=2
	s_and_saveexec_b64 s[28:29], s[26:27]
	s_cbranch_execnz .LBB3_580
	s_branch .LBB3_591
.LBB3_563:                              ;   in Loop: Header=BB3_491 Depth=2
	v_accvgpr_read_b32 v4, a14
	v_sub_u32_e32 v19, v2, v4
	v_ashrrev_i32_e32 v4, 31, v2
	v_lshrrev_b32_e32 v4, 22, v4
	v_add_u32_e32 v4, v2, v4
	v_and_b32_e32 v31, 0xfffffc00, v4
	v_accvgpr_read_b32 v5, a15
	v_sub_u32_e32 v25, v2, v31
	v_ashrrev_i32_e32 v5, 10, v4
	v_cmp_lt_i32_e64 s[24:25], 15, v25
	v_accvgpr_read_b32 v4, a23
	s_nop 0
	v_addc_co_u32_e64 v36, vcc, v5, v4, s[24:25]
	v_cmp_lt_i32_e32 vcc, 15, v19
	s_and_saveexec_b64 s[58:59], vcc
	s_cbranch_execz .LBB3_569
; %bb.564:                              ;   in Loop: Header=BB3_491 Depth=2
	s_trap 2
	ds_read_b128 v[8:11], v0
	v_accvgpr_read_b32 v4, a14
	v_accvgpr_read_b32 v5, a15
	s_mov_b64 s[60:61], 0
	s_waitcnt lgkmcnt(0)
	v_lshl_add_u64 v[14:15], v[8:9], 0, v[4:5]
	v_lshl_add_u64 v[48:49], v[10:11], 0, v[4:5]
	v_mov_b64_e32 v[4:5], v[14:15]
	v_mov_b64_e32 v[46:47], v[48:49]
.LBB3_565:                              ;   Parent Loop BB3_47 Depth=1
                                        ;     Parent Loop BB3_491 Depth=2
                                        ; =>    This Loop Header: Depth=3
                                        ;         Child Loop BB3_566 Depth 4
	global_load_dwordx4 v[8:11], v[4:5], off nt
	global_load_dwordx4 v[56:59], v[46:47], off nt
	s_mov_b64 s[64:65], -1
	s_mov_b64 s[62:63], 0
	s_waitcnt vmcnt(0)
	v_mul_f16_e32 v30, v8, v56
	v_mul_f16_sdwa v8, v8, v56 dst_sel:WORD_1 dst_unused:UNUSED_PAD src0_sel:WORD_1 src1_sel:WORD_1
	v_mul_f16_e32 v37, v9, v57
	v_mul_f16_sdwa v9, v9, v57 dst_sel:WORD_1 dst_unused:UNUSED_PAD src0_sel:WORD_1 src1_sel:WORD_1
	;; [unrolled: 2-line block ×4, first 2 shown]
	v_or_b32_e32 v9, v9, v37
	v_or_b32_e32 v8, v8, v30
	;; [unrolled: 1-line block ×4, first 2 shown]
.LBB3_566:                              ;   Parent Loop BB3_47 Depth=1
                                        ;     Parent Loop BB3_491 Depth=2
                                        ;       Parent Loop BB3_565 Depth=3
                                        ; =>      This Inner Loop Header: Depth=4
	s_cmp_eq_u32 s62, 0
	s_cselect_b64 s[26:27], -1, 0
	s_cmp_eq_u32 s62, 1
	s_cselect_b64 s[28:29], -1, 0
	v_cndmask_b32_e64 v30, 0, 1, s[64:65]
	v_cndmask_b32_e64 v53, v15, v49, s[28:29]
	;; [unrolled: 1-line block ×3, first 2 shown]
	v_cmp_ne_u32_e32 vcc, 1, v30
	global_store_dwordx4 v[52:53], v[8:11], off nt
	v_lshl_add_u64 v[52:53], v[52:53], 0, s[40:41]
	s_mov_b64 s[64:65], 0
	s_mov_b64 s[62:63], 1
	s_and_b64 vcc, exec, vcc
	v_cndmask_b32_e64 v49, v49, v53, s[28:29]
	v_cndmask_b32_e64 v48, v48, v52, s[28:29]
	;; [unrolled: 1-line block ×4, first 2 shown]
	s_cbranch_vccz .LBB3_566
; %bb.567:                              ;   in Loop: Header=BB3_565 Depth=3
	v_sub_u32_e32 v19, v19, v38
	v_cmp_gt_i32_e32 vcc, 16, v19
	v_lshl_add_u64 v[4:5], v[4:5], 0, v[42:43]
	v_lshl_add_u64 v[46:47], v[46:47], 0, v[42:43]
	v_lshl_add_u64 v[14:15], v[14:15], 0, v[50:51]
	v_lshl_add_u64 v[48:49], v[48:49], 0, v[50:51]
	s_or_b64 s[60:61], vcc, s[60:61]
	v_sub_u32_e32 v36, v36, v34
	s_andn2_b64 exec, exec, s[60:61]
	s_cbranch_execnz .LBB3_565
; %bb.568:                              ;   in Loop: Header=BB3_491 Depth=2
	s_or_b64 exec, exec, s[60:61]
	v_accvgpr_read_b32 v59, a19
	v_accvgpr_read_b32 v57, a13
	;; [unrolled: 1-line block ×3, first 2 shown]
	v_mov_b32_e32 v56, 1
	v_accvgpr_read_b32 v46, a32
.LBB3_569:                              ;   in Loop: Header=BB3_491 Depth=2
	s_or_b64 exec, exec, s[58:59]
	v_and_b32_e32 v5, 14, v2
	v_cndmask_b32_e64 v30, v25, v5, s[24:25]
	v_cmp_ne_u32_e32 vcc, 0, v30
	s_mov_b64 s[26:27], 0
	v_mov_b32_e32 v19, 0
                                        ; implicit-def: $vgpr48
                                        ; implicit-def: $vgpr37
                                        ; implicit-def: $vgpr4
	s_and_saveexec_b64 s[58:59], vcc
	s_cbranch_execz .LBB3_579
; %bb.570:                              ;   in Loop: Header=BB3_491 Depth=2
	v_sub_u32_e32 v4, v25, v5
	v_cndmask_b32_e64 v4, 0, v4, s[24:25]
	v_cmp_lt_i32_e32 vcc, 0, v36
	v_add_u32_e32 v14, v4, v31
	v_accvgpr_read_b32 v5, a22
	v_cndmask_b32_e32 v4, 0, v34, vcc
	v_sub_u32_e32 v4, v4, v36
	v_lshl_add_u32 v4, v4, 6, v5
	v_ashrrev_i32_e32 v5, 31, v4
	v_lshrrev_b32_e32 v5, 26, v5
	v_add_u32_e32 v5, v4, v5
	v_ashrrev_i32_e32 v8, 6, v5
	v_and_b32_e32 v5, 0xffffffc0, v5
	v_sub_u32_e32 v10, v4, v5
	v_ashrrev_i32_e32 v5, 31, v30
	v_lshrrev_b32_e32 v5, 22, v5
	v_add_u32_e32 v5, v30, v5
	v_and_b32_e32 v11, 0xfffffc00, v5
	v_lshlrev_b32_e32 v4, 4, v10
	v_sub_u32_e32 v36, v30, v11
	v_lshl_add_u32 v4, v8, 10, v4
	v_ashrrev_i32_e32 v9, 10, v5
	v_cmp_lt_i32_e64 s[24:25], 15, v36
	v_sub_u32_e32 v19, v30, v4
	s_nop 0
	v_addc_co_u32_e64 v5, vcc, 0, v9, s[24:25]
	v_sub_u32_e32 v31, v5, v8
	v_cmp_lt_i32_e32 vcc, 15, v19
	s_and_saveexec_b64 s[60:61], vcc
	s_cbranch_execz .LBB3_576
; %bb.571:                              ;   in Loop: Header=BB3_491 Depth=2
	v_accvgpr_write_b32 a37, v11
	v_accvgpr_write_b32 a36, v10
	s_trap 2
	ds_read_b128 v[8:11], v0
	v_add_u32_e32 v4, v4, v14
	v_ashrrev_i32_e32 v5, 31, v4
	v_accvgpr_write_b32 a33, v14
	s_mov_b64 s[62:63], 0
	s_waitcnt lgkmcnt(0)
	v_lshl_add_u64 v[14:15], v[8:9], 0, v[4:5]
	v_lshl_add_u64 v[48:49], v[10:11], 0, v[4:5]
	v_mov_b64_e32 v[4:5], v[14:15]
	v_mov_b64_e32 v[46:47], v[48:49]
.LBB3_572:                              ;   Parent Loop BB3_47 Depth=1
                                        ;     Parent Loop BB3_491 Depth=2
                                        ; =>    This Loop Header: Depth=3
                                        ;         Child Loop BB3_573 Depth 4
	global_load_dwordx4 v[8:11], v[4:5], off nt
	global_load_dwordx4 v[56:59], v[46:47], off nt
	s_mov_b64 s[66:67], -1
	s_mov_b64 s[64:65], 0
	s_waitcnt vmcnt(0)
	v_mul_f16_e32 v25, v8, v56
	v_mul_f16_sdwa v8, v8, v56 dst_sel:WORD_1 dst_unused:UNUSED_PAD src0_sel:WORD_1 src1_sel:WORD_1
	v_mul_f16_e32 v37, v9, v57
	v_mul_f16_sdwa v9, v9, v57 dst_sel:WORD_1 dst_unused:UNUSED_PAD src0_sel:WORD_1 src1_sel:WORD_1
	v_mul_f16_e32 v52, v10, v58
	v_mul_f16_sdwa v10, v10, v58 dst_sel:WORD_1 dst_unused:UNUSED_PAD src0_sel:WORD_1 src1_sel:WORD_1
	v_mul_f16_e32 v53, v11, v59
	v_mul_f16_sdwa v11, v11, v59 dst_sel:WORD_1 dst_unused:UNUSED_PAD src0_sel:WORD_1 src1_sel:WORD_1
	v_or_b32_e32 v9, v9, v37
	v_or_b32_e32 v8, v8, v25
	;; [unrolled: 1-line block ×4, first 2 shown]
.LBB3_573:                              ;   Parent Loop BB3_47 Depth=1
                                        ;     Parent Loop BB3_491 Depth=2
                                        ;       Parent Loop BB3_572 Depth=3
                                        ; =>      This Inner Loop Header: Depth=4
	s_cmp_eq_u32 s64, 0
	s_cselect_b64 s[26:27], -1, 0
	s_cmp_eq_u32 s64, 1
	s_cselect_b64 s[28:29], -1, 0
	v_cndmask_b32_e64 v25, 0, 1, s[66:67]
	v_cndmask_b32_e64 v53, v15, v49, s[28:29]
	;; [unrolled: 1-line block ×3, first 2 shown]
	v_cmp_ne_u32_e32 vcc, 1, v25
	global_store_dwordx4 v[52:53], v[8:11], off nt
	v_lshl_add_u64 v[52:53], v[52:53], 0, s[40:41]
	s_mov_b64 s[66:67], 0
	s_mov_b64 s[64:65], 1
	s_and_b64 vcc, exec, vcc
	v_cndmask_b32_e64 v49, v49, v53, s[28:29]
	v_cndmask_b32_e64 v48, v48, v52, s[28:29]
	;; [unrolled: 1-line block ×4, first 2 shown]
	s_cbranch_vccz .LBB3_573
; %bb.574:                              ;   in Loop: Header=BB3_572 Depth=3
	v_sub_u32_e32 v19, v19, v38
	v_cmp_gt_i32_e32 vcc, 16, v19
	v_lshl_add_u64 v[4:5], v[4:5], 0, v[42:43]
	v_lshl_add_u64 v[46:47], v[46:47], 0, v[42:43]
	;; [unrolled: 1-line block ×4, first 2 shown]
	s_or_b64 s[62:63], vcc, s[62:63]
	v_sub_u32_e32 v31, v31, v34
	s_andn2_b64 exec, exec, s[62:63]
	s_cbranch_execnz .LBB3_572
; %bb.575:                              ;   in Loop: Header=BB3_491 Depth=2
	s_or_b64 exec, exec, s[62:63]
	v_accvgpr_read_b32 v59, a19
	v_accvgpr_read_b32 v57, a13
	;; [unrolled: 1-line block ×3, first 2 shown]
	v_mov_b32_e32 v56, 1
	v_accvgpr_read_b32 v46, a32
	v_accvgpr_read_b32 v14, a33
	;; [unrolled: 1-line block ×4, first 2 shown]
.LBB3_576:                              ;   in Loop: Header=BB3_491 Depth=2
	s_or_b64 exec, exec, s[60:61]
	v_and_b32_e32 v5, 14, v30
	v_cndmask_b32_e64 v48, v36, v5, s[24:25]
	v_cmp_ne_u32_e32 vcc, 0, v48
	s_mov_b64 s[26:27], 0
	v_mov_b32_e32 v19, 0
                                        ; implicit-def: $vgpr37
                                        ; implicit-def: $vgpr4
	s_and_saveexec_b64 s[28:29], vcc
	s_cbranch_execz .LBB3_578
; %bb.577:                              ;   in Loop: Header=BB3_491 Depth=2
	v_sub_u32_e32 v4, v36, v5
	v_cndmask_b32_e64 v4, 0, v4, s[24:25]
	v_cmp_lt_i32_e32 vcc, 0, v31
	v_add3_u32 v19, v11, v14, v4
	s_mov_b64 s[26:27], exec
	v_cndmask_b32_e32 v4, 0, v34, vcc
	v_sub_u32_e32 v4, v4, v31
	v_lshl_add_u32 v37, v4, 6, v10
	v_ashrrev_i32_e32 v4, 31, v37
	v_lshrrev_b32_e32 v4, 26, v4
	v_add_u32_e32 v4, v37, v4
	v_ashrrev_i32_e32 v4, 6, v4
.LBB3_578:                              ;   in Loop: Header=BB3_491 Depth=2
	s_or_b64 exec, exec, s[28:29]
	s_and_b64 s[26:27], s[26:27], exec
.LBB3_579:                              ;   in Loop: Header=BB3_491 Depth=2
	s_or_b64 exec, exec, s[58:59]
	s_and_saveexec_b64 s[28:29], s[26:27]
	s_cbranch_execz .LBB3_591
.LBB3_580:                              ;   in Loop: Header=BB3_491 Depth=2
	v_ashrrev_i32_e32 v5, 31, v48
	v_lshrrev_b32_e32 v5, 23, v5
	v_add_u32_e32 v5, v48, v5
	v_ashrrev_i32_e32 v31, 9, v5
	v_sub_u32_e32 v25, v31, v4
	v_ashrrev_i32_e32 v5, 31, v37
	v_cmp_lt_i32_e32 vcc, 0, v25
	v_lshrrev_b32_e32 v30, 26, v5
	s_and_saveexec_b64 s[24:25], vcc
	s_cbranch_execz .LBB3_584
; %bb.581:                              ;   in Loop: Header=BB3_491 Depth=2
	v_add_u32_e32 v5, v37, v30
	s_trap 2
	v_and_b32_e32 v5, 0x7fffffc0, v5
	ds_read_b128 v[8:11], v0
	v_sub_u32_e32 v5, v37, v5
	v_lshlrev_b32_e32 v5, 1, v5
	v_lshlrev_b32_e32 v4, 9, v4
	v_add3_u32 v14, v5, v19, v4
	v_ashrrev_i32_e32 v15, 31, v14
	s_waitcnt lgkmcnt(0)
	v_lshl_add_u64 v[4:5], v[8:9], 0, v[14:15]
	v_lshl_add_u64 v[8:9], v[10:11], 0, v[14:15]
	s_mov_b64 s[26:27], 0
	v_mov_b64_e32 v[10:11], v[4:5]
	v_mov_b64_e32 v[14:15], v[8:9]
.LBB3_582:                              ;   Parent Loop BB3_47 Depth=1
                                        ;     Parent Loop BB3_491 Depth=2
                                        ; =>    This Inner Loop Header: Depth=3
	flat_load_ushort v36, v[4:5] nt
	flat_load_ushort v49, v[4:5] offset:128 nt
	flat_load_ushort v52, v[4:5] offset:256 nt
	;; [unrolled: 1-line block ×3, first 2 shown]
	flat_load_ushort v54, v[8:9] nt
	flat_load_ushort v55, v[8:9] offset:128 nt
	flat_load_ushort v46, v[8:9] offset:256 nt
	;; [unrolled: 1-line block ×3, first 2 shown]
	v_sub_u32_e32 v25, v25, v34
	v_cmp_gt_i32_e32 vcc, 1, v25
	v_lshl_add_u64 v[4:5], v[4:5], 0, v[40:41]
	v_lshl_add_u64 v[8:9], v[8:9], 0, v[40:41]
	s_or_b64 s[26:27], vcc, s[26:27]
	s_waitcnt vmcnt(0) lgkmcnt(0)
	v_mul_f16_e32 v36, v36, v54
	v_mul_f16_e32 v49, v49, v55
	;; [unrolled: 1-line block ×4, first 2 shown]
	flat_store_short v[10:11], v36 nt
	flat_store_short v[10:11], v49 offset:128 nt
	flat_store_short v[10:11], v52 offset:256 nt
	;; [unrolled: 1-line block ×3, first 2 shown]
	flat_store_short v[14:15], v36 nt
	flat_store_short v[14:15], v49 offset:128 nt
	flat_store_short v[14:15], v52 offset:256 nt
	flat_store_short v[14:15], v53 offset:384 nt
	v_lshl_add_u64 v[10:11], v[10:11], 0, v[40:41]
	v_lshl_add_u64 v[14:15], v[14:15], 0, v[40:41]
	s_andn2_b64 exec, exec, s[26:27]
	s_cbranch_execnz .LBB3_582
; %bb.583:                              ;   in Loop: Header=BB3_491 Depth=2
	s_or_b64 exec, exec, s[26:27]
	v_accvgpr_read_b32 v55, a21
	v_accvgpr_read_b32 v54, a20
	;; [unrolled: 1-line block ×3, first 2 shown]
.LBB3_584:                              ;   in Loop: Header=BB3_491 Depth=2
	s_or_b64 exec, exec, s[24:25]
	v_lshlrev_b32_e32 v4, 9, v31
	v_cmp_ne_u32_e32 vcc, v48, v4
	s_and_saveexec_b64 s[58:59], vcc
	s_cbranch_execz .LBB3_590
; %bb.585:                              ;   in Loop: Header=BB3_491 Depth=2
	v_add_u32_e32 v5, v37, v30
	v_and_b32_e32 v5, 0xffffffc0, v5
	v_sub_u32_e32 v5, v37, v5
	v_lshlrev_b32_e32 v8, 6, v25
	v_sub_u32_e32 v5, v5, v8
	v_ashrrev_i32_e32 v8, 31, v5
	v_lshrrev_b32_e32 v8, 26, v8
	v_add_u32_e32 v8, v5, v8
	v_and_b32_e32 v9, 0x7fffffc0, v8
	v_sub_u32_e32 v5, v5, v9
	v_lshlrev_b32_e32 v8, 1, v8
	v_and_b32_e32 v8, 0xffffff80, v8
	v_lshlrev_b32_e32 v5, 1, v5
	v_add3_u32 v4, v8, v5, v4
	v_sub_u32_e32 v25, v48, v4
	v_cmp_lt_i32_e32 vcc, 1, v25
	s_and_b64 exec, exec, vcc
	s_cbranch_execz .LBB3_590
; %bb.586:                              ;   in Loop: Header=BB3_491 Depth=2
	s_trap 2
	ds_read_b128 v[8:11], v0
	v_add_u32_e32 v14, v4, v19
	v_ashrrev_i32_e32 v15, 31, v14
	s_mov_b64 s[60:61], 0
	s_waitcnt lgkmcnt(0)
	v_lshl_add_u64 v[4:5], v[8:9], 0, v[14:15]
	v_lshl_add_u64 v[8:9], v[10:11], 0, v[14:15]
	v_mov_b64_e32 v[10:11], v[4:5]
	v_mov_b64_e32 v[14:15], v[8:9]
.LBB3_587:                              ;   Parent Loop BB3_47 Depth=1
                                        ;     Parent Loop BB3_491 Depth=2
                                        ; =>    This Loop Header: Depth=3
                                        ;         Child Loop BB3_588 Depth 4
	flat_load_ushort v19, v[10:11] nt
	flat_load_ushort v30, v[14:15] nt
	s_mov_b64 s[64:65], -1
	s_mov_b64 s[62:63], 0
	s_waitcnt vmcnt(0) lgkmcnt(0)
	v_mul_f16_e32 v19, v19, v30
.LBB3_588:                              ;   Parent Loop BB3_47 Depth=1
                                        ;     Parent Loop BB3_491 Depth=2
                                        ;       Parent Loop BB3_587 Depth=3
                                        ; =>      This Inner Loop Header: Depth=4
	s_cmp_eq_u32 s62, 0
	s_cselect_b64 s[24:25], -1, 0
	s_cmp_eq_u32 s62, 1
	v_cndmask_b32_e64 v30, 0, 1, s[64:65]
	s_cselect_b64 s[26:27], -1, 0
	v_cmp_ne_u32_e32 vcc, 1, v30
	v_cndmask_b32_e64 v31, v5, v9, s[26:27]
	v_cndmask_b32_e64 v30, v4, v8, s[26:27]
	flat_store_short v[30:31], v19 nt
	v_lshl_add_u64 v[30:31], v[30:31], 0, s[42:43]
	s_mov_b64 s[64:65], 0
	s_mov_b64 s[62:63], 1
	s_and_b64 vcc, exec, vcc
	v_cndmask_b32_e64 v9, v9, v31, s[26:27]
	v_cndmask_b32_e64 v8, v8, v30, s[26:27]
	;; [unrolled: 1-line block ×4, first 2 shown]
	s_cbranch_vccz .LBB3_588
; %bb.589:                              ;   in Loop: Header=BB3_587 Depth=3
	v_sub_u32_e32 v25, v25, v39
	v_cmp_gt_i32_e32 vcc, 2, v25
	v_lshl_add_u64 v[10:11], v[10:11], 0, v[44:45]
	v_lshl_add_u64 v[14:15], v[14:15], 0, v[44:45]
	;; [unrolled: 1-line block ×3, first 2 shown]
	s_or_b64 s[60:61], vcc, s[60:61]
	v_lshl_add_u64 v[8:9], v[8:9], 0, v[0:1]
	s_andn2_b64 exec, exec, s[60:61]
	s_cbranch_execnz .LBB3_587
.LBB3_590:                              ;   in Loop: Header=BB3_491 Depth=2
	s_or_b64 exec, exec, s[58:59]
.LBB3_591:                              ;   in Loop: Header=BB3_491 Depth=2
	s_or_b64 exec, exec, s[28:29]
	s_mov_b64 s[24:25], 0
.LBB3_592:                              ;   in Loop: Header=BB3_491 Depth=2
	s_and_b64 vcc, exec, s[24:25]
	s_cbranch_vccz .LBB3_622
; %bb.593:                              ;   in Loop: Header=BB3_491 Depth=2
	s_mov_b64 s[24:25], -1
	s_and_saveexec_b64 s[26:27], s[18:19]
	s_cbranch_execz .LBB3_595
; %bb.594:                              ;   in Loop: Header=BB3_491 Depth=2
	ds_read_b32 v4, v0 offset:720
	s_waitcnt lgkmcnt(0)
	v_and_b32_e32 v4, 15, v4
	v_cmp_eq_u32_e32 vcc, 0, v4
	s_orn2_b64 s[24:25], vcc, exec
.LBB3_595:                              ;   in Loop: Header=BB3_491 Depth=2
	s_or_b64 exec, exec, s[26:27]
	s_and_saveexec_b64 s[26:27], s[14:15]
	s_cbranch_execz .LBB3_597
; %bb.596:                              ;   in Loop: Header=BB3_491 Depth=2
	ds_read_b32 v4, v0 offset:784
	s_waitcnt lgkmcnt(0)
	v_and_b32_e32 v4, 15, v4
	v_cmp_eq_u32_e32 vcc, 0, v4
	s_and_b64 s[28:29], s[24:25], vcc
	s_andn2_b64 s[24:25], s[24:25], exec
	s_and_b64 s[28:29], s[28:29], exec
	s_or_b64 s[24:25], s[24:25], s[28:29]
.LBB3_597:                              ;   in Loop: Header=BB3_491 Depth=2
	s_or_b64 exec, exec, s[26:27]
	s_xor_b64 s[24:25], s[24:25], -1
	v_cndmask_b32_e64 v4, 0, 1, s[24:25]
	s_mov_b64 s[28:29], -1
	;;#ASMSTART
	;;#ASMEND
	v_mov_b32_e32 v14, 0
	v_cmp_ne_u32_e32 vcc, 0, v4
	s_cbranch_vccz .LBB3_599
; %bb.598:                              ;   in Loop: Header=BB3_491 Depth=2
	v_mov_b32_e32 v15, v60
	v_mov_b32_e32 v4, v61
	s_and_saveexec_b64 s[24:25], s[28:29]
	s_cbranch_execnz .LBB3_612
	s_branch .LBB3_621
.LBB3_599:                              ;   in Loop: Header=BB3_491 Depth=2
	v_accvgpr_read_b32 v4, a14
	v_sub_u32_e32 v14, v2, v4
	v_ashrrev_i32_e32 v4, 31, v2
	v_lshrrev_b32_e32 v4, 22, v4
	v_add_u32_e32 v4, v2, v4
	v_and_b32_e32 v19, 0xfffffc00, v4
	v_accvgpr_read_b32 v5, a15
	v_sub_u32_e32 v31, v2, v19
	v_ashrrev_i32_e32 v5, 10, v4
	v_cmp_lt_i32_e32 vcc, 15, v31
	v_accvgpr_read_b32 v4, a23
	s_nop 0
	v_addc_co_u32_e64 v30, s[24:25], v5, v4, vcc
	v_cmp_lt_i32_e64 s[24:25], 15, v14
	s_and_saveexec_b64 s[26:27], s[24:25]
	s_cbranch_execz .LBB3_603
; %bb.600:                              ;   in Loop: Header=BB3_491 Depth=2
	s_trap 2
	ds_read_b128 v[8:11], v0
	ds_read_b64 v[36:37], v0
	v_accvgpr_read_b32 v49, a15
	v_accvgpr_read_b32 v48, a14
	s_mov_b64 s[28:29], 0
	s_waitcnt lgkmcnt(0)
	v_lshl_add_u64 v[4:5], v[8:9], 0, v[48:49]
	v_lshl_add_u64 v[8:9], v[10:11], 0, v[48:49]
	;; [unrolled: 1-line block ×3, first 2 shown]
.LBB3_601:                              ;   Parent Loop BB3_47 Depth=1
                                        ;     Parent Loop BB3_491 Depth=2
                                        ; =>    This Inner Loop Header: Depth=3
	global_load_dwordx4 v[46:49], v[4:5], off nt
	global_load_dwordx4 v[58:61], v[8:9], off nt
	v_sub_u32_e32 v14, v14, v38
	v_cmp_gt_i32_e64 s[24:25], 16, v14
	v_lshl_add_u64 v[4:5], v[4:5], 0, v[42:43]
	v_lshl_add_u64 v[8:9], v[8:9], 0, v[42:43]
	v_sub_u32_e32 v30, v30, v34
	s_or_b64 s[28:29], s[24:25], s[28:29]
	s_waitcnt vmcnt(0)
	v_mul_f16_e32 v15, v46, v58
	v_mul_f16_sdwa v25, v46, v58 dst_sel:WORD_1 dst_unused:UNUSED_PAD src0_sel:WORD_1 src1_sel:WORD_1
	v_mul_f16_e32 v36, v47, v59
	v_mul_f16_sdwa v37, v47, v59 dst_sel:WORD_1 dst_unused:UNUSED_PAD src0_sel:WORD_1 src1_sel:WORD_1
	;; [unrolled: 2-line block ×4, first 2 shown]
	v_or_b32_e32 v47, v37, v36
	v_or_b32_e32 v46, v25, v15
	;; [unrolled: 1-line block ×4, first 2 shown]
	global_store_dwordx4 v[10:11], v[46:49], off nt
	v_lshl_add_u64 v[10:11], v[10:11], 0, v[42:43]
	s_andn2_b64 exec, exec, s[28:29]
	s_cbranch_execnz .LBB3_601
; %bb.602:                              ;   in Loop: Header=BB3_491 Depth=2
	s_or_b64 exec, exec, s[28:29]
	v_accvgpr_read_b32 v59, a19
	v_accvgpr_read_b32 v60, a3
	;; [unrolled: 1-line block ×5, first 2 shown]
.LBB3_603:                              ;   in Loop: Header=BB3_491 Depth=2
	s_or_b64 exec, exec, s[26:27]
	v_and_b32_e32 v5, 14, v2
	v_cndmask_b32_e32 v25, v31, v5, vcc
	v_cmp_ne_u32_e64 s[24:25], 0, v25
	s_mov_b64 s[28:29], 0
	v_mov_b32_e32 v14, 0
                                        ; implicit-def: $vgpr2
                                        ; implicit-def: $vgpr15
                                        ; implicit-def: $vgpr4
	s_and_saveexec_b64 s[26:27], s[24:25]
	s_cbranch_execz .LBB3_611
; %bb.604:                              ;   in Loop: Header=BB3_491 Depth=2
	v_sub_u32_e32 v2, v31, v5
	v_cndmask_b32_e32 v2, 0, v2, vcc
	v_cmp_lt_i32_e32 vcc, 0, v30
	v_add_u32_e32 v19, v2, v19
	v_accvgpr_read_b32 v4, a22
	v_cndmask_b32_e32 v2, 0, v34, vcc
	v_sub_u32_e32 v2, v2, v30
	v_lshl_add_u32 v2, v2, 6, v4
	v_ashrrev_i32_e32 v4, 31, v2
	v_lshrrev_b32_e32 v4, 26, v4
	v_ashrrev_i32_e32 v8, 31, v25
	v_add_u32_e32 v4, v2, v4
	v_lshrrev_b32_e32 v8, 22, v8
	v_ashrrev_i32_e32 v5, 6, v4
	v_and_b32_e32 v4, 0xffffffc0, v4
	v_add_u32_e32 v8, v25, v8
	v_sub_u32_e32 v30, v2, v4
	v_and_b32_e32 v31, 0xfffffc00, v8
	v_lshlrev_b32_e32 v2, 4, v30
	v_sub_u32_e32 v37, v25, v31
	v_lshl_add_u32 v4, v5, 10, v2
	v_ashrrev_i32_e32 v9, 10, v8
	v_cmp_lt_i32_e32 vcc, 15, v37
	v_sub_u32_e32 v2, v25, v4
	s_nop 0
	v_addc_co_u32_e64 v8, s[24:25], 0, v9, vcc
	v_sub_u32_e32 v36, v8, v5
	v_cmp_lt_i32_e64 s[24:25], 15, v2
	s_and_saveexec_b64 s[28:29], s[24:25]
	s_cbranch_execz .LBB3_608
; %bb.605:                              ;   in Loop: Header=BB3_491 Depth=2
	s_trap 2
	ds_read_b128 v[8:11], v0
	ds_read_b64 v[14:15], v0
	v_add_u32_e32 v48, v4, v19
	v_ashrrev_i32_e32 v49, 31, v48
	s_mov_b64 s[58:59], 0
	s_waitcnt lgkmcnt(0)
	v_lshl_add_u64 v[4:5], v[8:9], 0, v[48:49]
	v_lshl_add_u64 v[8:9], v[10:11], 0, v[48:49]
	;; [unrolled: 1-line block ×3, first 2 shown]
.LBB3_606:                              ;   Parent Loop BB3_47 Depth=1
                                        ;     Parent Loop BB3_491 Depth=2
                                        ; =>    This Inner Loop Header: Depth=3
	global_load_dwordx4 v[46:49], v[4:5], off nt
	global_load_dwordx4 v[58:61], v[8:9], off nt
	v_sub_u32_e32 v2, v2, v38
	v_cmp_gt_i32_e64 s[24:25], 16, v2
	v_lshl_add_u64 v[4:5], v[4:5], 0, v[42:43]
	v_lshl_add_u64 v[8:9], v[8:9], 0, v[42:43]
	v_sub_u32_e32 v36, v36, v34
	s_or_b64 s[58:59], s[24:25], s[58:59]
	s_waitcnt vmcnt(0)
	v_mul_f16_e32 v14, v46, v58
	v_mul_f16_sdwa v15, v46, v58 dst_sel:WORD_1 dst_unused:UNUSED_PAD src0_sel:WORD_1 src1_sel:WORD_1
	v_mul_f16_e32 v52, v47, v59
	v_mul_f16_sdwa v53, v47, v59 dst_sel:WORD_1 dst_unused:UNUSED_PAD src0_sel:WORD_1 src1_sel:WORD_1
	;; [unrolled: 2-line block ×4, first 2 shown]
	v_or_b32_e32 v47, v53, v52
	v_or_b32_e32 v46, v15, v14
	;; [unrolled: 1-line block ×4, first 2 shown]
	global_store_dwordx4 v[10:11], v[46:49], off nt
	v_lshl_add_u64 v[10:11], v[10:11], 0, v[42:43]
	s_andn2_b64 exec, exec, s[58:59]
	s_cbranch_execnz .LBB3_606
; %bb.607:                              ;   in Loop: Header=BB3_491 Depth=2
	s_or_b64 exec, exec, s[58:59]
	v_accvgpr_read_b32 v59, a19
	v_accvgpr_read_b32 v55, a21
	;; [unrolled: 1-line block ×7, first 2 shown]
.LBB3_608:                              ;   in Loop: Header=BB3_491 Depth=2
	s_or_b64 exec, exec, s[28:29]
	v_and_b32_e32 v5, 14, v25
	v_cndmask_b32_e32 v2, v37, v5, vcc
	v_cmp_ne_u32_e64 s[24:25], 0, v2
	s_mov_b64 s[28:29], 0
	v_mov_b32_e32 v14, 0
                                        ; implicit-def: $vgpr15
                                        ; implicit-def: $vgpr4
	s_and_saveexec_b64 s[58:59], s[24:25]
	s_cbranch_execz .LBB3_610
; %bb.609:                              ;   in Loop: Header=BB3_491 Depth=2
	v_sub_u32_e32 v4, v37, v5
	v_cndmask_b32_e32 v4, 0, v4, vcc
	v_cmp_lt_i32_e32 vcc, 0, v36
	v_add3_u32 v14, v31, v19, v4
	s_mov_b64 s[28:29], exec
	v_cndmask_b32_e32 v4, 0, v34, vcc
	v_sub_u32_e32 v4, v4, v36
	v_lshl_add_u32 v15, v4, 6, v30
	v_ashrrev_i32_e32 v4, 31, v15
	v_lshrrev_b32_e32 v4, 26, v4
	v_add_u32_e32 v4, v15, v4
	v_ashrrev_i32_e32 v4, 6, v4
.LBB3_610:                              ;   in Loop: Header=BB3_491 Depth=2
	s_or_b64 exec, exec, s[58:59]
	s_and_b64 s[28:29], s[28:29], exec
.LBB3_611:                              ;   in Loop: Header=BB3_491 Depth=2
	s_or_b64 exec, exec, s[26:27]
	s_and_saveexec_b64 s[24:25], s[28:29]
	s_cbranch_execz .LBB3_621
.LBB3_612:                              ;   in Loop: Header=BB3_491 Depth=2
	v_ashrrev_i32_e32 v5, 31, v2
	v_lshrrev_b32_e32 v5, 23, v5
	v_add_u32_e32 v5, v2, v5
	v_ashrrev_i32_e32 v30, 9, v5
	v_sub_u32_e32 v19, v30, v4
	v_ashrrev_i32_e32 v5, 31, v15
	v_cmp_lt_i32_e32 vcc, 0, v19
	v_lshrrev_b32_e32 v25, 26, v5
	s_and_saveexec_b64 s[26:27], vcc
	s_cbranch_execz .LBB3_616
; %bb.613:                              ;   in Loop: Header=BB3_491 Depth=2
	v_add_u32_e32 v5, v15, v25
	s_trap 2
	v_and_b32_e32 v5, 0x7fffffc0, v5
	ds_read_b128 v[8:11], v0
	ds_read_b64 v[36:37], v0
	v_sub_u32_e32 v5, v15, v5
	v_lshlrev_b32_e32 v5, 1, v5
	v_lshlrev_b32_e32 v4, 9, v4
	v_add3_u32 v48, v5, v14, v4
	v_ashrrev_i32_e32 v49, 31, v48
	s_waitcnt lgkmcnt(0)
	v_lshl_add_u64 v[4:5], v[8:9], 0, v[48:49]
	v_lshl_add_u64 v[8:9], v[10:11], 0, v[48:49]
	;; [unrolled: 1-line block ×3, first 2 shown]
	s_mov_b64 s[28:29], 0
.LBB3_614:                              ;   Parent Loop BB3_47 Depth=1
                                        ;     Parent Loop BB3_491 Depth=2
                                        ; =>    This Inner Loop Header: Depth=3
	flat_load_ushort v31, v[4:5] nt
	flat_load_ushort v36, v[4:5] offset:128 nt
	flat_load_ushort v37, v[4:5] offset:256 nt
	;; [unrolled: 1-line block ×3, first 2 shown]
	flat_load_ushort v49, v[8:9] nt
	flat_load_ushort v52, v[8:9] offset:128 nt
	flat_load_ushort v53, v[8:9] offset:256 nt
	;; [unrolled: 1-line block ×3, first 2 shown]
	v_sub_u32_e32 v19, v19, v34
	v_cmp_gt_i32_e32 vcc, 1, v19
	v_lshl_add_u64 v[4:5], v[4:5], 0, v[40:41]
	v_lshl_add_u64 v[8:9], v[8:9], 0, v[40:41]
	s_or_b64 s[28:29], vcc, s[28:29]
	s_waitcnt vmcnt(0) lgkmcnt(0)
	v_mul_f16_e32 v31, v31, v49
	v_mul_f16_e32 v36, v36, v52
	;; [unrolled: 1-line block ×4, first 2 shown]
	flat_store_short v[10:11], v31 nt
	flat_store_short v[10:11], v36 offset:128 nt
	flat_store_short v[10:11], v37 offset:256 nt
	;; [unrolled: 1-line block ×3, first 2 shown]
	v_lshl_add_u64 v[10:11], v[10:11], 0, v[40:41]
	s_andn2_b64 exec, exec, s[28:29]
	s_cbranch_execnz .LBB3_614
; %bb.615:                              ;   in Loop: Header=BB3_491 Depth=2
	s_or_b64 exec, exec, s[28:29]
	v_accvgpr_read_b32 v55, a21
	v_accvgpr_read_b32 v54, a20
.LBB3_616:                              ;   in Loop: Header=BB3_491 Depth=2
	s_or_b64 exec, exec, s[26:27]
	v_lshlrev_b32_e32 v4, 9, v30
	v_cmp_ne_u32_e32 vcc, v2, v4
	s_and_saveexec_b64 s[26:27], vcc
	s_cbranch_execz .LBB3_620
; %bb.617:                              ;   in Loop: Header=BB3_491 Depth=2
	v_add_u32_e32 v5, v15, v25
	v_and_b32_e32 v5, 0xffffffc0, v5
	v_sub_u32_e32 v5, v15, v5
	v_lshlrev_b32_e32 v8, 6, v19
	v_sub_u32_e32 v5, v5, v8
	v_ashrrev_i32_e32 v8, 31, v5
	v_lshrrev_b32_e32 v8, 26, v8
	v_add_u32_e32 v8, v5, v8
	v_and_b32_e32 v9, 0x7fffffc0, v8
	v_sub_u32_e32 v5, v5, v9
	v_lshlrev_b32_e32 v8, 1, v8
	v_and_b32_e32 v8, 0xffffff80, v8
	v_lshlrev_b32_e32 v5, 1, v5
	v_add3_u32 v4, v8, v5, v4
	v_sub_u32_e32 v2, v2, v4
	v_cmp_lt_i32_e32 vcc, 1, v2
	s_and_b64 exec, exec, vcc
	s_cbranch_execz .LBB3_620
; %bb.618:                              ;   in Loop: Header=BB3_491 Depth=2
	s_trap 2
	ds_read_b128 v[8:11], v0
	ds_read_b64 v[30:31], v0
	v_add_u32_e32 v14, v4, v14
	v_ashrrev_i32_e32 v15, 31, v14
	s_mov_b64 s[28:29], 0
	s_waitcnt lgkmcnt(0)
	v_lshl_add_u64 v[4:5], v[8:9], 0, v[14:15]
	v_lshl_add_u64 v[8:9], v[10:11], 0, v[14:15]
	v_lshl_add_u64 v[10:11], v[30:31], 0, v[14:15]
.LBB3_619:                              ;   Parent Loop BB3_47 Depth=1
                                        ;     Parent Loop BB3_491 Depth=2
                                        ; =>    This Inner Loop Header: Depth=3
	flat_load_ushort v14, v[4:5] nt
	flat_load_ushort v15, v[8:9] nt
	v_sub_u32_e32 v2, v2, v39
	v_cmp_gt_i32_e32 vcc, 2, v2
	v_lshl_add_u64 v[4:5], v[4:5], 0, v[44:45]
	v_lshl_add_u64 v[8:9], v[8:9], 0, v[44:45]
	s_or_b64 s[28:29], vcc, s[28:29]
	s_waitcnt vmcnt(0) lgkmcnt(0)
	v_mul_f16_e32 v14, v14, v15
	flat_store_short v[10:11], v14 nt
	v_lshl_add_u64 v[10:11], v[10:11], 0, v[44:45]
	s_andn2_b64 exec, exec, s[28:29]
	s_cbranch_execnz .LBB3_619
.LBB3_620:                              ;   in Loop: Header=BB3_491 Depth=2
	s_or_b64 exec, exec, s[26:27]
.LBB3_621:                              ;   in Loop: Header=BB3_491 Depth=2
	s_or_b64 exec, exec, s[24:25]
.LBB3_622:                              ;   in Loop: Header=BB3_491 Depth=2
	s_and_saveexec_b64 s[24:25], s[4:5]
	s_cbranch_execz .LBB3_641
; %bb.623:                              ;   in Loop: Header=BB3_491 Depth=2
	s_and_saveexec_b64 s[26:27], s[38:39]
	s_xor_b64 s[26:27], exec, s[26:27]
	s_cbranch_execz .LBB3_638
; %bb.624:                              ;   in Loop: Header=BB3_491 Depth=2
	s_and_saveexec_b64 s[28:29], s[12:13]
	s_cbranch_execz .LBB3_637
; %bb.625:                              ;   in Loop: Header=BB3_491 Depth=2
	s_mov_b64 s[60:61], exec
	v_mbcnt_lo_u32_b32 v2, s60, 0
	v_mbcnt_hi_u32_b32 v2, s61, v2
	v_cmp_eq_u32_e32 vcc, 0, v2
	s_waitcnt lgkmcnt(0)
	s_and_saveexec_b64 s[58:59], vcc
	s_cbranch_execz .LBB3_627
; %bb.626:                              ;   in Loop: Header=BB3_491 Depth=2
	s_bcnt1_i32_b64 vcc_lo, s[60:61]
	v_mov_b32_e32 v2, vcc_lo
	ds_add_u64 v0, v[2:3]
	s_trap 2
.LBB3_627:                              ;   in Loop: Header=BB3_491 Depth=2
	s_or_b64 exec, exec, s[58:59]
	s_trap 2
	ds_read_b64 v[4:5], v0
	v_lshl_add_u64 v[12:13], v[12:13], 0, v[34:35]
	s_waitcnt lgkmcnt(0)
	v_cmp_lt_u64_e32 vcc, v[4:5], v[12:13]
	s_and_saveexec_b64 s[58:59], vcc
	s_cbranch_execz .LBB3_636
; %bb.628:                              ;   in Loop: Header=BB3_491 Depth=2
	s_mov_b32 s82, 0
	s_mov_b64 s[60:61], 0
                                        ; implicit-def: $sgpr62_sgpr63
                                        ; implicit-def: $sgpr64_sgpr65
	s_branch .LBB3_630
.LBB3_629:                              ;   in Loop: Header=BB3_630 Depth=3
	s_or_b64 exec, exec, s[68:69]
	s_and_b64 vcc, exec, vcc
	s_or_b64 s[60:61], vcc, s[60:61]
	s_andn2_b64 vcc, s[62:63], exec
	s_and_b64 s[62:63], s[64:65], exec
	s_or_b64 s[62:63], vcc, s[62:63]
	s_andn2_b64 exec, exec, s[60:61]
	s_cbranch_execz .LBB3_634
.LBB3_630:                              ;   Parent Loop BB3_47 Depth=1
                                        ;     Parent Loop BB3_491 Depth=2
                                        ; =>    This Inner Loop Header: Depth=3
	s_add_i32 s82, s82, 1
	s_cmpk_lg_i32 s82, 0x2710
	s_cselect_b64 s[66:67], -1, 0
	s_and_b64 vcc, exec, s[66:67]
                                        ; implicit-def: $sgpr68_sgpr69
	s_cbranch_vccnz .LBB3_632
; %bb.631:                              ;   in Loop: Header=BB3_630 Depth=3
	s_trap 2
	ds_read_b64 v[4:5], v0
	s_andn2_b64 s[66:67], s[66:67], exec
	s_mov_b32 s82, 0
	s_mov_b64 s[68:69], -1
	s_waitcnt vmcnt(0) lgkmcnt(0)
	flat_load_dword v2, v[4:5] sc0 sc1
	s_waitcnt vmcnt(0) lgkmcnt(0)
	buffer_inv sc0 sc1
	v_cmp_eq_u32_e32 vcc, 0, v2
	s_and_b64 vcc, vcc, exec
	s_or_b64 s[66:67], s[66:67], vcc
.LBB3_632:                              ;   in Loop: Header=BB3_630 Depth=3
	s_andn2_b64 s[64:65], s[64:65], exec
	s_and_b64 s[68:69], s[68:69], exec
	s_mov_b64 vcc, -1
	s_or_b64 s[64:65], s[64:65], s[68:69]
	s_and_saveexec_b64 s[68:69], s[66:67]
	s_cbranch_execz .LBB3_629
; %bb.633:                              ;   in Loop: Header=BB3_630 Depth=3
	s_sleep 1
	s_trap 2
	ds_read_b64 v[4:5], v0
	s_andn2_b64 s[64:65], s[64:65], exec
	s_waitcnt lgkmcnt(0)
	v_cmp_ge_u64_e32 vcc, v[4:5], v[12:13]
	s_orn2_b64 vcc, vcc, exec
	s_branch .LBB3_629
.LBB3_634:                              ;   in Loop: Header=BB3_491 Depth=2
	s_or_b64 exec, exec, s[60:61]
	s_and_saveexec_b64 vcc, s[62:63]
	s_xor_b64 vcc, exec, vcc
	s_cbranch_execz .LBB3_636
; %bb.635:                              ;   in Loop: Header=BB3_491 Depth=2
	ds_write_b32 v0, v56
	s_trap 2
.LBB3_636:                              ;   in Loop: Header=BB3_491 Depth=2
	s_or_b64 exec, exec, s[58:59]
	;;#ASMSTART
	s_wakeup
	;;#ASMEND
.LBB3_637:                              ;   in Loop: Header=BB3_491 Depth=2
	s_or_b64 exec, exec, s[28:29]
.LBB3_638:                              ;   in Loop: Header=BB3_491 Depth=2
	s_andn2_saveexec_b64 s[26:27], s[26:27]
	s_cbranch_execz .LBB3_640
; %bb.639:                              ;   in Loop: Header=BB3_491 Depth=2
	s_waitcnt lgkmcnt(0)
	s_barrier
.LBB3_640:                              ;   in Loop: Header=BB3_491 Depth=2
	s_or_b64 exec, exec, s[26:27]
.LBB3_641:                              ;   in Loop: Header=BB3_491 Depth=2
	s_or_b64 exec, exec, s[24:25]
                                        ; implicit-def: $vgpr2
	s_and_saveexec_b64 s[24:25], s[20:21]
	s_xor_b64 s[26:27], exec, s[24:25]
	s_cbranch_execz .LBB3_645
; %bb.642:                              ;   in Loop: Header=BB3_491 Depth=2
	v_and_b32_e32 v4, 16, v62
	v_cmp_lt_i32_e32 vcc, 0, v17
	v_cmp_ne_u32_e64 s[24:25], 0, v4
	v_and_b32_e32 v2, 16, v62
	s_and_b64 s[28:29], s[24:25], vcc
	s_and_saveexec_b64 s[24:25], s[28:29]
	s_cbranch_execz .LBB3_644
; %bb.643:                              ;   in Loop: Header=BB3_491 Depth=2
	v_mov_b32_e32 v2, 1
	buffer_wbl2 sc1
	s_waitcnt vmcnt(0) lgkmcnt(0)
	buffer_inv sc1
.LBB3_644:                              ;   in Loop: Header=BB3_491 Depth=2
	s_or_b64 exec, exec, s[24:25]
	s_andn2_saveexec_b64 s[24:25], s[26:27]
	s_cbranch_execz .LBB3_664
	s_branch .LBB3_646
.LBB3_645:                              ;   in Loop: Header=BB3_491 Depth=2
	s_andn2_saveexec_b64 s[24:25], s[26:27]
	s_cbranch_execz .LBB3_664
.LBB3_646:                              ;   in Loop: Header=BB3_491 Depth=2
	s_and_saveexec_b64 s[26:27], s[38:39]
	s_xor_b64 s[26:27], exec, s[26:27]
	s_cbranch_execz .LBB3_661
; %bb.647:                              ;   in Loop: Header=BB3_491 Depth=2
	s_and_saveexec_b64 s[28:29], s[12:13]
	s_cbranch_execz .LBB3_660
; %bb.648:                              ;   in Loop: Header=BB3_491 Depth=2
	s_mov_b64 s[60:61], exec
	v_mbcnt_lo_u32_b32 v2, s60, 0
	v_mbcnt_hi_u32_b32 v2, s61, v2
	v_cmp_eq_u32_e32 vcc, 0, v2
	;;#ASMSTART
	s_waitcnt lgkmcnt(0) vmcnt(0)
	;;#ASMEND
	s_and_saveexec_b64 s[58:59], vcc
	s_cbranch_execz .LBB3_650
; %bb.649:                              ;   in Loop: Header=BB3_491 Depth=2
	s_bcnt1_i32_b64 vcc_lo, s[60:61]
	v_mov_b32_e32 v2, vcc_lo
	ds_add_u64 v0, v[2:3]
	s_trap 2
.LBB3_650:                              ;   in Loop: Header=BB3_491 Depth=2
	s_or_b64 exec, exec, s[58:59]
	s_trap 2
	ds_read_b64 v[4:5], v0
	v_lshl_add_u64 v[12:13], v[12:13], 0, v[34:35]
	s_waitcnt lgkmcnt(0)
	v_cmp_lt_u64_e32 vcc, v[4:5], v[12:13]
	s_and_saveexec_b64 s[58:59], vcc
	s_cbranch_execz .LBB3_659
; %bb.651:                              ;   in Loop: Header=BB3_491 Depth=2
	s_mov_b32 s82, 0
	s_mov_b64 s[60:61], 0
                                        ; implicit-def: $sgpr62_sgpr63
                                        ; implicit-def: $sgpr64_sgpr65
	s_branch .LBB3_653
.LBB3_652:                              ;   in Loop: Header=BB3_653 Depth=3
	s_or_b64 exec, exec, s[68:69]
	s_and_b64 vcc, exec, vcc
	s_or_b64 s[60:61], vcc, s[60:61]
	s_andn2_b64 vcc, s[62:63], exec
	s_and_b64 s[62:63], s[64:65], exec
	s_or_b64 s[62:63], vcc, s[62:63]
	s_andn2_b64 exec, exec, s[60:61]
	s_cbranch_execz .LBB3_657
.LBB3_653:                              ;   Parent Loop BB3_47 Depth=1
                                        ;     Parent Loop BB3_491 Depth=2
                                        ; =>    This Inner Loop Header: Depth=3
	s_add_i32 s82, s82, 1
	s_cmpk_lg_i32 s82, 0x2710
	s_cselect_b64 s[66:67], -1, 0
	s_and_b64 vcc, exec, s[66:67]
                                        ; implicit-def: $sgpr68_sgpr69
	s_cbranch_vccnz .LBB3_655
; %bb.654:                              ;   in Loop: Header=BB3_653 Depth=3
	s_trap 2
	ds_read_b64 v[4:5], v0
	s_andn2_b64 s[66:67], s[66:67], exec
	s_mov_b32 s82, 0
	s_mov_b64 s[68:69], -1
	s_waitcnt vmcnt(0) lgkmcnt(0)
	flat_load_dword v2, v[4:5] sc0 sc1
	s_waitcnt vmcnt(0) lgkmcnt(0)
	buffer_inv sc0 sc1
	v_cmp_eq_u32_e32 vcc, 0, v2
	s_and_b64 vcc, vcc, exec
	s_or_b64 s[66:67], s[66:67], vcc
.LBB3_655:                              ;   in Loop: Header=BB3_653 Depth=3
	s_andn2_b64 s[64:65], s[64:65], exec
	s_and_b64 s[68:69], s[68:69], exec
	s_mov_b64 vcc, -1
	s_or_b64 s[64:65], s[64:65], s[68:69]
	s_and_saveexec_b64 s[68:69], s[66:67]
	s_cbranch_execz .LBB3_652
; %bb.656:                              ;   in Loop: Header=BB3_653 Depth=3
	s_sleep 1
	s_trap 2
	ds_read_b64 v[4:5], v0
	s_andn2_b64 s[64:65], s[64:65], exec
	s_waitcnt lgkmcnt(0)
	v_cmp_ge_u64_e32 vcc, v[4:5], v[12:13]
	s_orn2_b64 vcc, vcc, exec
	s_branch .LBB3_652
.LBB3_657:                              ;   in Loop: Header=BB3_491 Depth=2
	s_or_b64 exec, exec, s[60:61]
	s_and_saveexec_b64 vcc, s[62:63]
	s_xor_b64 vcc, exec, vcc
	s_cbranch_execz .LBB3_659
; %bb.658:                              ;   in Loop: Header=BB3_491 Depth=2
	ds_write_b32 v0, v56
	s_trap 2
.LBB3_659:                              ;   in Loop: Header=BB3_491 Depth=2
	s_or_b64 exec, exec, s[58:59]
	;;#ASMSTART
	s_wakeup
	;;#ASMEND
.LBB3_660:                              ;   in Loop: Header=BB3_491 Depth=2
	s_or_b64 exec, exec, s[28:29]
.LBB3_661:                              ;   in Loop: Header=BB3_491 Depth=2
	s_andn2_saveexec_b64 s[26:27], s[26:27]
	s_cbranch_execz .LBB3_663
; %bb.662:                              ;   in Loop: Header=BB3_491 Depth=2
	;;#ASMSTART
	s_waitcnt lgkmcnt(0) vmcnt(0)
	;;#ASMEND
	s_barrier
.LBB3_663:                              ;   in Loop: Header=BB3_491 Depth=2
	s_or_b64 exec, exec, s[26:27]
	v_and_b32_e32 v2, 16, v62
.LBB3_664:                              ;   in Loop: Header=BB3_491 Depth=2
	s_or_b64 exec, exec, s[24:25]
	v_cmp_ne_u32_e32 vcc, 0, v2
	s_xor_b64 s[24:25], s[6:7], -1
	s_and_b64 s[26:27], vcc, s[24:25]
	s_and_saveexec_b64 s[24:25], s[26:27]
	s_cbranch_execz .LBB3_666
; %bb.665:                              ;   in Loop: Header=BB3_491 Depth=2
	flat_store_dword v[28:29], v56 sc0 sc1
.LBB3_666:                              ;   in Loop: Header=BB3_491 Depth=2
	s_or_b64 exec, exec, s[24:25]
	v_and_b32_e32 v2, 48, v62
	v_cmp_ne_u32_e32 vcc, 0, v2
	s_and_saveexec_b64 s[24:25], vcc
	s_cbranch_execz .LBB3_490
; %bb.667:                              ;   in Loop: Header=BB3_491 Depth=2
	v_lshl_add_u64 v[20:21], v[20:21], 0, 2
	flat_store_dwordx2 v[22:23], v[20:21] sc0 sc1
	s_branch .LBB3_490
.LBB3_668:                              ;   in Loop: Header=BB3_47 Depth=1
	s_or_b64 exec, exec, s[52:53]
	v_cmp_gt_i32_e32 vcc, 2, v2
	s_and_saveexec_b64 s[26:27], vcc
	s_cbranch_execz .LBB3_742
.LBB3_669:                              ;   in Loop: Header=BB3_47 Depth=1
	v_cmp_eq_u32_e64 s[24:25], 0, v2
	s_mov_b64 s[28:29], 0
	s_branch .LBB3_671
.LBB3_670:                              ;   in Loop: Header=BB3_671 Depth=2
	s_or_b64 exec, exec, s[24:25]
	v_add_u32_e32 v18, v16, v18
	s_mov_b64 s[24:25], 0
	s_andn2_b64 exec, exec, s[28:29]
	s_cbranch_execz .LBB3_743
.LBB3_671:                              ;   Parent Loop BB3_47 Depth=1
                                        ; =>  This Loop Header: Depth=2
                                        ;       Child Loop BB3_677 Depth 3
                                        ;       Child Loop BB3_707 Depth 3
	;; [unrolled: 1-line block ×3, first 2 shown]
	v_and_b32_e32 v2, 12, v62
	s_mov_b64 s[54:55], -1
	v_cmp_ne_u32_e32 vcc, 0, v2
	s_and_saveexec_b64 s[52:53], vcc
	s_cbranch_execz .LBB3_683
; %bb.672:                              ;   in Loop: Header=BB3_671 Depth=2
	v_and_b32_e32 v2, 8, v62
	v_lshl_add_u64 v[8:9], v[32:33], 0, v[2:3]
	v_lshl_add_u64 v[4:5], v[20:21], 0, 2
	v_cmp_lt_u64_e32 vcc, v[8:9], v[4:5]
	v_mov_b32_e32 v8, 1
	s_and_saveexec_b64 s[54:55], vcc
	s_cbranch_execz .LBB3_682
; %bb.673:                              ;   in Loop: Header=BB3_671 Depth=2
	s_mov_b64 s[56:57], 0
	v_mov_b32_e32 v8, 0
                                        ; implicit-def: $sgpr58_sgpr59
	s_branch .LBB3_677
.LBB3_674:                              ;   in Loop: Header=BB3_677 Depth=3
	s_or_b64 exec, exec, s[66:67]
	v_mov_b32_e32 v9, 0
	s_orn2_b64 s[64:65], s[64:65], exec
.LBB3_675:                              ;   in Loop: Header=BB3_677 Depth=3
	s_or_b64 exec, exec, s[62:63]
	s_andn2_b64 vcc, s[58:59], exec
	s_and_b64 s[58:59], s[64:65], exec
	s_or_b64 s[58:59], vcc, s[58:59]
	v_mov_b32_e32 v8, v9
.LBB3_676:                              ;   in Loop: Header=BB3_677 Depth=3
	s_or_b64 exec, exec, s[60:61]
	s_waitcnt vmcnt(0) lgkmcnt(0)
	v_lshl_add_u64 v[10:11], v[32:33], 0, v[2:3]
	v_cmp_ge_u64_e32 vcc, v[10:11], v[4:5]
	s_xor_b64 s[60:61], s[58:59], -1
	s_or_b64 vcc, s[60:61], vcc
	s_and_b64 vcc, exec, vcc
	s_or_b64 s[56:57], vcc, s[56:57]
	s_andn2_b64 exec, exec, s[56:57]
	s_cbranch_execz .LBB3_681
.LBB3_677:                              ;   Parent Loop BB3_47 Depth=1
                                        ;     Parent Loop BB3_671 Depth=2
                                        ; =>    This Inner Loop Header: Depth=3
	s_sleep 1
	flat_load_dwordx2 v[32:33], v[22:23] sc0 sc1
	v_and_b32_e32 v9, 64, v62
	v_cmp_eq_u32_e32 vcc, 0, v9
	s_andn2_b64 s[58:59], s[58:59], exec
	s_and_saveexec_b64 s[60:61], vcc
	s_cbranch_execz .LBB3_676
; %bb.678:                              ;   in Loop: Header=BB3_677 Depth=3
	v_add_u32_e32 v9, 1, v8
	v_cmp_lt_i32_e32 vcc, s72, v8
	s_mov_b64 s[64:65], -1
	s_and_saveexec_b64 s[62:63], vcc
	s_cbranch_execz .LBB3_675
; %bb.679:                              ;   in Loop: Header=BB3_677 Depth=3
	s_trap 2
	ds_read_b64 v[8:9], v0
	s_waitcnt vmcnt(0) lgkmcnt(0)
	flat_load_dword v8, v[8:9] sc0 sc1
	s_waitcnt vmcnt(0) lgkmcnt(0)
	buffer_inv sc0 sc1
	v_cmp_ne_u32_e32 vcc, 0, v8
	s_and_saveexec_b64 s[66:67], vcc
	s_cbranch_execz .LBB3_674
; %bb.680:                              ;   in Loop: Header=BB3_677 Depth=3
	v_or_b32_e32 v62, 64, v62
	s_xor_b64 s[64:65], exec, -1
	ds_write_b32 v0, v8
	s_trap 2
	s_branch .LBB3_674
.LBB3_681:                              ;   in Loop: Header=BB3_671 Depth=2
	s_or_b64 exec, exec, s[56:57]
	v_and_b32_e32 v8, 12, v62
.LBB3_682:                              ;   in Loop: Header=BB3_671 Depth=2
	s_or_b64 exec, exec, s[54:55]
	v_cmp_eq_u32_e32 vcc, 0, v8
	s_orn2_b64 s[54:55], vcc, exec
	;;#ASMSTART
	s_wakeup
	;;#ASMEND
.LBB3_683:                              ;   in Loop: Header=BB3_671 Depth=2
	s_or_b64 exec, exec, s[52:53]
	s_xor_b64 s[24:25], s[24:25], -1
	s_and_b64 s[24:25], exec, s[24:25]
	s_or_b64 s[28:29], s[24:25], s[28:29]
	v_sub_u32_e32 v2, v46, v18
	s_xor_b64 s[24:25], s[54:55], -1
	v_min_i32_e32 v16, v16, v2
	s_and_saveexec_b64 s[52:53], s[24:25]
	s_cbranch_execz .LBB3_699
; %bb.684:                              ;   in Loop: Header=BB3_671 Depth=2
	v_and_b32_e32 v2, 0x108, v62
	v_cmp_ne_u32_e32 vcc, s80, v2
	v_and_b32_e32 v2, 7, v20
	s_and_saveexec_b64 s[24:25], vcc
	s_xor_b64 s[24:25], exec, s[24:25]
	s_andn2_saveexec_b64 s[24:25], s[24:25]
	s_cbranch_execz .LBB3_686
; %bb.685:                              ;   in Loop: Header=BB3_671 Depth=2
	v_ashrrev_i32_e32 v17, 31, v16
	v_mad_u64_u32 v[4:5], vcc, v2, 24, v[6:7]
	v_lshlrev_b64 v[8:9], 1, v[16:17]
	flat_store_dwordx2 v[4:5], v[8:9] offset:8
.LBB3_686:                              ;   in Loop: Header=BB3_671 Depth=2
	s_or_b64 exec, exec, s[24:25]
	v_and_b32_e32 v4, 0x100, v62
	v_cmp_ne_u32_e32 vcc, 0, v4
	s_mov_b64 s[24:25], -1
                                        ; implicit-def: $vgpr4_vgpr5
	s_and_saveexec_b64 s[54:55], vcc
	s_cbranch_execz .LBB3_690
; %bb.687:                              ;   in Loop: Header=BB3_671 Depth=2
	v_mad_u64_u32 v[8:9], s[24:25], v2, 24, v[6:7]
	v_mov_b32_e32 v4, v9
	v_mad_u64_u32 v[4:5], s[24:25], v3, 24, v[4:5]
	v_mov_b32_e32 v9, v4
	flat_load_dword v4, v[8:9]
	s_waitcnt vmcnt(0) lgkmcnt(0)
	v_cmp_ne_u32_e32 vcc, 1, v4
	v_cmp_eq_u32_e64 s[24:25], 1, v4
                                        ; implicit-def: $vgpr4_vgpr5
	s_and_saveexec_b64 s[56:57], s[24:25]
	s_cbranch_execz .LBB3_689
; %bb.688:                              ;   in Loop: Header=BB3_671 Depth=2
	flat_load_dword v4, v[8:9] offset:4 sc0 sc1
	s_waitcnt vmcnt(0) lgkmcnt(0)
	v_ashrrev_i32_e32 v5, 31, v4
	v_lshrrev_b64 v[4:5], 1, v[4:5]
.LBB3_689:                              ;   in Loop: Header=BB3_671 Depth=2
	s_or_b64 exec, exec, s[56:57]
	s_orn2_b64 s[24:25], vcc, exec
.LBB3_690:                              ;   in Loop: Header=BB3_671 Depth=2
	s_or_b64 exec, exec, s[54:55]
	s_and_saveexec_b64 vcc, s[24:25]
; %bb.691:                              ;   in Loop: Header=BB3_671 Depth=2
	v_mul_lo_u32 v8, v3, v24
	v_mul_lo_u32 v9, v2, v57
	v_mad_u64_u32 v[4:5], s[24:25], v2, v24, 0
	v_add3_u32 v5, v5, v9, v8
; %bb.692:                              ;   in Loop: Header=BB3_671 Depth=2
	s_or_b64 exec, exec, vcc
	v_and_b32_e32 v2, 0x2000, v62
	v_lshl_add_u64 v[4:5], v[4:5], 1, v[26:27]
	v_cmp_ne_u32_e32 vcc, 0, v2
	s_trap 2
	ds_write_b64 v0, v[4:5]
	s_and_saveexec_b64 s[24:25], vcc
	s_cbranch_execz .LBB3_694
; %bb.693:                              ;   in Loop: Header=BB3_671 Depth=2
	ds_read_b64 v[4:5], v0 offset:584
	s_waitcnt lgkmcnt(0)
	v_lshl_add_u64 v[4:5], v[4:5], 0, 1
	ds_write_b64 v0, v[4:5] offset:584
.LBB3_694:                              ;   in Loop: Header=BB3_671 Depth=2
	s_or_b64 exec, exec, s[24:25]
	v_lshl_add_u64 v[20:21], v[20:21], 0, 2
	s_or_b64 exec, exec, s[52:53]
	s_and_saveexec_b64 s[24:25], s[4:5]
	s_cbranch_execnz .LBB3_700
.LBB3_695:                              ;   in Loop: Header=BB3_671 Depth=2
	s_or_b64 exec, exec, s[24:25]
                                        ; implicit-def: $vgpr2
	s_and_saveexec_b64 s[24:25], s[20:21]
	s_xor_b64 s[24:25], exec, s[24:25]
	s_cbranch_execz .LBB3_718
.LBB3_696:                              ;   in Loop: Header=BB3_671 Depth=2
	s_trap 2
	ds_read_b32 v4, v0
	v_cmp_lt_i32_e32 vcc, 0, v16
	v_and_b32_e32 v5, 16, v62
	v_and_b32_e32 v2, 16, v62
	s_waitcnt lgkmcnt(0)
	v_readfirstlane_b32 s52, v4
	s_cmp_eq_u32 s52, 0
	s_cselect_b64 s[52:53], -1, 0
	s_and_b64 s[52:53], vcc, s[52:53]
	v_cmp_ne_u32_e32 vcc, 0, v5
	s_and_b64 s[52:53], vcc, s[52:53]
	s_and_saveexec_b64 vcc, s[52:53]
	s_cbranch_execz .LBB3_698
; %bb.697:                              ;   in Loop: Header=BB3_671 Depth=2
	v_mov_b32_e32 v2, 1
	buffer_wbl2 sc1
	s_waitcnt vmcnt(0)
	buffer_inv sc1
.LBB3_698:                              ;   in Loop: Header=BB3_671 Depth=2
	s_or_b64 exec, exec, vcc
	s_andn2_saveexec_b64 s[24:25], s[24:25]
	s_cbranch_execz .LBB3_737
	s_branch .LBB3_719
.LBB3_699:                              ;   in Loop: Header=BB3_671 Depth=2
	s_or_b64 exec, exec, s[52:53]
	s_and_saveexec_b64 s[24:25], s[4:5]
	s_cbranch_execz .LBB3_695
.LBB3_700:                              ;   in Loop: Header=BB3_671 Depth=2
	s_and_saveexec_b64 vcc, s[38:39]
	s_xor_b64 s[52:53], exec, vcc
	s_cbranch_execz .LBB3_715
; %bb.701:                              ;   in Loop: Header=BB3_671 Depth=2
	s_and_saveexec_b64 s[54:55], s[12:13]
	s_cbranch_execz .LBB3_714
; %bb.702:                              ;   in Loop: Header=BB3_671 Depth=2
	s_mov_b64 s[58:59], exec
	v_mbcnt_lo_u32_b32 v2, s58, 0
	v_mbcnt_hi_u32_b32 v2, s59, v2
	v_cmp_eq_u32_e32 vcc, 0, v2
	s_waitcnt lgkmcnt(0)
	s_and_saveexec_b64 s[56:57], vcc
	s_cbranch_execz .LBB3_704
; %bb.703:                              ;   in Loop: Header=BB3_671 Depth=2
	s_bcnt1_i32_b64 vcc_lo, s[58:59]
	v_mov_b32_e32 v2, vcc_lo
	ds_add_u64 v0, v[2:3]
	s_trap 2
.LBB3_704:                              ;   in Loop: Header=BB3_671 Depth=2
	s_or_b64 exec, exec, s[56:57]
	s_trap 2
	ds_read_b64 v[4:5], v0
	v_lshl_add_u64 v[12:13], v[12:13], 0, v[34:35]
	s_waitcnt lgkmcnt(0)
	v_cmp_lt_u64_e32 vcc, v[4:5], v[12:13]
	s_and_saveexec_b64 s[56:57], vcc
	s_cbranch_execz .LBB3_713
; %bb.705:                              ;   in Loop: Header=BB3_671 Depth=2
	s_mov_b32 s68, 0
	s_mov_b64 s[58:59], 0
                                        ; implicit-def: $sgpr60_sgpr61
                                        ; implicit-def: $sgpr62_sgpr63
	s_branch .LBB3_707
.LBB3_706:                              ;   in Loop: Header=BB3_707 Depth=3
	s_or_b64 exec, exec, s[66:67]
	s_and_b64 vcc, exec, vcc
	s_or_b64 s[58:59], vcc, s[58:59]
	s_andn2_b64 vcc, s[60:61], exec
	s_and_b64 s[60:61], s[62:63], exec
	s_or_b64 s[60:61], vcc, s[60:61]
	s_andn2_b64 exec, exec, s[58:59]
	s_cbranch_execz .LBB3_711
.LBB3_707:                              ;   Parent Loop BB3_47 Depth=1
                                        ;     Parent Loop BB3_671 Depth=2
                                        ; =>    This Inner Loop Header: Depth=3
	s_add_i32 s68, s68, 1
	s_cmpk_lg_i32 s68, 0x2710
	s_cselect_b64 s[64:65], -1, 0
	s_and_b64 vcc, exec, s[64:65]
                                        ; implicit-def: $sgpr66_sgpr67
	s_cbranch_vccnz .LBB3_709
; %bb.708:                              ;   in Loop: Header=BB3_707 Depth=3
	s_trap 2
	ds_read_b64 v[4:5], v0
	s_andn2_b64 s[64:65], s[64:65], exec
	s_mov_b32 s68, 0
	s_mov_b64 s[66:67], -1
	s_waitcnt vmcnt(0) lgkmcnt(0)
	flat_load_dword v2, v[4:5] sc0 sc1
	s_waitcnt vmcnt(0) lgkmcnt(0)
	buffer_inv sc0 sc1
	v_cmp_eq_u32_e32 vcc, 0, v2
	s_and_b64 vcc, vcc, exec
	s_or_b64 s[64:65], s[64:65], vcc
.LBB3_709:                              ;   in Loop: Header=BB3_707 Depth=3
	s_andn2_b64 s[62:63], s[62:63], exec
	s_and_b64 s[66:67], s[66:67], exec
	s_mov_b64 vcc, -1
	s_or_b64 s[62:63], s[62:63], s[66:67]
	s_and_saveexec_b64 s[66:67], s[64:65]
	s_cbranch_execz .LBB3_706
; %bb.710:                              ;   in Loop: Header=BB3_707 Depth=3
	s_sleep 1
	s_trap 2
	ds_read_b64 v[4:5], v0
	s_andn2_b64 s[62:63], s[62:63], exec
	s_waitcnt lgkmcnt(0)
	v_cmp_ge_u64_e32 vcc, v[4:5], v[12:13]
	s_orn2_b64 vcc, vcc, exec
	s_branch .LBB3_706
.LBB3_711:                              ;   in Loop: Header=BB3_671 Depth=2
	s_or_b64 exec, exec, s[58:59]
	s_and_saveexec_b64 vcc, s[60:61]
	s_xor_b64 vcc, exec, vcc
	s_cbranch_execz .LBB3_713
; %bb.712:                              ;   in Loop: Header=BB3_671 Depth=2
	ds_write_b32 v0, v56
	s_trap 2
.LBB3_713:                              ;   in Loop: Header=BB3_671 Depth=2
	s_or_b64 exec, exec, s[56:57]
	;;#ASMSTART
	s_wakeup
	;;#ASMEND
.LBB3_714:                              ;   in Loop: Header=BB3_671 Depth=2
	s_or_b64 exec, exec, s[54:55]
.LBB3_715:                              ;   in Loop: Header=BB3_671 Depth=2
	s_andn2_saveexec_b64 vcc, s[52:53]
	s_cbranch_execz .LBB3_717
; %bb.716:                              ;   in Loop: Header=BB3_671 Depth=2
	s_waitcnt lgkmcnt(0)
	s_barrier
.LBB3_717:                              ;   in Loop: Header=BB3_671 Depth=2
	s_or_b64 exec, exec, vcc
	s_or_b64 exec, exec, s[24:25]
                                        ; implicit-def: $vgpr2
	s_and_saveexec_b64 s[24:25], s[20:21]
	s_xor_b64 s[24:25], exec, s[24:25]
	s_cbranch_execnz .LBB3_696
.LBB3_718:                              ;   in Loop: Header=BB3_671 Depth=2
	s_andn2_saveexec_b64 s[24:25], s[24:25]
	s_cbranch_execz .LBB3_737
.LBB3_719:                              ;   in Loop: Header=BB3_671 Depth=2
	s_and_saveexec_b64 vcc, s[38:39]
	s_xor_b64 s[52:53], exec, vcc
	s_cbranch_execz .LBB3_734
; %bb.720:                              ;   in Loop: Header=BB3_671 Depth=2
	s_and_saveexec_b64 s[54:55], s[12:13]
	s_cbranch_execz .LBB3_733
; %bb.721:                              ;   in Loop: Header=BB3_671 Depth=2
	s_mov_b64 s[58:59], exec
	v_mbcnt_lo_u32_b32 v2, s58, 0
	v_mbcnt_hi_u32_b32 v2, s59, v2
	v_cmp_eq_u32_e32 vcc, 0, v2
	;;#ASMSTART
	s_waitcnt lgkmcnt(0) vmcnt(0)
	;;#ASMEND
	s_and_saveexec_b64 s[56:57], vcc
	s_cbranch_execz .LBB3_723
; %bb.722:                              ;   in Loop: Header=BB3_671 Depth=2
	s_bcnt1_i32_b64 vcc_lo, s[58:59]
	v_mov_b32_e32 v2, vcc_lo
	ds_add_u64 v0, v[2:3]
	s_trap 2
.LBB3_723:                              ;   in Loop: Header=BB3_671 Depth=2
	s_or_b64 exec, exec, s[56:57]
	s_trap 2
	ds_read_b64 v[4:5], v0
	v_lshl_add_u64 v[12:13], v[12:13], 0, v[34:35]
	s_waitcnt lgkmcnt(0)
	v_cmp_lt_u64_e32 vcc, v[4:5], v[12:13]
	s_and_saveexec_b64 s[56:57], vcc
	s_cbranch_execz .LBB3_732
; %bb.724:                              ;   in Loop: Header=BB3_671 Depth=2
	s_mov_b32 s68, 0
	s_mov_b64 s[58:59], 0
                                        ; implicit-def: $sgpr60_sgpr61
                                        ; implicit-def: $sgpr62_sgpr63
	s_branch .LBB3_726
.LBB3_725:                              ;   in Loop: Header=BB3_726 Depth=3
	s_or_b64 exec, exec, s[66:67]
	s_and_b64 vcc, exec, vcc
	s_or_b64 s[58:59], vcc, s[58:59]
	s_andn2_b64 vcc, s[60:61], exec
	s_and_b64 s[60:61], s[62:63], exec
	s_or_b64 s[60:61], vcc, s[60:61]
	s_andn2_b64 exec, exec, s[58:59]
	s_cbranch_execz .LBB3_730
.LBB3_726:                              ;   Parent Loop BB3_47 Depth=1
                                        ;     Parent Loop BB3_671 Depth=2
                                        ; =>    This Inner Loop Header: Depth=3
	s_add_i32 s68, s68, 1
	s_cmpk_lg_i32 s68, 0x2710
	s_cselect_b64 s[64:65], -1, 0
	s_and_b64 vcc, exec, s[64:65]
                                        ; implicit-def: $sgpr66_sgpr67
	s_cbranch_vccnz .LBB3_728
; %bb.727:                              ;   in Loop: Header=BB3_726 Depth=3
	s_trap 2
	ds_read_b64 v[4:5], v0
	s_andn2_b64 s[64:65], s[64:65], exec
	s_mov_b32 s68, 0
	s_mov_b64 s[66:67], -1
	s_waitcnt vmcnt(0) lgkmcnt(0)
	flat_load_dword v2, v[4:5] sc0 sc1
	s_waitcnt vmcnt(0) lgkmcnt(0)
	buffer_inv sc0 sc1
	v_cmp_eq_u32_e32 vcc, 0, v2
	s_and_b64 vcc, vcc, exec
	s_or_b64 s[64:65], s[64:65], vcc
.LBB3_728:                              ;   in Loop: Header=BB3_726 Depth=3
	s_andn2_b64 s[62:63], s[62:63], exec
	s_and_b64 s[66:67], s[66:67], exec
	s_mov_b64 vcc, -1
	s_or_b64 s[62:63], s[62:63], s[66:67]
	s_and_saveexec_b64 s[66:67], s[64:65]
	s_cbranch_execz .LBB3_725
; %bb.729:                              ;   in Loop: Header=BB3_726 Depth=3
	s_sleep 1
	s_trap 2
	ds_read_b64 v[4:5], v0
	s_andn2_b64 s[62:63], s[62:63], exec
	s_waitcnt lgkmcnt(0)
	v_cmp_ge_u64_e32 vcc, v[4:5], v[12:13]
	s_orn2_b64 vcc, vcc, exec
	s_branch .LBB3_725
.LBB3_730:                              ;   in Loop: Header=BB3_671 Depth=2
	s_or_b64 exec, exec, s[58:59]
	s_and_saveexec_b64 vcc, s[60:61]
	s_xor_b64 vcc, exec, vcc
	s_cbranch_execz .LBB3_732
; %bb.731:                              ;   in Loop: Header=BB3_671 Depth=2
	ds_write_b32 v0, v56
	s_trap 2
.LBB3_732:                              ;   in Loop: Header=BB3_671 Depth=2
	s_or_b64 exec, exec, s[56:57]
	;;#ASMSTART
	s_wakeup
	;;#ASMEND
.LBB3_733:                              ;   in Loop: Header=BB3_671 Depth=2
	s_or_b64 exec, exec, s[54:55]
.LBB3_734:                              ;   in Loop: Header=BB3_671 Depth=2
	s_andn2_saveexec_b64 vcc, s[52:53]
	s_cbranch_execz .LBB3_736
; %bb.735:                              ;   in Loop: Header=BB3_671 Depth=2
	;;#ASMSTART
	s_waitcnt lgkmcnt(0) vmcnt(0)
	;;#ASMEND
	s_barrier
.LBB3_736:                              ;   in Loop: Header=BB3_671 Depth=2
	s_or_b64 exec, exec, vcc
	v_and_b32_e32 v2, 16, v62
.LBB3_737:                              ;   in Loop: Header=BB3_671 Depth=2
	s_or_b64 exec, exec, s[24:25]
	v_cmp_ne_u32_e32 vcc, 0, v2
	s_xor_b64 s[24:25], s[6:7], -1
	s_and_b64 vcc, vcc, s[24:25]
	s_and_saveexec_b64 s[24:25], vcc
	s_cbranch_execz .LBB3_739
; %bb.738:                              ;   in Loop: Header=BB3_671 Depth=2
	flat_store_dword v[28:29], v56 sc0 sc1
.LBB3_739:                              ;   in Loop: Header=BB3_671 Depth=2
	s_or_b64 exec, exec, s[24:25]
	v_and_b32_e32 v2, 48, v62
	v_cmp_ne_u32_e32 vcc, 0, v2
	s_and_saveexec_b64 s[24:25], vcc
	s_cbranch_execz .LBB3_670
; %bb.740:                              ;   in Loop: Header=BB3_671 Depth=2
	v_lshl_add_u64 v[20:21], v[20:21], 0, 2
	flat_store_dwordx2 v[22:23], v[20:21] sc0 sc1
	s_branch .LBB3_670
.LBB3_741:                              ;   in Loop: Header=BB3_47 Depth=1
	s_or_b64 exec, exec, s[54:55]
	s_or_b64 exec, exec, s[52:53]
	v_cmp_gt_i32_e32 vcc, 2, v2
	s_and_saveexec_b64 s[26:27], vcc
	s_cbranch_execnz .LBB3_669
.LBB3_742:                              ;   in Loop: Header=BB3_47 Depth=1
	s_or_b64 exec, exec, s[26:27]
	s_and_b64 vcc, exec, s[22:23]
	s_cbranch_vccz .LBB3_744
	s_branch .LBB3_1002
.LBB3_743:                              ;   in Loop: Header=BB3_47 Depth=1
	s_or_b64 exec, exec, s[28:29]
	s_or_b64 exec, exec, s[26:27]
	s_and_b64 vcc, exec, s[22:23]
	s_cbranch_vccnz .LBB3_1002
.LBB3_744:                              ;   in Loop: Header=BB3_47 Depth=1
	s_mov_b32 s68, 1
.LBB3_745:                              ;   Parent Loop BB3_47 Depth=1
                                        ; =>  This Loop Header: Depth=2
                                        ;       Child Loop BB3_748 Depth 3
                                        ;         Child Loop BB3_756 Depth 4
                                        ;         Child Loop BB3_782 Depth 4
	;; [unrolled: 1-line block ×4, first 2 shown]
                                        ;           Child Loop BB3_823 Depth 5
                                        ;         Child Loop BB3_829 Depth 4
                                        ;           Child Loop BB3_830 Depth 5
                                        ;         Child Loop BB3_839 Depth 4
                                        ;         Child Loop BB3_844 Depth 4
                                        ;           Child Loop BB3_845 Depth 5
                                        ;         Child Loop BB3_858 Depth 4
                                        ;         Child Loop BB3_863 Depth 4
	;; [unrolled: 1-line block ×6, first 2 shown]
                                        ;       Child Loop BB3_928 Depth 3
                                        ;         Child Loop BB3_934 Depth 4
                                        ;         Child Loop BB3_964 Depth 4
	;; [unrolled: 1-line block ×3, first 2 shown]
	s_sub_i32 s22, s73, s68
	s_cmp_le_i32 s70, s22
	s_cselect_b32 s23, s70, 0
	s_sub_i32 s22, s22, s23
	v_accvgpr_read_b32 v10, a26
	s_ashr_i32 s23, s22, 31
	v_accvgpr_read_b32 v11, a27
	v_mul_lo_u32 v2, v10, s23
	v_mul_lo_u32 v8, v11, s22
	v_mad_u64_u32 v[4:5], s[22:23], v10, s22, 0
	v_add3_u32 v5, v5, v2, v8
	v_accvgpr_read_b32 v8, a28
	v_accvgpr_read_b32 v9, a29
	v_sub_co_u32_e32 v8, vcc, v8, v4
	v_mov_b32_e32 v18, 0
	s_nop 0
	v_subb_co_u32_e32 v9, vcc, v9, v5, vcc
	v_cmp_lt_i64_e32 vcc, v[10:11], v[8:9]
	s_nop 1
	v_cndmask_b32_e32 v2, v8, v10, vcc
	v_max_i32_e32 v46, 0, v2
	v_add_u32_e32 v8, 31, v46
	v_ashrrev_i32_e32 v9, 31, v8
	v_lshrrev_b32_e32 v9, 27, v9
	v_add_u32_e32 v8, v8, v9
	v_ashrrev_i32_e32 v8, 5, v8
	v_lshlrev_b32_e32 v8, 4, v8
	v_cmp_lt_i32_e32 vcc, 0, v2
	v_max_i32_e32 v16, s76, v8
	s_and_b64 s[22:23], s[50:51], vcc
	v_mov_b32_e32 v2, 0
	s_and_saveexec_b64 s[28:29], s[22:23]
	s_cbranch_execz .LBB3_925
; %bb.746:                              ;   in Loop: Header=BB3_745 Depth=2
	v_accvgpr_read_b32 v8, a30
	v_accvgpr_read_b32 v9, a31
	v_lshl_add_u64 v[4:5], v[4:5], 0, v[8:9]
	s_mov_b32 s69, 1
	s_mov_b64 s[54:55], -1
	s_mov_b64 s[52:53], 0
	v_mov_b32_e32 v18, 0
	v_lshlrev_b64 v[30:31], 1, v[4:5]
	s_branch .LBB3_748
.LBB3_747:                              ;   in Loop: Header=BB3_748 Depth=3
	s_or_b64 exec, exec, s[22:23]
	v_add_u32_e32 v18, v16, v18
	v_cmp_ge_i32_e32 vcc, v18, v46
	s_xor_b64 s[22:23], s[54:55], -1
	s_or_b64 s[22:23], s[22:23], vcc
	s_and_b64 s[22:23], exec, s[22:23]
	s_or_b64 s[52:53], s[22:23], s[52:53]
	s_mov_b64 s[54:55], 0
	v_mov_b32_e32 v2, s69
	s_mov_b32 s69, 2
	s_andn2_b64 exec, exec, s[52:53]
	s_cbranch_execz .LBB3_998
.LBB3_748:                              ;   Parent Loop BB3_47 Depth=1
                                        ;     Parent Loop BB3_745 Depth=2
                                        ; =>    This Loop Header: Depth=3
                                        ;         Child Loop BB3_756 Depth 4
                                        ;         Child Loop BB3_782 Depth 4
	;; [unrolled: 1-line block ×4, first 2 shown]
                                        ;           Child Loop BB3_823 Depth 5
                                        ;         Child Loop BB3_829 Depth 4
                                        ;           Child Loop BB3_830 Depth 5
                                        ;         Child Loop BB3_839 Depth 4
                                        ;         Child Loop BB3_844 Depth 4
                                        ;           Child Loop BB3_845 Depth 5
                                        ;         Child Loop BB3_858 Depth 4
                                        ;         Child Loop BB3_863 Depth 4
	;; [unrolled: 1-line block ×6, first 2 shown]
	s_and_saveexec_b64 s[22:23], s[0:1]
	s_cbranch_execz .LBB3_750
; %bb.749:                              ;   in Loop: Header=BB3_748 Depth=3
	s_trap 2
	ds_read_b128 v[8:11], v0
	v_ashrrev_i32_e32 v19, 31, v18
	v_lshlrev_b64 v[4:5], 1, v[18:19]
	s_waitcnt lgkmcnt(0)
	v_lshl_add_u64 v[8:9], v[8:9], 0, v[30:31]
	v_lshl_add_u64 v[14:15], v[10:11], 0, v[30:31]
	;; [unrolled: 1-line block ×4, first 2 shown]
	v_cmp_ne_u64_e32 vcc, 0, v[10:11]
	ds_write_b64 v0, v[8:9]
	s_nop 0
	v_cndmask_b32_e32 v5, 0, v5, vcc
	v_cndmask_b32_e32 v4, 0, v4, vcc
	ds_write_b64 v0, v[4:5]
.LBB3_750:                              ;   in Loop: Header=BB3_748 Depth=3
	s_or_b64 exec, exec, s[22:23]
	v_and_b32_e32 v2, 12, v62
	v_cmp_ne_u32_e32 vcc, 0, v2
	s_mov_b64 s[24:25], -1
	s_and_saveexec_b64 s[22:23], vcc
	s_cbranch_execz .LBB3_762
; %bb.751:                              ;   in Loop: Header=BB3_748 Depth=3
	v_and_b32_e32 v2, 8, v62
	v_lshl_add_u64 v[8:9], v[32:33], 0, v[2:3]
	v_lshl_add_u64 v[4:5], v[20:21], 0, 2
	v_cmp_lt_u64_e32 vcc, v[8:9], v[4:5]
	v_mov_b32_e32 v8, 1
	s_and_saveexec_b64 s[24:25], vcc
	s_cbranch_execz .LBB3_761
; %bb.752:                              ;   in Loop: Header=BB3_748 Depth=3
	s_mov_b64 s[26:27], 0
	v_mov_b32_e32 v8, 0
                                        ; implicit-def: $sgpr56_sgpr57
	s_branch .LBB3_756
.LBB3_753:                              ;   in Loop: Header=BB3_756 Depth=4
	s_or_b64 exec, exec, s[64:65]
	v_mov_b32_e32 v9, 0
	s_orn2_b64 s[62:63], s[62:63], exec
.LBB3_754:                              ;   in Loop: Header=BB3_756 Depth=4
	s_or_b64 exec, exec, s[60:61]
	s_andn2_b64 vcc, s[56:57], exec
	s_and_b64 s[56:57], s[62:63], exec
	s_or_b64 s[56:57], vcc, s[56:57]
	v_mov_b32_e32 v8, v9
.LBB3_755:                              ;   in Loop: Header=BB3_756 Depth=4
	s_or_b64 exec, exec, s[58:59]
	s_waitcnt vmcnt(0) lgkmcnt(0)
	v_lshl_add_u64 v[10:11], v[32:33], 0, v[2:3]
	v_cmp_ge_u64_e32 vcc, v[10:11], v[4:5]
	s_xor_b64 s[58:59], s[56:57], -1
	s_or_b64 vcc, s[58:59], vcc
	s_and_b64 vcc, exec, vcc
	s_or_b64 s[26:27], vcc, s[26:27]
	s_andn2_b64 exec, exec, s[26:27]
	s_cbranch_execz .LBB3_760
.LBB3_756:                              ;   Parent Loop BB3_47 Depth=1
                                        ;     Parent Loop BB3_745 Depth=2
                                        ;       Parent Loop BB3_748 Depth=3
                                        ; =>      This Inner Loop Header: Depth=4
	s_sleep 1
	flat_load_dwordx2 v[32:33], v[22:23] sc0 sc1
	v_and_b32_e32 v9, 64, v62
	v_cmp_eq_u32_e32 vcc, 0, v9
	s_andn2_b64 s[56:57], s[56:57], exec
	s_and_saveexec_b64 s[58:59], vcc
	s_cbranch_execz .LBB3_755
; %bb.757:                              ;   in Loop: Header=BB3_756 Depth=4
	v_add_u32_e32 v9, 1, v8
	v_cmp_lt_i32_e32 vcc, s72, v8
	s_mov_b64 s[62:63], -1
	s_and_saveexec_b64 s[60:61], vcc
	s_cbranch_execz .LBB3_754
; %bb.758:                              ;   in Loop: Header=BB3_756 Depth=4
	s_trap 2
	ds_read_b64 v[8:9], v0
	s_waitcnt vmcnt(0) lgkmcnt(0)
	flat_load_dword v8, v[8:9] sc0 sc1
	s_waitcnt vmcnt(0) lgkmcnt(0)
	buffer_inv sc0 sc1
	v_cmp_ne_u32_e32 vcc, 0, v8
	s_and_saveexec_b64 s[64:65], vcc
	s_cbranch_execz .LBB3_753
; %bb.759:                              ;   in Loop: Header=BB3_756 Depth=4
	v_or_b32_e32 v62, 64, v62
	s_xor_b64 s[62:63], exec, -1
	ds_write_b32 v0, v8
	s_trap 2
	s_branch .LBB3_753
.LBB3_760:                              ;   in Loop: Header=BB3_748 Depth=3
	s_or_b64 exec, exec, s[26:27]
	v_and_b32_e32 v8, 12, v62
.LBB3_761:                              ;   in Loop: Header=BB3_748 Depth=3
	s_or_b64 exec, exec, s[24:25]
	v_cmp_eq_u32_e32 vcc, 0, v8
	s_orn2_b64 s[24:25], vcc, exec
	;;#ASMSTART
	s_wakeup
	;;#ASMEND
.LBB3_762:                              ;   in Loop: Header=BB3_748 Depth=3
	s_or_b64 exec, exec, s[22:23]
	v_sub_u32_e32 v2, v46, v18
	s_xor_b64 s[22:23], s[24:25], -1
	v_min_i32_e32 v16, v16, v2
	s_and_saveexec_b64 s[24:25], s[22:23]
	s_cbranch_execz .LBB3_774
; %bb.763:                              ;   in Loop: Header=BB3_748 Depth=3
	v_and_b32_e32 v2, 0x108, v62
	v_cmp_ne_u32_e32 vcc, s80, v2
	v_and_b32_e32 v2, 7, v20
	s_and_saveexec_b64 s[22:23], vcc
	s_xor_b64 s[22:23], exec, s[22:23]
	s_andn2_saveexec_b64 s[22:23], s[22:23]
	s_cbranch_execz .LBB3_765
; %bb.764:                              ;   in Loop: Header=BB3_748 Depth=3
	v_ashrrev_i32_e32 v17, 31, v16
	v_mad_u64_u32 v[4:5], s[26:27], v2, 24, v[6:7]
	v_lshlrev_b64 v[8:9], 1, v[16:17]
	flat_store_dwordx2 v[4:5], v[8:9] offset:8
.LBB3_765:                              ;   in Loop: Header=BB3_748 Depth=3
	s_or_b64 exec, exec, s[22:23]
	v_and_b32_e32 v4, 0x100, v62
	v_cmp_ne_u32_e32 vcc, 0, v4
	s_mov_b64 s[22:23], -1
                                        ; implicit-def: $vgpr4_vgpr5
	s_and_saveexec_b64 s[26:27], vcc
	s_cbranch_execz .LBB3_769
; %bb.766:                              ;   in Loop: Header=BB3_748 Depth=3
	v_mad_u64_u32 v[8:9], s[22:23], v2, 24, v[6:7]
	v_mov_b32_e32 v4, v9
	v_mad_u64_u32 v[4:5], s[22:23], v3, 24, v[4:5]
	v_mov_b32_e32 v9, v4
	flat_load_dword v4, v[8:9]
	s_waitcnt vmcnt(0) lgkmcnt(0)
	v_cmp_ne_u32_e32 vcc, 1, v4
	v_cmp_eq_u32_e64 s[22:23], 1, v4
                                        ; implicit-def: $vgpr4_vgpr5
	s_and_saveexec_b64 s[56:57], s[22:23]
	s_cbranch_execz .LBB3_768
; %bb.767:                              ;   in Loop: Header=BB3_748 Depth=3
	flat_load_dword v4, v[8:9] offset:4 sc0 sc1
	s_waitcnt vmcnt(0) lgkmcnt(0)
	v_ashrrev_i32_e32 v5, 31, v4
	v_lshrrev_b64 v[4:5], 1, v[4:5]
.LBB3_768:                              ;   in Loop: Header=BB3_748 Depth=3
	s_or_b64 exec, exec, s[56:57]
	s_orn2_b64 s[22:23], vcc, exec
.LBB3_769:                              ;   in Loop: Header=BB3_748 Depth=3
	s_or_b64 exec, exec, s[26:27]
	s_and_saveexec_b64 s[26:27], s[22:23]
; %bb.770:                              ;   in Loop: Header=BB3_748 Depth=3
	v_mul_lo_u32 v8, v3, v24
	v_mul_lo_u32 v9, v2, v57
	v_mad_u64_u32 v[4:5], s[22:23], v2, v24, 0
	v_add3_u32 v5, v5, v9, v8
; %bb.771:                              ;   in Loop: Header=BB3_748 Depth=3
	s_or_b64 exec, exec, s[26:27]
	v_and_b32_e32 v2, 0x2000, v62
	v_lshl_add_u64 v[4:5], v[4:5], 1, v[26:27]
	v_cmp_ne_u32_e32 vcc, 0, v2
	s_trap 2
	ds_write_b64 v0, v[4:5]
	s_and_saveexec_b64 s[22:23], vcc
	s_cbranch_execz .LBB3_773
; %bb.772:                              ;   in Loop: Header=BB3_748 Depth=3
	ds_read_b64 v[4:5], v0 offset:584
	s_waitcnt lgkmcnt(0)
	v_lshl_add_u64 v[4:5], v[4:5], 0, 1
	ds_write_b64 v0, v[4:5] offset:584
.LBB3_773:                              ;   in Loop: Header=BB3_748 Depth=3
	s_or_b64 exec, exec, s[22:23]
	v_lshl_add_u64 v[20:21], v[20:21], 0, 2
.LBB3_774:                              ;   in Loop: Header=BB3_748 Depth=3
	s_or_b64 exec, exec, s[24:25]
	s_and_saveexec_b64 s[22:23], s[4:5]
	s_cbranch_execz .LBB3_793
; %bb.775:                              ;   in Loop: Header=BB3_748 Depth=3
	s_and_saveexec_b64 s[24:25], s[38:39]
	s_xor_b64 s[24:25], exec, s[24:25]
	s_cbranch_execz .LBB3_790
; %bb.776:                              ;   in Loop: Header=BB3_748 Depth=3
	s_and_saveexec_b64 s[26:27], s[12:13]
	s_cbranch_execz .LBB3_789
; %bb.777:                              ;   in Loop: Header=BB3_748 Depth=3
	s_mov_b64 s[58:59], exec
	v_mbcnt_lo_u32_b32 v2, s58, 0
	v_mbcnt_hi_u32_b32 v2, s59, v2
	v_cmp_eq_u32_e32 vcc, 0, v2
	s_waitcnt lgkmcnt(0)
	s_and_saveexec_b64 s[56:57], vcc
	s_cbranch_execz .LBB3_779
; %bb.778:                              ;   in Loop: Header=BB3_748 Depth=3
	s_bcnt1_i32_b64 vcc_lo, s[58:59]
	v_mov_b32_e32 v2, vcc_lo
	ds_add_u64 v0, v[2:3]
	s_trap 2
.LBB3_779:                              ;   in Loop: Header=BB3_748 Depth=3
	s_or_b64 exec, exec, s[56:57]
	s_trap 2
	ds_read_b64 v[4:5], v0
	v_lshl_add_u64 v[12:13], v[12:13], 0, v[34:35]
	s_waitcnt lgkmcnt(0)
	v_cmp_lt_u64_e32 vcc, v[4:5], v[12:13]
	s_and_saveexec_b64 s[56:57], vcc
	s_cbranch_execz .LBB3_788
; %bb.780:                              ;   in Loop: Header=BB3_748 Depth=3
	s_mov_b32 s81, 0
	s_mov_b64 s[58:59], 0
                                        ; implicit-def: $sgpr60_sgpr61
                                        ; implicit-def: $sgpr62_sgpr63
	s_branch .LBB3_782
.LBB3_781:                              ;   in Loop: Header=BB3_782 Depth=4
	s_or_b64 exec, exec, s[66:67]
	s_and_b64 vcc, exec, vcc
	s_or_b64 s[58:59], vcc, s[58:59]
	s_andn2_b64 vcc, s[60:61], exec
	s_and_b64 s[60:61], s[62:63], exec
	s_or_b64 s[60:61], vcc, s[60:61]
	s_andn2_b64 exec, exec, s[58:59]
	s_cbranch_execz .LBB3_786
.LBB3_782:                              ;   Parent Loop BB3_47 Depth=1
                                        ;     Parent Loop BB3_745 Depth=2
                                        ;       Parent Loop BB3_748 Depth=3
                                        ; =>      This Inner Loop Header: Depth=4
	s_add_i32 s81, s81, 1
	s_cmpk_lg_i32 s81, 0x2710
	s_cselect_b64 s[64:65], -1, 0
	s_and_b64 vcc, exec, s[64:65]
                                        ; implicit-def: $sgpr66_sgpr67
	s_cbranch_vccnz .LBB3_784
; %bb.783:                              ;   in Loop: Header=BB3_782 Depth=4
	s_trap 2
	ds_read_b64 v[4:5], v0
	s_andn2_b64 s[64:65], s[64:65], exec
	s_mov_b32 s81, 0
	s_mov_b64 s[66:67], -1
	s_waitcnt vmcnt(0) lgkmcnt(0)
	flat_load_dword v2, v[4:5] sc0 sc1
	s_waitcnt vmcnt(0) lgkmcnt(0)
	buffer_inv sc0 sc1
	v_cmp_eq_u32_e32 vcc, 0, v2
	s_and_b64 vcc, vcc, exec
	s_or_b64 s[64:65], s[64:65], vcc
.LBB3_784:                              ;   in Loop: Header=BB3_782 Depth=4
	s_andn2_b64 s[62:63], s[62:63], exec
	s_and_b64 s[66:67], s[66:67], exec
	s_mov_b64 vcc, -1
	s_or_b64 s[62:63], s[62:63], s[66:67]
	s_and_saveexec_b64 s[66:67], s[64:65]
	s_cbranch_execz .LBB3_781
; %bb.785:                              ;   in Loop: Header=BB3_782 Depth=4
	s_sleep 1
	s_trap 2
	ds_read_b64 v[4:5], v0
	s_andn2_b64 s[62:63], s[62:63], exec
	s_waitcnt lgkmcnt(0)
	v_cmp_ge_u64_e32 vcc, v[4:5], v[12:13]
	s_orn2_b64 vcc, vcc, exec
	s_branch .LBB3_781
.LBB3_786:                              ;   in Loop: Header=BB3_748 Depth=3
	s_or_b64 exec, exec, s[58:59]
	s_and_saveexec_b64 vcc, s[60:61]
	s_xor_b64 vcc, exec, vcc
	s_cbranch_execz .LBB3_788
; %bb.787:                              ;   in Loop: Header=BB3_748 Depth=3
	ds_write_b32 v0, v56
	s_trap 2
.LBB3_788:                              ;   in Loop: Header=BB3_748 Depth=3
	s_or_b64 exec, exec, s[56:57]
	;;#ASMSTART
	s_wakeup
	;;#ASMEND
.LBB3_789:                              ;   in Loop: Header=BB3_748 Depth=3
	s_or_b64 exec, exec, s[26:27]
.LBB3_790:                              ;   in Loop: Header=BB3_748 Depth=3
	s_andn2_saveexec_b64 s[24:25], s[24:25]
	s_cbranch_execz .LBB3_792
; %bb.791:                              ;   in Loop: Header=BB3_748 Depth=3
	s_waitcnt lgkmcnt(0)
	s_barrier
.LBB3_792:                              ;   in Loop: Header=BB3_748 Depth=3
	s_or_b64 exec, exec, s[24:25]
.LBB3_793:                              ;   in Loop: Header=BB3_748 Depth=3
	s_or_b64 exec, exec, s[22:23]
	s_trap 2
	ds_read_b32 v4, v0
	v_and_b32_e32 v2, 0x4000, v62
	v_cmp_ne_u32_e32 vcc, 0, v2
	s_xor_b64 s[22:23], s[2:3], -1
	s_and_b64 s[24:25], s[22:23], vcc
	s_and_saveexec_b64 s[22:23], s[24:25]
	s_cbranch_execz .LBB3_812
; %bb.794:                              ;   in Loop: Header=BB3_748 Depth=3
	s_and_saveexec_b64 s[24:25], s[38:39]
	s_xor_b64 s[24:25], exec, s[24:25]
	s_cbranch_execz .LBB3_809
; %bb.795:                              ;   in Loop: Header=BB3_748 Depth=3
	s_and_saveexec_b64 s[26:27], s[12:13]
	s_cbranch_execz .LBB3_808
; %bb.796:                              ;   in Loop: Header=BB3_748 Depth=3
	s_mov_b64 s[58:59], exec
	v_mbcnt_lo_u32_b32 v2, s58, 0
	v_mbcnt_hi_u32_b32 v2, s59, v2
	v_cmp_eq_u32_e32 vcc, 0, v2
	s_waitcnt lgkmcnt(0)
	s_and_saveexec_b64 s[56:57], vcc
	s_cbranch_execz .LBB3_798
; %bb.797:                              ;   in Loop: Header=BB3_748 Depth=3
	s_bcnt1_i32_b64 vcc_lo, s[58:59]
	v_mov_b32_e32 v2, vcc_lo
	ds_add_u64 v0, v[2:3]
	s_trap 2
.LBB3_798:                              ;   in Loop: Header=BB3_748 Depth=3
	s_or_b64 exec, exec, s[56:57]
	s_trap 2
	ds_read_b64 v[8:9], v0
	v_lshl_add_u64 v[12:13], v[12:13], 0, v[34:35]
	s_waitcnt lgkmcnt(0)
	v_cmp_lt_u64_e32 vcc, v[8:9], v[12:13]
	s_and_saveexec_b64 s[56:57], vcc
	s_cbranch_execz .LBB3_807
; %bb.799:                              ;   in Loop: Header=BB3_748 Depth=3
	s_mov_b32 s81, 0
	s_mov_b64 s[58:59], 0
                                        ; implicit-def: $sgpr60_sgpr61
                                        ; implicit-def: $sgpr62_sgpr63
	s_branch .LBB3_801
.LBB3_800:                              ;   in Loop: Header=BB3_801 Depth=4
	s_or_b64 exec, exec, s[66:67]
	s_and_b64 vcc, exec, vcc
	s_or_b64 s[58:59], vcc, s[58:59]
	s_andn2_b64 vcc, s[60:61], exec
	s_and_b64 s[60:61], s[62:63], exec
	s_or_b64 s[60:61], vcc, s[60:61]
	s_andn2_b64 exec, exec, s[58:59]
	s_cbranch_execz .LBB3_805
.LBB3_801:                              ;   Parent Loop BB3_47 Depth=1
                                        ;     Parent Loop BB3_745 Depth=2
                                        ;       Parent Loop BB3_748 Depth=3
                                        ; =>      This Inner Loop Header: Depth=4
	s_add_i32 s81, s81, 1
	s_cmpk_lg_i32 s81, 0x2710
	s_cselect_b64 s[64:65], -1, 0
	s_and_b64 vcc, exec, s[64:65]
                                        ; implicit-def: $sgpr66_sgpr67
	s_cbranch_vccnz .LBB3_803
; %bb.802:                              ;   in Loop: Header=BB3_801 Depth=4
	s_trap 2
	ds_read_b64 v[8:9], v0
	s_andn2_b64 s[64:65], s[64:65], exec
	s_mov_b32 s81, 0
	s_mov_b64 s[66:67], -1
	s_waitcnt vmcnt(0) lgkmcnt(0)
	flat_load_dword v2, v[8:9] sc0 sc1
	s_waitcnt vmcnt(0) lgkmcnt(0)
	buffer_inv sc0 sc1
	v_cmp_eq_u32_e32 vcc, 0, v2
	s_and_b64 vcc, vcc, exec
	s_or_b64 s[64:65], s[64:65], vcc
.LBB3_803:                              ;   in Loop: Header=BB3_801 Depth=4
	s_andn2_b64 s[62:63], s[62:63], exec
	s_and_b64 s[66:67], s[66:67], exec
	s_mov_b64 vcc, -1
	s_or_b64 s[62:63], s[62:63], s[66:67]
	s_and_saveexec_b64 s[66:67], s[64:65]
	s_cbranch_execz .LBB3_800
; %bb.804:                              ;   in Loop: Header=BB3_801 Depth=4
	s_sleep 1
	s_trap 2
	ds_read_b64 v[8:9], v0
	s_andn2_b64 s[62:63], s[62:63], exec
	s_waitcnt lgkmcnt(0)
	v_cmp_ge_u64_e32 vcc, v[8:9], v[12:13]
	s_orn2_b64 vcc, vcc, exec
	s_branch .LBB3_800
.LBB3_805:                              ;   in Loop: Header=BB3_748 Depth=3
	s_or_b64 exec, exec, s[58:59]
	s_and_saveexec_b64 vcc, s[60:61]
	s_xor_b64 vcc, exec, vcc
	s_cbranch_execz .LBB3_807
; %bb.806:                              ;   in Loop: Header=BB3_748 Depth=3
	ds_write_b32 v0, v56
	s_trap 2
.LBB3_807:                              ;   in Loop: Header=BB3_748 Depth=3
	s_or_b64 exec, exec, s[56:57]
	;;#ASMSTART
	s_wakeup
	;;#ASMEND
.LBB3_808:                              ;   in Loop: Header=BB3_748 Depth=3
	s_or_b64 exec, exec, s[26:27]
.LBB3_809:                              ;   in Loop: Header=BB3_748 Depth=3
	s_andn2_saveexec_b64 s[24:25], s[24:25]
	s_cbranch_execz .LBB3_811
; %bb.810:                              ;   in Loop: Header=BB3_748 Depth=3
	s_waitcnt lgkmcnt(0)
	s_barrier
.LBB3_811:                              ;   in Loop: Header=BB3_748 Depth=3
	s_or_b64 exec, exec, s[24:25]
.LBB3_812:                              ;   in Loop: Header=BB3_748 Depth=3
	s_or_b64 exec, exec, s[22:23]
	s_trap 2
	ds_read_b64 v[8:9], v0
	v_mov_b32_e32 v17, 0
	s_waitcnt lgkmcnt(0)
	v_readfirstlane_b32 s22, v8
	v_readfirstlane_b32 s23, v9
	s_cmp_eq_u64 s[22:23], 0
	s_cselect_b64 s[22:23], -1, 0
	s_or_b64 s[22:23], s[22:23], s[22:23]
	s_and_b64 vcc, exec, s[22:23]
	s_cbranch_vccnz .LBB3_879
; %bb.813:                              ;   in Loop: Header=BB3_748 Depth=3
	s_trap 2
	ds_read_b64 v[8:9], v0
	v_cmp_eq_u32_e32 vcc, 0, v4
	s_mov_b64 s[22:23], -1
	s_nop 0
	v_cndmask_b32_e32 v17, 0, v16, vcc
	s_waitcnt lgkmcnt(0)
	v_cmp_ne_u64_e32 vcc, 0, v[8:9]
	v_lshlrev_b32_e32 v2, 1, v17
	s_cbranch_vccz .LBB3_849
; %bb.814:                              ;   in Loop: Header=BB3_748 Depth=3
	s_and_saveexec_b64 s[24:25], s[16:17]
	s_cbranch_execz .LBB3_816
; %bb.815:                              ;   in Loop: Header=BB3_748 Depth=3
	ds_read_b32 v4, v0 offset:720
	s_waitcnt lgkmcnt(0)
	v_and_b32_e32 v4, 15, v4
	v_cmp_eq_u32_e32 vcc, 0, v4
	s_orn2_b64 s[22:23], vcc, exec
.LBB3_816:                              ;   in Loop: Header=BB3_748 Depth=3
	s_or_b64 exec, exec, s[24:25]
	s_and_saveexec_b64 s[24:25], s[18:19]
	s_cbranch_execz .LBB3_818
; %bb.817:                              ;   in Loop: Header=BB3_748 Depth=3
	ds_read_b32 v4, v0 offset:784
	s_waitcnt lgkmcnt(0)
	v_and_b32_e32 v4, 15, v4
	v_cmp_eq_u32_e32 vcc, 0, v4
	s_and_b64 s[26:27], s[22:23], vcc
	s_andn2_b64 s[22:23], s[22:23], exec
	s_and_b64 s[26:27], s[26:27], exec
	s_or_b64 s[22:23], s[22:23], s[26:27]
.LBB3_818:                              ;   in Loop: Header=BB3_748 Depth=3
	s_or_b64 exec, exec, s[24:25]
	s_xor_b64 s[22:23], s[22:23], -1
	v_cndmask_b32_e64 v4, 0, 1, s[22:23]
	;;#ASMSTART
	;;#ASMEND
	s_mov_b64 s[24:25], -1
	v_cmp_ne_u32_e32 vcc, 0, v4
	v_mov_b32_e32 v14, 0
	v_mov_b32_e32 v15, v2
	;; [unrolled: 1-line block ×4, first 2 shown]
	s_cbranch_vccz .LBB3_820
; %bb.819:                              ;   in Loop: Header=BB3_748 Depth=3
	s_and_saveexec_b64 s[26:27], s[24:25]
	s_cbranch_execnz .LBB3_837
	s_branch .LBB3_848
.LBB3_820:                              ;   in Loop: Header=BB3_748 Depth=3
	v_accvgpr_read_b32 v4, a14
	v_sub_u32_e32 v25, v2, v4
	v_ashrrev_i32_e32 v4, 31, v2
	v_lshrrev_b32_e32 v4, 22, v4
	v_add_u32_e32 v4, v2, v4
	v_and_b32_e32 v19, 0xfffffc00, v4
	v_accvgpr_read_b32 v5, a15
	v_sub_u32_e32 v47, v2, v19
	v_ashrrev_i32_e32 v5, 10, v4
	v_cmp_lt_i32_e64 s[22:23], 15, v47
	v_accvgpr_read_b32 v4, a23
	s_nop 0
	v_addc_co_u32_e64 v37, vcc, v5, v4, s[22:23]
	v_cmp_lt_i32_e32 vcc, 15, v25
	s_and_saveexec_b64 s[56:57], vcc
	s_cbranch_execz .LBB3_826
; %bb.821:                              ;   in Loop: Header=BB3_748 Depth=3
	s_trap 2
	ds_read_b64 v[4:5], v0
	ds_read_b128 v[8:11], v0
	v_accvgpr_read_b32 v49, a15
	v_accvgpr_read_b32 v48, a14
	s_mov_b64 s[58:59], 0
	s_waitcnt lgkmcnt(0)
	v_lshl_add_u64 v[4:5], v[4:5], 0, v[48:49]
	v_lshl_add_u64 v[14:15], v[8:9], 0, v[48:49]
	v_lshl_add_u64 v[48:49], v[10:11], 0, v[48:49]
.LBB3_822:                              ;   Parent Loop BB3_47 Depth=1
                                        ;     Parent Loop BB3_745 Depth=2
                                        ;       Parent Loop BB3_748 Depth=3
                                        ; =>      This Loop Header: Depth=4
                                        ;           Child Loop BB3_823 Depth 5
	global_load_dwordx4 v[8:11], v[4:5], off nt
	s_mov_b64 s[62:63], -1
	s_mov_b64 s[60:61], 0
	s_waitcnt vmcnt(0)
.LBB3_823:                              ;   Parent Loop BB3_47 Depth=1
                                        ;     Parent Loop BB3_745 Depth=2
                                        ;       Parent Loop BB3_748 Depth=3
                                        ;         Parent Loop BB3_822 Depth=4
                                        ; =>        This Inner Loop Header: Depth=5
	s_cmp_eq_u32 s60, 0
	s_cselect_b64 s[24:25], -1, 0
	s_cmp_eq_u32 s60, 1
	s_cselect_b64 s[26:27], -1, 0
	v_cndmask_b32_e64 v36, 0, 1, s[62:63]
	v_cndmask_b32_e64 v53, v15, v49, s[26:27]
	;; [unrolled: 1-line block ×3, first 2 shown]
	v_cmp_ne_u32_e32 vcc, 1, v36
	global_store_dwordx4 v[52:53], v[8:11], off nt
	v_lshl_add_u64 v[52:53], v[52:53], 0, s[40:41]
	s_mov_b64 s[62:63], 0
	s_mov_b64 s[60:61], 1
	s_and_b64 vcc, exec, vcc
	v_cndmask_b32_e64 v49, v49, v53, s[26:27]
	v_cndmask_b32_e64 v48, v48, v52, s[26:27]
	;; [unrolled: 1-line block ×4, first 2 shown]
	s_cbranch_vccz .LBB3_823
; %bb.824:                              ;   in Loop: Header=BB3_822 Depth=4
	v_sub_u32_e32 v25, v25, v38
	v_cmp_gt_i32_e32 vcc, 16, v25
	v_lshl_add_u64 v[14:15], v[14:15], 0, v[50:51]
	v_lshl_add_u64 v[48:49], v[48:49], 0, v[50:51]
	;; [unrolled: 1-line block ×3, first 2 shown]
	s_or_b64 s[58:59], vcc, s[58:59]
	v_sub_u32_e32 v37, v37, v34
	s_andn2_b64 exec, exec, s[58:59]
	s_cbranch_execnz .LBB3_822
; %bb.825:                              ;   in Loop: Header=BB3_748 Depth=3
	s_or_b64 exec, exec, s[58:59]
.LBB3_826:                              ;   in Loop: Header=BB3_748 Depth=3
	s_or_b64 exec, exec, s[56:57]
	v_and_b32_e32 v5, 14, v2
	v_cndmask_b32_e64 v36, v47, v5, s[22:23]
	v_cmp_ne_u32_e32 vcc, 0, v36
	s_mov_b64 s[24:25], 0
	v_mov_b32_e32 v14, 0
                                        ; implicit-def: $vgpr15
                                        ; implicit-def: $vgpr48
                                        ; implicit-def: $vgpr4
	s_and_saveexec_b64 s[56:57], vcc
	s_cbranch_execz .LBB3_836
; %bb.827:                              ;   in Loop: Header=BB3_748 Depth=3
	v_sub_u32_e32 v4, v47, v5
	v_cndmask_b32_e64 v4, 0, v4, s[22:23]
	v_cmp_lt_i32_e32 vcc, 0, v37
	v_add_u32_e32 v19, v4, v19
	v_accvgpr_read_b32 v5, a22
	v_cndmask_b32_e32 v4, 0, v34, vcc
	v_sub_u32_e32 v4, v4, v37
	v_lshl_add_u32 v4, v4, 6, v5
	v_ashrrev_i32_e32 v5, 31, v4
	v_lshrrev_b32_e32 v5, 26, v5
	v_add_u32_e32 v5, v4, v5
	v_ashrrev_i32_e32 v8, 6, v5
	v_and_b32_e32 v5, 0xffffffc0, v5
	v_sub_u32_e32 v37, v4, v5
	v_ashrrev_i32_e32 v5, 31, v36
	v_lshrrev_b32_e32 v5, 22, v5
	v_add_u32_e32 v5, v36, v5
	v_and_b32_e32 v47, 0xfffffc00, v5
	v_lshlrev_b32_e32 v4, 4, v37
	v_sub_u32_e32 v58, v36, v47
	v_lshl_add_u32 v4, v8, 10, v4
	v_ashrrev_i32_e32 v9, 10, v5
	v_cmp_lt_i32_e64 s[22:23], 15, v58
	v_sub_u32_e32 v25, v36, v4
	s_nop 0
	v_addc_co_u32_e64 v5, vcc, 0, v9, s[22:23]
	v_sub_u32_e32 v59, v5, v8
	v_cmp_lt_i32_e32 vcc, 15, v25
	s_and_saveexec_b64 s[58:59], vcc
	s_cbranch_execz .LBB3_833
; %bb.828:                              ;   in Loop: Header=BB3_748 Depth=3
	s_trap 2
	ds_read_b64 v[14:15], v0
	ds_read_b128 v[8:11], v0
	v_add_u32_e32 v48, v4, v19
	v_ashrrev_i32_e32 v49, 31, v48
	s_mov_b64 s[60:61], 0
	s_waitcnt lgkmcnt(0)
	v_lshl_add_u64 v[4:5], v[14:15], 0, v[48:49]
	v_lshl_add_u64 v[14:15], v[8:9], 0, v[48:49]
	;; [unrolled: 1-line block ×3, first 2 shown]
.LBB3_829:                              ;   Parent Loop BB3_47 Depth=1
                                        ;     Parent Loop BB3_745 Depth=2
                                        ;       Parent Loop BB3_748 Depth=3
                                        ; =>      This Loop Header: Depth=4
                                        ;           Child Loop BB3_830 Depth 5
	global_load_dwordx4 v[8:11], v[4:5], off nt
	s_mov_b64 s[64:65], -1
	s_mov_b64 s[62:63], 0
	s_waitcnt vmcnt(0)
.LBB3_830:                              ;   Parent Loop BB3_47 Depth=1
                                        ;     Parent Loop BB3_745 Depth=2
                                        ;       Parent Loop BB3_748 Depth=3
                                        ;         Parent Loop BB3_829 Depth=4
                                        ; =>        This Inner Loop Header: Depth=5
	s_cmp_eq_u32 s62, 0
	s_cselect_b64 s[24:25], -1, 0
	s_cmp_eq_u32 s62, 1
	v_cndmask_b32_e64 v52, 0, 1, s[64:65]
	s_cselect_b64 s[26:27], -1, 0
	v_cmp_ne_u32_e32 vcc, 1, v52
	v_cndmask_b32_e64 v53, v15, v49, s[26:27]
	v_cndmask_b32_e64 v52, v14, v48, s[26:27]
	global_store_dwordx4 v[52:53], v[8:11], off nt
	v_lshl_add_u64 v[52:53], v[52:53], 0, s[40:41]
	s_mov_b64 s[64:65], 0
	s_mov_b64 s[62:63], 1
	s_and_b64 vcc, exec, vcc
	v_cndmask_b32_e64 v49, v49, v53, s[26:27]
	v_cndmask_b32_e64 v48, v48, v52, s[26:27]
	v_cndmask_b32_e64 v15, v15, v53, s[24:25]
	v_cndmask_b32_e64 v14, v14, v52, s[24:25]
	s_cbranch_vccz .LBB3_830
; %bb.831:                              ;   in Loop: Header=BB3_829 Depth=4
	v_sub_u32_e32 v25, v25, v38
	v_cmp_gt_i32_e32 vcc, 16, v25
	v_lshl_add_u64 v[14:15], v[14:15], 0, v[50:51]
	v_lshl_add_u64 v[48:49], v[48:49], 0, v[50:51]
	;; [unrolled: 1-line block ×3, first 2 shown]
	s_or_b64 s[60:61], vcc, s[60:61]
	v_sub_u32_e32 v59, v59, v34
	s_andn2_b64 exec, exec, s[60:61]
	s_cbranch_execnz .LBB3_829
; %bb.832:                              ;   in Loop: Header=BB3_748 Depth=3
	s_or_b64 exec, exec, s[60:61]
.LBB3_833:                              ;   in Loop: Header=BB3_748 Depth=3
	s_or_b64 exec, exec, s[58:59]
	v_and_b32_e32 v5, 14, v36
	v_cndmask_b32_e64 v15, v58, v5, s[22:23]
	v_cmp_ne_u32_e32 vcc, 0, v15
	s_mov_b64 s[24:25], 0
	v_mov_b32_e32 v14, 0
                                        ; implicit-def: $vgpr48
                                        ; implicit-def: $vgpr4
	s_and_saveexec_b64 s[26:27], vcc
	s_cbranch_execz .LBB3_835
; %bb.834:                              ;   in Loop: Header=BB3_748 Depth=3
	v_sub_u32_e32 v4, v58, v5
	v_cndmask_b32_e64 v4, 0, v4, s[22:23]
	v_cmp_lt_i32_e32 vcc, 0, v59
	v_add3_u32 v14, v47, v19, v4
	s_mov_b64 s[24:25], exec
	v_cndmask_b32_e32 v4, 0, v34, vcc
	v_sub_u32_e32 v4, v4, v59
	v_lshl_add_u32 v48, v4, 6, v37
	v_ashrrev_i32_e32 v4, 31, v48
	v_lshrrev_b32_e32 v4, 26, v4
	v_add_u32_e32 v4, v48, v4
	v_ashrrev_i32_e32 v4, 6, v4
.LBB3_835:                              ;   in Loop: Header=BB3_748 Depth=3
	s_or_b64 exec, exec, s[26:27]
	v_accvgpr_read_b32 v59, a19
	s_and_b64 s[24:25], s[24:25], exec
	v_accvgpr_read_b32 v58, a18
.LBB3_836:                              ;   in Loop: Header=BB3_748 Depth=3
	s_or_b64 exec, exec, s[56:57]
	s_and_saveexec_b64 s[26:27], s[24:25]
	s_cbranch_execz .LBB3_848
.LBB3_837:                              ;   in Loop: Header=BB3_748 Depth=3
	v_ashrrev_i32_e32 v5, 31, v15
	v_lshrrev_b32_e32 v5, 23, v5
	v_add_u32_e32 v5, v15, v5
	v_ashrrev_i32_e32 v36, 9, v5
	v_sub_u32_e32 v19, v36, v4
	v_ashrrev_i32_e32 v5, 31, v48
	v_cmp_lt_i32_e32 vcc, 0, v19
	v_lshrrev_b32_e32 v25, 26, v5
	s_and_saveexec_b64 s[22:23], vcc
	s_cbranch_execz .LBB3_841
; %bb.838:                              ;   in Loop: Header=BB3_748 Depth=3
	v_add_u32_e32 v5, v48, v25
	s_trap 2
	v_and_b32_e32 v5, 0x7fffffc0, v5
	ds_read_b64 v[52:53], v0
	ds_read_b128 v[8:11], v0
	v_sub_u32_e32 v5, v48, v5
	v_lshlrev_b32_e32 v5, 1, v5
	v_lshlrev_b32_e32 v4, 9, v4
	v_add3_u32 v54, v5, v14, v4
	v_ashrrev_i32_e32 v55, 31, v54
	s_waitcnt lgkmcnt(0)
	v_lshl_add_u64 v[4:5], v[52:53], 0, v[54:55]
	v_lshl_add_u64 v[8:9], v[8:9], 0, v[54:55]
	;; [unrolled: 1-line block ×3, first 2 shown]
	s_mov_b64 s[24:25], 0
.LBB3_839:                              ;   Parent Loop BB3_47 Depth=1
                                        ;     Parent Loop BB3_745 Depth=2
                                        ;       Parent Loop BB3_748 Depth=3
                                        ; =>      This Inner Loop Header: Depth=4
	flat_load_ushort v37, v[4:5] nt
	flat_load_ushort v49, v[4:5] offset:128 nt
	flat_load_ushort v52, v[4:5] offset:256 nt
	;; [unrolled: 1-line block ×3, first 2 shown]
	v_sub_u32_e32 v19, v19, v34
	v_cmp_gt_i32_e32 vcc, 1, v19
	v_lshl_add_u64 v[4:5], v[4:5], 0, v[40:41]
	s_or_b64 s[24:25], vcc, s[24:25]
	s_waitcnt vmcnt(0) lgkmcnt(0)
	flat_store_short v[8:9], v37 nt
	flat_store_short v[8:9], v49 offset:128 nt
	flat_store_short v[8:9], v52 offset:256 nt
	;; [unrolled: 1-line block ×3, first 2 shown]
	flat_store_short v[10:11], v37 nt
	flat_store_short v[10:11], v49 offset:128 nt
	flat_store_short v[10:11], v52 offset:256 nt
	;; [unrolled: 1-line block ×3, first 2 shown]
	v_lshl_add_u64 v[8:9], v[8:9], 0, v[40:41]
	v_lshl_add_u64 v[10:11], v[10:11], 0, v[40:41]
	s_andn2_b64 exec, exec, s[24:25]
	s_cbranch_execnz .LBB3_839
; %bb.840:                              ;   in Loop: Header=BB3_748 Depth=3
	s_or_b64 exec, exec, s[24:25]
	v_accvgpr_read_b32 v55, a21
	v_accvgpr_read_b32 v54, a20
.LBB3_841:                              ;   in Loop: Header=BB3_748 Depth=3
	s_or_b64 exec, exec, s[22:23]
	v_lshlrev_b32_e32 v4, 9, v36
	v_cmp_ne_u32_e32 vcc, v15, v4
	s_and_saveexec_b64 s[56:57], vcc
	s_cbranch_execz .LBB3_847
; %bb.842:                              ;   in Loop: Header=BB3_748 Depth=3
	v_add_u32_e32 v5, v48, v25
	v_and_b32_e32 v5, 0xffffffc0, v5
	v_sub_u32_e32 v5, v48, v5
	v_lshlrev_b32_e32 v8, 6, v19
	v_sub_u32_e32 v5, v5, v8
	v_ashrrev_i32_e32 v8, 31, v5
	v_lshrrev_b32_e32 v8, 26, v8
	v_add_u32_e32 v8, v5, v8
	v_and_b32_e32 v9, 0x7fffffc0, v8
	v_sub_u32_e32 v5, v5, v9
	v_lshlrev_b32_e32 v8, 1, v8
	v_and_b32_e32 v8, 0xffffff80, v8
	v_lshlrev_b32_e32 v5, 1, v5
	v_add3_u32 v4, v8, v5, v4
	v_sub_u32_e32 v15, v15, v4
	v_cmp_lt_i32_e32 vcc, 1, v15
	s_and_b64 exec, exec, vcc
	s_cbranch_execz .LBB3_847
; %bb.843:                              ;   in Loop: Header=BB3_748 Depth=3
	s_trap 2
	ds_read_b64 v[36:37], v0
	ds_read_b128 v[8:11], v0
	v_add_u32_e32 v48, v4, v14
	v_ashrrev_i32_e32 v49, 31, v48
	s_mov_b64 s[58:59], 0
	s_waitcnt lgkmcnt(0)
	v_lshl_add_u64 v[4:5], v[36:37], 0, v[48:49]
	v_lshl_add_u64 v[8:9], v[8:9], 0, v[48:49]
	;; [unrolled: 1-line block ×3, first 2 shown]
.LBB3_844:                              ;   Parent Loop BB3_47 Depth=1
                                        ;     Parent Loop BB3_745 Depth=2
                                        ;       Parent Loop BB3_748 Depth=3
                                        ; =>      This Loop Header: Depth=4
                                        ;           Child Loop BB3_845 Depth 5
	flat_load_ushort v14, v[4:5] nt
	s_mov_b64 s[62:63], -1
	s_mov_b64 s[60:61], 0
	s_waitcnt vmcnt(0)
.LBB3_845:                              ;   Parent Loop BB3_47 Depth=1
                                        ;     Parent Loop BB3_745 Depth=2
                                        ;       Parent Loop BB3_748 Depth=3
                                        ;         Parent Loop BB3_844 Depth=4
                                        ; =>        This Inner Loop Header: Depth=5
	s_cmp_eq_u32 s60, 0
	s_cselect_b64 s[22:23], -1, 0
	s_cmp_eq_u32 s60, 1
	s_cselect_b64 s[24:25], -1, 0
	v_cndmask_b32_e64 v19, 0, 1, s[62:63]
	v_cndmask_b32_e64 v37, v9, v11, s[24:25]
	;; [unrolled: 1-line block ×3, first 2 shown]
	v_cmp_ne_u32_e32 vcc, 1, v19
	s_waitcnt lgkmcnt(0)
	flat_store_short v[36:37], v14 nt
	v_lshl_add_u64 v[36:37], v[36:37], 0, s[42:43]
	s_mov_b64 s[62:63], 0
	s_mov_b64 s[60:61], 1
	s_and_b64 vcc, exec, vcc
	v_cndmask_b32_e64 v11, v11, v37, s[24:25]
	v_cndmask_b32_e64 v10, v10, v36, s[24:25]
	;; [unrolled: 1-line block ×4, first 2 shown]
	s_cbranch_vccz .LBB3_845
; %bb.846:                              ;   in Loop: Header=BB3_844 Depth=4
	v_sub_u32_e32 v15, v15, v39
	v_cmp_gt_i32_e32 vcc, 2, v15
	v_lshl_add_u64 v[8:9], v[8:9], 0, v[0:1]
	v_lshl_add_u64 v[10:11], v[10:11], 0, v[0:1]
	s_or_b64 s[58:59], vcc, s[58:59]
	v_lshl_add_u64 v[4:5], v[44:45], 0, v[4:5]
	s_andn2_b64 exec, exec, s[58:59]
	s_cbranch_execnz .LBB3_844
.LBB3_847:                              ;   in Loop: Header=BB3_748 Depth=3
	s_or_b64 exec, exec, s[56:57]
.LBB3_848:                              ;   in Loop: Header=BB3_748 Depth=3
	s_or_b64 exec, exec, s[26:27]
	s_mov_b64 s[22:23], 0
.LBB3_849:                              ;   in Loop: Header=BB3_748 Depth=3
	s_and_b64 vcc, exec, s[22:23]
	s_cbranch_vccz .LBB3_879
; %bb.850:                              ;   in Loop: Header=BB3_748 Depth=3
	s_mov_b64 s[22:23], -1
	s_and_saveexec_b64 s[24:25], s[16:17]
	s_cbranch_execz .LBB3_852
; %bb.851:                              ;   in Loop: Header=BB3_748 Depth=3
	ds_read_b32 v4, v0 offset:720
	s_waitcnt lgkmcnt(0)
	v_and_b32_e32 v4, 15, v4
	v_cmp_eq_u32_e32 vcc, 0, v4
	s_orn2_b64 s[22:23], vcc, exec
.LBB3_852:                              ;   in Loop: Header=BB3_748 Depth=3
	s_or_b64 exec, exec, s[24:25]
	s_and_saveexec_b64 s[24:25], s[14:15]
	s_cbranch_execz .LBB3_854
; %bb.853:                              ;   in Loop: Header=BB3_748 Depth=3
	ds_read_b32 v4, v0 offset:784
	s_waitcnt lgkmcnt(0)
	v_and_b32_e32 v4, 15, v4
	v_cmp_eq_u32_e32 vcc, 0, v4
	s_and_b64 s[26:27], s[22:23], vcc
	s_andn2_b64 s[22:23], s[22:23], exec
	s_and_b64 s[26:27], s[26:27], exec
	s_or_b64 s[22:23], s[22:23], s[26:27]
.LBB3_854:                              ;   in Loop: Header=BB3_748 Depth=3
	s_or_b64 exec, exec, s[24:25]
	s_xor_b64 s[22:23], s[22:23], -1
	v_cndmask_b32_e64 v4, 0, 1, s[22:23]
	s_mov_b64 s[26:27], -1
	;;#ASMSTART
	;;#ASMEND
	v_mov_b32_e32 v14, 0
	v_cmp_ne_u32_e32 vcc, 0, v4
	s_cbranch_vccz .LBB3_856
; %bb.855:                              ;   in Loop: Header=BB3_748 Depth=3
	v_mov_b32_e32 v15, v60
	v_mov_b32_e32 v8, v61
	s_and_saveexec_b64 s[22:23], s[26:27]
	s_cbranch_execnz .LBB3_869
	s_branch .LBB3_878
.LBB3_856:                              ;   in Loop: Header=BB3_748 Depth=3
	v_ashrrev_i32_e32 v4, 31, v2
	v_lshrrev_b32_e32 v4, 21, v4
	v_add_u32_e32 v4, v2, v4
	v_ashrrev_i32_e32 v10, 11, v4
	v_sub_u32_e32 v11, v10, v61
	v_cmp_lt_i32_e32 vcc, 0, v11
	s_and_saveexec_b64 s[22:23], vcc
	s_cbranch_execz .LBB3_860
; %bb.857:                              ;   in Loop: Header=BB3_748 Depth=3
	s_trap 2
	ds_read_b64 v[4:5], v0
	v_accvgpr_read_b32 v8, a24
	s_mov_b64 s[24:25], 0
	v_accvgpr_read_b32 v9, a25
	v_mov_b64_e32 v[36:37], v[54:55]
.LBB3_858:                              ;   Parent Loop BB3_47 Depth=1
                                        ;     Parent Loop BB3_745 Depth=2
                                        ;       Parent Loop BB3_748 Depth=3
                                        ; =>      This Inner Loop Header: Depth=4
	s_waitcnt lgkmcnt(0)
	v_lshl_add_u64 v[14:15], v[4:5], 0, v[8:9]
	global_load_dwordx4 v[52:55], v[14:15], off nt
	global_load_dwordx4 v[56:59], v[14:15], off offset:1024 nt
	v_sub_u32_e32 v11, v11, v34
	v_cmp_gt_i32_e32 vcc, 1, v11
	v_lshl_add_u64 v[8:9], v[8:9], 0, v[36:37]
	s_or_b64 s[24:25], vcc, s[24:25]
	s_waitcnt vmcnt(0)
	global_store_dwordx4 v[14:15], v[52:55], off nt
	global_store_dwordx4 v[14:15], v[56:59], off offset:1024 nt
	s_andn2_b64 exec, exec, s[24:25]
	s_cbranch_execnz .LBB3_858
; %bb.859:                              ;   in Loop: Header=BB3_748 Depth=3
	s_or_b64 exec, exec, s[24:25]
	v_accvgpr_read_b32 v59, a19
	v_accvgpr_read_b32 v57, a13
	;; [unrolled: 1-line block ×3, first 2 shown]
	v_mov_b64_e32 v[54:55], v[36:37]
	v_mov_b32_e32 v56, 1
.LBB3_860:                              ;   in Loop: Header=BB3_748 Depth=3
	s_or_b64 exec, exec, s[22:23]
	v_lshlrev_b32_e32 v10, 11, v10
	v_cmp_ne_u32_e32 vcc, v2, v10
	s_mov_b64 s[26:27], 0
	v_mov_b32_e32 v14, 0
                                        ; implicit-def: $vgpr15
                                        ; implicit-def: $vgpr8
	s_and_saveexec_b64 s[24:25], vcc
	s_cbranch_execz .LBB3_868
; %bb.861:                              ;   in Loop: Header=BB3_748 Depth=3
	v_lshlrev_b32_e32 v5, 6, v11
	v_accvgpr_read_b32 v8, a22
	v_sub_u32_e32 v5, v8, v5
	v_ashrrev_i32_e32 v8, 31, v5
	v_lshrrev_b32_e32 v8, 26, v8
	v_add_u32_e32 v8, v5, v8
	v_ashrrev_i32_e32 v9, 6, v8
	v_and_b32_e32 v8, 0xffffffc0, v8
	v_sub_u32_e32 v11, v5, v8
	v_sub_u32_e32 v4, v2, v10
	v_lshlrev_b32_e32 v5, 4, v11
	v_lshl_add_u32 v8, v9, 10, v5
	v_ashrrev_i32_e32 v5, 31, v4
	v_lshrrev_b32_e32 v5, 22, v5
	v_add_u32_e32 v5, v4, v5
	v_and_b32_e32 v19, 0xfffffc00, v5
	v_sub_u32_e32 v36, v4, v19
	v_ashrrev_i32_e32 v15, 10, v5
	v_cmp_lt_i32_e32 vcc, 15, v36
	v_sub_u32_e32 v14, v4, v8
	s_nop 0
	v_addc_co_u32_e64 v4, s[22:23], 0, v15, vcc
	v_sub_u32_e32 v25, v4, v9
	v_cmp_lt_i32_e64 s[22:23], 15, v14
	s_and_saveexec_b64 s[26:27], s[22:23]
	s_cbranch_execz .LBB3_865
; %bb.862:                              ;   in Loop: Header=BB3_748 Depth=3
	s_trap 2
	ds_read_b64 v[4:5], v0
	v_add_u32_e32 v8, v8, v10
	v_ashrrev_i32_e32 v9, 31, v8
	s_mov_b64 s[56:57], 0
.LBB3_863:                              ;   Parent Loop BB3_47 Depth=1
                                        ;     Parent Loop BB3_745 Depth=2
                                        ;       Parent Loop BB3_748 Depth=3
                                        ; =>      This Inner Loop Header: Depth=4
	s_waitcnt lgkmcnt(0)
	v_lshl_add_u64 v[48:49], v[4:5], 0, v[8:9]
	global_load_dwordx4 v[52:55], v[48:49], off nt
	v_sub_u32_e32 v14, v14, v38
	v_cmp_gt_i32_e64 s[22:23], 16, v14
	v_sub_u32_e32 v25, v25, v34
	v_lshl_add_u64 v[8:9], v[8:9], 0, v[42:43]
	s_or_b64 s[56:57], s[22:23], s[56:57]
	s_waitcnt vmcnt(0)
	global_store_dwordx4 v[48:49], v[52:55], off nt
	s_andn2_b64 exec, exec, s[56:57]
	s_cbranch_execnz .LBB3_863
; %bb.864:                              ;   in Loop: Header=BB3_748 Depth=3
	s_or_b64 exec, exec, s[56:57]
	v_accvgpr_read_b32 v55, a21
	v_accvgpr_read_b32 v54, a20
.LBB3_865:                              ;   in Loop: Header=BB3_748 Depth=3
	s_or_b64 exec, exec, s[26:27]
	v_and_b32_e32 v4, 14, v2
	v_cndmask_b32_e32 v2, v36, v4, vcc
	v_cmp_ne_u32_e64 s[22:23], 0, v2
	s_mov_b64 s[26:27], 0
	v_mov_b32_e32 v14, 0
                                        ; implicit-def: $vgpr15
                                        ; implicit-def: $vgpr8
	s_and_saveexec_b64 s[56:57], s[22:23]
	s_cbranch_execz .LBB3_867
; %bb.866:                              ;   in Loop: Header=BB3_748 Depth=3
	v_sub_u32_e32 v4, v36, v4
	v_cndmask_b32_e32 v4, 0, v4, vcc
	v_cmp_lt_i32_e32 vcc, 0, v25
	v_add3_u32 v14, v19, v10, v4
	s_mov_b64 s[26:27], exec
	v_cndmask_b32_e32 v4, 0, v34, vcc
	v_sub_u32_e32 v4, v4, v25
	v_lshl_add_u32 v15, v4, 6, v11
	v_ashrrev_i32_e32 v4, 31, v15
	v_lshrrev_b32_e32 v4, 26, v4
	v_add_u32_e32 v4, v15, v4
	v_ashrrev_i32_e32 v8, 6, v4
.LBB3_867:                              ;   in Loop: Header=BB3_748 Depth=3
	s_or_b64 exec, exec, s[56:57]
	s_and_b64 s[26:27], s[26:27], exec
.LBB3_868:                              ;   in Loop: Header=BB3_748 Depth=3
	s_or_b64 exec, exec, s[24:25]
	s_and_saveexec_b64 s[22:23], s[26:27]
	s_cbranch_execz .LBB3_878
.LBB3_869:                              ;   in Loop: Header=BB3_748 Depth=3
	v_ashrrev_i32_e32 v4, 31, v2
	v_lshrrev_b32_e32 v4, 23, v4
	v_add_u32_e32 v4, v2, v4
	v_ashrrev_i32_e32 v36, 9, v4
	v_sub_u32_e32 v19, v36, v8
	v_ashrrev_i32_e32 v4, 31, v15
	v_cmp_lt_i32_e32 vcc, 0, v19
	v_lshrrev_b32_e32 v25, 26, v4
	s_and_saveexec_b64 s[24:25], vcc
	s_cbranch_execz .LBB3_873
; %bb.870:                              ;   in Loop: Header=BB3_748 Depth=3
	s_trap 2
	ds_read_b64 v[4:5], v0
	v_add_u32_e32 v9, v15, v25
	v_and_b32_e32 v9, 0x7fffffc0, v9
	v_sub_u32_e32 v9, v15, v9
	v_lshlrev_b32_e32 v9, 1, v9
	v_lshlrev_b32_e32 v8, 9, v8
	v_add3_u32 v8, v9, v14, v8
	v_ashrrev_i32_e32 v9, 31, v8
	s_mov_b64 s[26:27], 0
	s_waitcnt lgkmcnt(0)
	v_mov_b64_e32 v[10:11], v[4:5]
.LBB3_871:                              ;   Parent Loop BB3_47 Depth=1
                                        ;     Parent Loop BB3_745 Depth=2
                                        ;       Parent Loop BB3_748 Depth=3
                                        ; =>      This Inner Loop Header: Depth=4
	v_lshl_add_u64 v[48:49], v[8:9], 0, v[10:11]
	flat_load_ushort v37, v[48:49] nt
	flat_load_ushort v52, v[48:49] offset:128 nt
	flat_load_ushort v53, v[48:49] offset:256 nt
	;; [unrolled: 1-line block ×3, first 2 shown]
	v_sub_u32_e32 v19, v19, v34
	v_cmp_gt_i32_e32 vcc, 1, v19
	v_lshl_add_u64 v[48:49], v[8:9], 0, v[4:5]
	v_lshl_add_u64 v[10:11], v[10:11], 0, v[40:41]
	;; [unrolled: 1-line block ×3, first 2 shown]
	s_or_b64 s[26:27], vcc, s[26:27]
	s_waitcnt vmcnt(0) lgkmcnt(0)
	flat_store_short v[48:49], v37 nt
	flat_store_short v[48:49], v52 offset:128 nt
	flat_store_short v[48:49], v53 offset:256 nt
	;; [unrolled: 1-line block ×3, first 2 shown]
	s_andn2_b64 exec, exec, s[26:27]
	s_cbranch_execnz .LBB3_871
; %bb.872:                              ;   in Loop: Header=BB3_748 Depth=3
	s_or_b64 exec, exec, s[26:27]
	v_accvgpr_read_b32 v55, a21
	v_accvgpr_read_b32 v54, a20
.LBB3_873:                              ;   in Loop: Header=BB3_748 Depth=3
	s_or_b64 exec, exec, s[24:25]
	v_lshlrev_b32_e32 v4, 9, v36
	v_cmp_ne_u32_e32 vcc, v2, v4
	s_and_saveexec_b64 s[24:25], vcc
	s_cbranch_execz .LBB3_877
; %bb.874:                              ;   in Loop: Header=BB3_748 Depth=3
	v_add_u32_e32 v5, v15, v25
	v_and_b32_e32 v5, 0xffffffc0, v5
	v_sub_u32_e32 v5, v15, v5
	v_lshlrev_b32_e32 v8, 6, v19
	v_sub_u32_e32 v5, v5, v8
	v_ashrrev_i32_e32 v8, 31, v5
	v_lshrrev_b32_e32 v8, 26, v8
	v_add_u32_e32 v8, v5, v8
	v_and_b32_e32 v9, 0x7fffffc0, v8
	v_sub_u32_e32 v5, v5, v9
	v_lshlrev_b32_e32 v8, 1, v8
	v_and_b32_e32 v8, 0xffffff80, v8
	v_lshlrev_b32_e32 v5, 1, v5
	v_add3_u32 v8, v8, v5, v4
	v_sub_u32_e32 v2, v2, v8
	v_cmp_lt_i32_e32 vcc, 1, v2
	s_and_b64 exec, exec, vcc
	s_cbranch_execz .LBB3_877
; %bb.875:                              ;   in Loop: Header=BB3_748 Depth=3
	s_trap 2
	ds_read_b64 v[4:5], v0
	v_add_u32_e32 v8, v8, v14
	v_ashrrev_i32_e32 v9, 31, v8
	s_mov_b64 s[26:27], 0
.LBB3_876:                              ;   Parent Loop BB3_47 Depth=1
                                        ;     Parent Loop BB3_745 Depth=2
                                        ;       Parent Loop BB3_748 Depth=3
                                        ; =>      This Inner Loop Header: Depth=4
	s_waitcnt lgkmcnt(0)
	v_lshl_add_u64 v[10:11], v[4:5], 0, v[8:9]
	flat_load_ushort v14, v[10:11] nt
	v_sub_u32_e32 v2, v2, v39
	v_cmp_gt_i32_e32 vcc, 2, v2
	v_lshl_add_u64 v[8:9], v[8:9], 0, v[44:45]
	s_or_b64 s[26:27], vcc, s[26:27]
	s_waitcnt vmcnt(0) lgkmcnt(0)
	flat_store_short v[10:11], v14 nt
	s_andn2_b64 exec, exec, s[26:27]
	s_cbranch_execnz .LBB3_876
.LBB3_877:                              ;   in Loop: Header=BB3_748 Depth=3
	s_or_b64 exec, exec, s[24:25]
.LBB3_878:                              ;   in Loop: Header=BB3_748 Depth=3
	s_or_b64 exec, exec, s[22:23]
.LBB3_879:                              ;   in Loop: Header=BB3_748 Depth=3
	s_and_saveexec_b64 s[22:23], s[4:5]
	s_cbranch_execz .LBB3_898
; %bb.880:                              ;   in Loop: Header=BB3_748 Depth=3
	s_and_saveexec_b64 s[24:25], s[38:39]
	s_xor_b64 s[24:25], exec, s[24:25]
	s_cbranch_execz .LBB3_895
; %bb.881:                              ;   in Loop: Header=BB3_748 Depth=3
	s_and_saveexec_b64 s[26:27], s[12:13]
	s_cbranch_execz .LBB3_894
; %bb.882:                              ;   in Loop: Header=BB3_748 Depth=3
	s_mov_b64 s[58:59], exec
	v_mbcnt_lo_u32_b32 v2, s58, 0
	v_mbcnt_hi_u32_b32 v2, s59, v2
	v_cmp_eq_u32_e32 vcc, 0, v2
	s_waitcnt lgkmcnt(0)
	s_and_saveexec_b64 s[56:57], vcc
	s_cbranch_execz .LBB3_884
; %bb.883:                              ;   in Loop: Header=BB3_748 Depth=3
	s_bcnt1_i32_b64 vcc_lo, s[58:59]
	v_mov_b32_e32 v2, vcc_lo
	ds_add_u64 v0, v[2:3]
	s_trap 2
.LBB3_884:                              ;   in Loop: Header=BB3_748 Depth=3
	s_or_b64 exec, exec, s[56:57]
	s_trap 2
	ds_read_b64 v[4:5], v0
	v_lshl_add_u64 v[12:13], v[12:13], 0, v[34:35]
	s_waitcnt lgkmcnt(0)
	v_cmp_lt_u64_e32 vcc, v[4:5], v[12:13]
	s_and_saveexec_b64 s[56:57], vcc
	s_cbranch_execz .LBB3_893
; %bb.885:                              ;   in Loop: Header=BB3_748 Depth=3
	s_mov_b32 s81, 0
	s_mov_b64 s[58:59], 0
                                        ; implicit-def: $sgpr60_sgpr61
                                        ; implicit-def: $sgpr62_sgpr63
	s_branch .LBB3_887
.LBB3_886:                              ;   in Loop: Header=BB3_887 Depth=4
	s_or_b64 exec, exec, s[66:67]
	s_and_b64 vcc, exec, vcc
	s_or_b64 s[58:59], vcc, s[58:59]
	s_andn2_b64 vcc, s[60:61], exec
	s_and_b64 s[60:61], s[62:63], exec
	s_or_b64 s[60:61], vcc, s[60:61]
	s_andn2_b64 exec, exec, s[58:59]
	s_cbranch_execz .LBB3_891
.LBB3_887:                              ;   Parent Loop BB3_47 Depth=1
                                        ;     Parent Loop BB3_745 Depth=2
                                        ;       Parent Loop BB3_748 Depth=3
                                        ; =>      This Inner Loop Header: Depth=4
	s_add_i32 s81, s81, 1
	s_cmpk_lg_i32 s81, 0x2710
	s_cselect_b64 s[64:65], -1, 0
	s_and_b64 vcc, exec, s[64:65]
                                        ; implicit-def: $sgpr66_sgpr67
	s_cbranch_vccnz .LBB3_889
; %bb.888:                              ;   in Loop: Header=BB3_887 Depth=4
	s_trap 2
	ds_read_b64 v[4:5], v0
	s_andn2_b64 s[64:65], s[64:65], exec
	s_mov_b32 s81, 0
	s_mov_b64 s[66:67], -1
	s_waitcnt vmcnt(0) lgkmcnt(0)
	flat_load_dword v2, v[4:5] sc0 sc1
	s_waitcnt vmcnt(0) lgkmcnt(0)
	buffer_inv sc0 sc1
	v_cmp_eq_u32_e32 vcc, 0, v2
	s_and_b64 vcc, vcc, exec
	s_or_b64 s[64:65], s[64:65], vcc
.LBB3_889:                              ;   in Loop: Header=BB3_887 Depth=4
	s_andn2_b64 s[62:63], s[62:63], exec
	s_and_b64 s[66:67], s[66:67], exec
	s_mov_b64 vcc, -1
	s_or_b64 s[62:63], s[62:63], s[66:67]
	s_and_saveexec_b64 s[66:67], s[64:65]
	s_cbranch_execz .LBB3_886
; %bb.890:                              ;   in Loop: Header=BB3_887 Depth=4
	s_sleep 1
	s_trap 2
	ds_read_b64 v[4:5], v0
	s_andn2_b64 s[62:63], s[62:63], exec
	s_waitcnt lgkmcnt(0)
	v_cmp_ge_u64_e32 vcc, v[4:5], v[12:13]
	s_orn2_b64 vcc, vcc, exec
	s_branch .LBB3_886
.LBB3_891:                              ;   in Loop: Header=BB3_748 Depth=3
	s_or_b64 exec, exec, s[58:59]
	s_and_saveexec_b64 vcc, s[60:61]
	s_xor_b64 vcc, exec, vcc
	s_cbranch_execz .LBB3_893
; %bb.892:                              ;   in Loop: Header=BB3_748 Depth=3
	ds_write_b32 v0, v56
	s_trap 2
.LBB3_893:                              ;   in Loop: Header=BB3_748 Depth=3
	s_or_b64 exec, exec, s[56:57]
	;;#ASMSTART
	s_wakeup
	;;#ASMEND
.LBB3_894:                              ;   in Loop: Header=BB3_748 Depth=3
	s_or_b64 exec, exec, s[26:27]
.LBB3_895:                              ;   in Loop: Header=BB3_748 Depth=3
	s_andn2_saveexec_b64 s[24:25], s[24:25]
	s_cbranch_execz .LBB3_897
; %bb.896:                              ;   in Loop: Header=BB3_748 Depth=3
	s_waitcnt lgkmcnt(0)
	s_barrier
.LBB3_897:                              ;   in Loop: Header=BB3_748 Depth=3
	s_or_b64 exec, exec, s[24:25]
.LBB3_898:                              ;   in Loop: Header=BB3_748 Depth=3
	s_or_b64 exec, exec, s[22:23]
                                        ; implicit-def: $vgpr2
	s_and_saveexec_b64 s[22:23], s[20:21]
	s_xor_b64 s[24:25], exec, s[22:23]
	s_cbranch_execz .LBB3_902
; %bb.899:                              ;   in Loop: Header=BB3_748 Depth=3
	v_and_b32_e32 v4, 16, v62
	v_cmp_lt_i32_e32 vcc, 0, v17
	v_cmp_ne_u32_e64 s[22:23], 0, v4
	v_and_b32_e32 v2, 16, v62
	s_and_b64 s[26:27], s[22:23], vcc
	s_and_saveexec_b64 s[22:23], s[26:27]
	s_cbranch_execz .LBB3_901
; %bb.900:                              ;   in Loop: Header=BB3_748 Depth=3
	v_mov_b32_e32 v2, 1
	buffer_wbl2 sc1
	s_waitcnt vmcnt(0) lgkmcnt(0)
	buffer_inv sc1
.LBB3_901:                              ;   in Loop: Header=BB3_748 Depth=3
	s_or_b64 exec, exec, s[22:23]
	s_andn2_saveexec_b64 s[22:23], s[24:25]
	s_cbranch_execz .LBB3_921
	s_branch .LBB3_903
.LBB3_902:                              ;   in Loop: Header=BB3_748 Depth=3
	s_andn2_saveexec_b64 s[22:23], s[24:25]
	s_cbranch_execz .LBB3_921
.LBB3_903:                              ;   in Loop: Header=BB3_748 Depth=3
	s_and_saveexec_b64 s[24:25], s[38:39]
	s_xor_b64 s[24:25], exec, s[24:25]
	s_cbranch_execz .LBB3_918
; %bb.904:                              ;   in Loop: Header=BB3_748 Depth=3
	s_and_saveexec_b64 s[26:27], s[12:13]
	s_cbranch_execz .LBB3_917
; %bb.905:                              ;   in Loop: Header=BB3_748 Depth=3
	s_mov_b64 s[58:59], exec
	v_mbcnt_lo_u32_b32 v2, s58, 0
	v_mbcnt_hi_u32_b32 v2, s59, v2
	v_cmp_eq_u32_e32 vcc, 0, v2
	;;#ASMSTART
	s_waitcnt lgkmcnt(0) vmcnt(0)
	;;#ASMEND
	s_and_saveexec_b64 s[56:57], vcc
	s_cbranch_execz .LBB3_907
; %bb.906:                              ;   in Loop: Header=BB3_748 Depth=3
	s_bcnt1_i32_b64 vcc_lo, s[58:59]
	v_mov_b32_e32 v2, vcc_lo
	ds_add_u64 v0, v[2:3]
	s_trap 2
.LBB3_907:                              ;   in Loop: Header=BB3_748 Depth=3
	s_or_b64 exec, exec, s[56:57]
	s_trap 2
	ds_read_b64 v[4:5], v0
	v_lshl_add_u64 v[12:13], v[12:13], 0, v[34:35]
	s_waitcnt lgkmcnt(0)
	v_cmp_lt_u64_e32 vcc, v[4:5], v[12:13]
	s_and_saveexec_b64 s[56:57], vcc
	s_cbranch_execz .LBB3_916
; %bb.908:                              ;   in Loop: Header=BB3_748 Depth=3
	s_mov_b32 s81, 0
	s_mov_b64 s[58:59], 0
                                        ; implicit-def: $sgpr60_sgpr61
                                        ; implicit-def: $sgpr62_sgpr63
	s_branch .LBB3_910
.LBB3_909:                              ;   in Loop: Header=BB3_910 Depth=4
	s_or_b64 exec, exec, s[66:67]
	s_and_b64 vcc, exec, vcc
	s_or_b64 s[58:59], vcc, s[58:59]
	s_andn2_b64 vcc, s[60:61], exec
	s_and_b64 s[60:61], s[62:63], exec
	s_or_b64 s[60:61], vcc, s[60:61]
	s_andn2_b64 exec, exec, s[58:59]
	s_cbranch_execz .LBB3_914
.LBB3_910:                              ;   Parent Loop BB3_47 Depth=1
                                        ;     Parent Loop BB3_745 Depth=2
                                        ;       Parent Loop BB3_748 Depth=3
                                        ; =>      This Inner Loop Header: Depth=4
	s_add_i32 s81, s81, 1
	s_cmpk_lg_i32 s81, 0x2710
	s_cselect_b64 s[64:65], -1, 0
	s_and_b64 vcc, exec, s[64:65]
                                        ; implicit-def: $sgpr66_sgpr67
	s_cbranch_vccnz .LBB3_912
; %bb.911:                              ;   in Loop: Header=BB3_910 Depth=4
	s_trap 2
	ds_read_b64 v[4:5], v0
	s_andn2_b64 s[64:65], s[64:65], exec
	s_mov_b32 s81, 0
	s_mov_b64 s[66:67], -1
	s_waitcnt vmcnt(0) lgkmcnt(0)
	flat_load_dword v2, v[4:5] sc0 sc1
	s_waitcnt vmcnt(0) lgkmcnt(0)
	buffer_inv sc0 sc1
	v_cmp_eq_u32_e32 vcc, 0, v2
	s_and_b64 vcc, vcc, exec
	s_or_b64 s[64:65], s[64:65], vcc
.LBB3_912:                              ;   in Loop: Header=BB3_910 Depth=4
	s_andn2_b64 s[62:63], s[62:63], exec
	s_and_b64 s[66:67], s[66:67], exec
	s_mov_b64 vcc, -1
	s_or_b64 s[62:63], s[62:63], s[66:67]
	s_and_saveexec_b64 s[66:67], s[64:65]
	s_cbranch_execz .LBB3_909
; %bb.913:                              ;   in Loop: Header=BB3_910 Depth=4
	s_sleep 1
	s_trap 2
	ds_read_b64 v[4:5], v0
	s_andn2_b64 s[62:63], s[62:63], exec
	s_waitcnt lgkmcnt(0)
	v_cmp_ge_u64_e32 vcc, v[4:5], v[12:13]
	s_orn2_b64 vcc, vcc, exec
	s_branch .LBB3_909
.LBB3_914:                              ;   in Loop: Header=BB3_748 Depth=3
	s_or_b64 exec, exec, s[58:59]
	s_and_saveexec_b64 vcc, s[60:61]
	s_xor_b64 vcc, exec, vcc
	s_cbranch_execz .LBB3_916
; %bb.915:                              ;   in Loop: Header=BB3_748 Depth=3
	ds_write_b32 v0, v56
	s_trap 2
.LBB3_916:                              ;   in Loop: Header=BB3_748 Depth=3
	s_or_b64 exec, exec, s[56:57]
	;;#ASMSTART
	s_wakeup
	;;#ASMEND
.LBB3_917:                              ;   in Loop: Header=BB3_748 Depth=3
	s_or_b64 exec, exec, s[26:27]
.LBB3_918:                              ;   in Loop: Header=BB3_748 Depth=3
	s_andn2_saveexec_b64 s[24:25], s[24:25]
	s_cbranch_execz .LBB3_920
; %bb.919:                              ;   in Loop: Header=BB3_748 Depth=3
	;;#ASMSTART
	s_waitcnt lgkmcnt(0) vmcnt(0)
	;;#ASMEND
	s_barrier
.LBB3_920:                              ;   in Loop: Header=BB3_748 Depth=3
	s_or_b64 exec, exec, s[24:25]
	v_and_b32_e32 v2, 16, v62
.LBB3_921:                              ;   in Loop: Header=BB3_748 Depth=3
	s_or_b64 exec, exec, s[22:23]
	v_cmp_ne_u32_e32 vcc, 0, v2
	s_xor_b64 s[22:23], s[6:7], -1
	s_and_b64 s[24:25], vcc, s[22:23]
	s_and_saveexec_b64 s[22:23], s[24:25]
	s_cbranch_execz .LBB3_923
; %bb.922:                              ;   in Loop: Header=BB3_748 Depth=3
	flat_store_dword v[28:29], v56 sc0 sc1
.LBB3_923:                              ;   in Loop: Header=BB3_748 Depth=3
	s_or_b64 exec, exec, s[22:23]
	v_and_b32_e32 v2, 48, v62
	v_cmp_ne_u32_e32 vcc, 0, v2
	s_and_saveexec_b64 s[22:23], vcc
	s_cbranch_execz .LBB3_747
; %bb.924:                              ;   in Loop: Header=BB3_748 Depth=3
	v_lshl_add_u64 v[20:21], v[20:21], 0, 2
	flat_store_dwordx2 v[22:23], v[20:21] sc0 sc1
	s_branch .LBB3_747
.LBB3_925:                              ;   in Loop: Header=BB3_745 Depth=2
	s_or_b64 exec, exec, s[28:29]
	v_cmp_gt_i32_e32 vcc, 2, v2
	s_and_saveexec_b64 s[24:25], vcc
	s_cbranch_execz .LBB3_999
.LBB3_926:                              ;   in Loop: Header=BB3_745 Depth=2
	v_cmp_eq_u32_e64 s[22:23], 0, v2
	s_mov_b64 s[26:27], 0
	s_branch .LBB3_928
.LBB3_927:                              ;   in Loop: Header=BB3_928 Depth=3
	s_or_b64 exec, exec, s[22:23]
	v_add_u32_e32 v18, v16, v18
	s_mov_b64 s[22:23], 0
	s_andn2_b64 exec, exec, s[26:27]
	s_cbranch_execz .LBB3_1000
.LBB3_928:                              ;   Parent Loop BB3_47 Depth=1
                                        ;     Parent Loop BB3_745 Depth=2
                                        ; =>    This Loop Header: Depth=3
                                        ;         Child Loop BB3_934 Depth 4
                                        ;         Child Loop BB3_964 Depth 4
	;; [unrolled: 1-line block ×3, first 2 shown]
	v_and_b32_e32 v2, 12, v62
	s_mov_b64 s[52:53], -1
	v_cmp_ne_u32_e32 vcc, 0, v2
	s_and_saveexec_b64 s[28:29], vcc
	s_cbranch_execz .LBB3_940
; %bb.929:                              ;   in Loop: Header=BB3_928 Depth=3
	v_and_b32_e32 v2, 8, v62
	v_lshl_add_u64 v[8:9], v[32:33], 0, v[2:3]
	v_lshl_add_u64 v[4:5], v[20:21], 0, 2
	v_cmp_lt_u64_e32 vcc, v[8:9], v[4:5]
	v_mov_b32_e32 v8, 1
	s_and_saveexec_b64 s[52:53], vcc
	s_cbranch_execz .LBB3_939
; %bb.930:                              ;   in Loop: Header=BB3_928 Depth=3
	s_mov_b64 s[54:55], 0
	v_mov_b32_e32 v8, 0
                                        ; implicit-def: $sgpr56_sgpr57
	s_branch .LBB3_934
.LBB3_931:                              ;   in Loop: Header=BB3_934 Depth=4
	s_or_b64 exec, exec, s[64:65]
	v_mov_b32_e32 v9, 0
	s_orn2_b64 s[62:63], s[62:63], exec
.LBB3_932:                              ;   in Loop: Header=BB3_934 Depth=4
	s_or_b64 exec, exec, s[60:61]
	s_andn2_b64 vcc, s[56:57], exec
	s_and_b64 s[56:57], s[62:63], exec
	s_or_b64 s[56:57], vcc, s[56:57]
	v_mov_b32_e32 v8, v9
.LBB3_933:                              ;   in Loop: Header=BB3_934 Depth=4
	s_or_b64 exec, exec, s[58:59]
	s_waitcnt vmcnt(0) lgkmcnt(0)
	v_lshl_add_u64 v[10:11], v[32:33], 0, v[2:3]
	v_cmp_ge_u64_e32 vcc, v[10:11], v[4:5]
	s_xor_b64 s[58:59], s[56:57], -1
	s_or_b64 vcc, s[58:59], vcc
	s_and_b64 vcc, exec, vcc
	s_or_b64 s[54:55], vcc, s[54:55]
	s_andn2_b64 exec, exec, s[54:55]
	s_cbranch_execz .LBB3_938
.LBB3_934:                              ;   Parent Loop BB3_47 Depth=1
                                        ;     Parent Loop BB3_745 Depth=2
                                        ;       Parent Loop BB3_928 Depth=3
                                        ; =>      This Inner Loop Header: Depth=4
	s_sleep 1
	flat_load_dwordx2 v[32:33], v[22:23] sc0 sc1
	v_and_b32_e32 v9, 64, v62
	v_cmp_eq_u32_e32 vcc, 0, v9
	s_andn2_b64 s[56:57], s[56:57], exec
	s_and_saveexec_b64 s[58:59], vcc
	s_cbranch_execz .LBB3_933
; %bb.935:                              ;   in Loop: Header=BB3_934 Depth=4
	v_add_u32_e32 v9, 1, v8
	v_cmp_lt_i32_e32 vcc, s72, v8
	s_mov_b64 s[62:63], -1
	s_and_saveexec_b64 s[60:61], vcc
	s_cbranch_execz .LBB3_932
; %bb.936:                              ;   in Loop: Header=BB3_934 Depth=4
	s_trap 2
	ds_read_b64 v[8:9], v0
	s_waitcnt vmcnt(0) lgkmcnt(0)
	flat_load_dword v8, v[8:9] sc0 sc1
	s_waitcnt vmcnt(0) lgkmcnt(0)
	buffer_inv sc0 sc1
	v_cmp_ne_u32_e32 vcc, 0, v8
	s_and_saveexec_b64 s[64:65], vcc
	s_cbranch_execz .LBB3_931
; %bb.937:                              ;   in Loop: Header=BB3_934 Depth=4
	v_or_b32_e32 v62, 64, v62
	s_xor_b64 s[62:63], exec, -1
	ds_write_b32 v0, v8
	s_trap 2
	s_branch .LBB3_931
.LBB3_938:                              ;   in Loop: Header=BB3_928 Depth=3
	s_or_b64 exec, exec, s[54:55]
	v_and_b32_e32 v8, 12, v62
.LBB3_939:                              ;   in Loop: Header=BB3_928 Depth=3
	s_or_b64 exec, exec, s[52:53]
	v_cmp_eq_u32_e32 vcc, 0, v8
	s_orn2_b64 s[52:53], vcc, exec
	;;#ASMSTART
	s_wakeup
	;;#ASMEND
.LBB3_940:                              ;   in Loop: Header=BB3_928 Depth=3
	s_or_b64 exec, exec, s[28:29]
	s_xor_b64 s[22:23], s[22:23], -1
	s_and_b64 s[22:23], exec, s[22:23]
	s_or_b64 s[26:27], s[22:23], s[26:27]
	v_sub_u32_e32 v2, v46, v18
	s_xor_b64 s[22:23], s[52:53], -1
	v_min_i32_e32 v16, v16, v2
	s_and_saveexec_b64 s[28:29], s[22:23]
	s_cbranch_execz .LBB3_956
; %bb.941:                              ;   in Loop: Header=BB3_928 Depth=3
	v_and_b32_e32 v2, 0x108, v62
	v_cmp_ne_u32_e32 vcc, s80, v2
	v_and_b32_e32 v2, 7, v20
	s_and_saveexec_b64 s[22:23], vcc
	s_xor_b64 s[22:23], exec, s[22:23]
	s_andn2_saveexec_b64 s[22:23], s[22:23]
	s_cbranch_execz .LBB3_943
; %bb.942:                              ;   in Loop: Header=BB3_928 Depth=3
	v_ashrrev_i32_e32 v17, 31, v16
	v_mad_u64_u32 v[4:5], vcc, v2, 24, v[6:7]
	v_lshlrev_b64 v[8:9], 1, v[16:17]
	flat_store_dwordx2 v[4:5], v[8:9] offset:8
.LBB3_943:                              ;   in Loop: Header=BB3_928 Depth=3
	s_or_b64 exec, exec, s[22:23]
	v_and_b32_e32 v4, 0x100, v62
	v_cmp_ne_u32_e32 vcc, 0, v4
	s_mov_b64 s[22:23], -1
                                        ; implicit-def: $vgpr4_vgpr5
	s_and_saveexec_b64 s[52:53], vcc
	s_cbranch_execz .LBB3_947
; %bb.944:                              ;   in Loop: Header=BB3_928 Depth=3
	v_mad_u64_u32 v[8:9], s[22:23], v2, 24, v[6:7]
	v_mov_b32_e32 v4, v9
	v_mad_u64_u32 v[4:5], s[22:23], v3, 24, v[4:5]
	v_mov_b32_e32 v9, v4
	flat_load_dword v4, v[8:9]
	s_waitcnt vmcnt(0) lgkmcnt(0)
	v_cmp_ne_u32_e32 vcc, 1, v4
	v_cmp_eq_u32_e64 s[22:23], 1, v4
                                        ; implicit-def: $vgpr4_vgpr5
	s_and_saveexec_b64 s[54:55], s[22:23]
	s_cbranch_execz .LBB3_946
; %bb.945:                              ;   in Loop: Header=BB3_928 Depth=3
	flat_load_dword v4, v[8:9] offset:4 sc0 sc1
	s_waitcnt vmcnt(0) lgkmcnt(0)
	v_ashrrev_i32_e32 v5, 31, v4
	v_lshrrev_b64 v[4:5], 1, v[4:5]
.LBB3_946:                              ;   in Loop: Header=BB3_928 Depth=3
	s_or_b64 exec, exec, s[54:55]
	s_orn2_b64 s[22:23], vcc, exec
.LBB3_947:                              ;   in Loop: Header=BB3_928 Depth=3
	s_or_b64 exec, exec, s[52:53]
	s_and_saveexec_b64 vcc, s[22:23]
; %bb.948:                              ;   in Loop: Header=BB3_928 Depth=3
	v_mul_lo_u32 v8, v3, v24
	v_mul_lo_u32 v9, v2, v57
	v_mad_u64_u32 v[4:5], s[22:23], v2, v24, 0
	v_add3_u32 v5, v5, v9, v8
; %bb.949:                              ;   in Loop: Header=BB3_928 Depth=3
	s_or_b64 exec, exec, vcc
	v_and_b32_e32 v2, 0x2000, v62
	v_lshl_add_u64 v[4:5], v[4:5], 1, v[26:27]
	v_cmp_ne_u32_e32 vcc, 0, v2
	s_trap 2
	ds_write_b64 v0, v[4:5]
	s_and_saveexec_b64 s[22:23], vcc
	s_cbranch_execz .LBB3_951
; %bb.950:                              ;   in Loop: Header=BB3_928 Depth=3
	ds_read_b64 v[4:5], v0 offset:584
	s_waitcnt lgkmcnt(0)
	v_lshl_add_u64 v[4:5], v[4:5], 0, 1
	ds_write_b64 v0, v[4:5] offset:584
.LBB3_951:                              ;   in Loop: Header=BB3_928 Depth=3
	s_or_b64 exec, exec, s[22:23]
	v_lshl_add_u64 v[20:21], v[20:21], 0, 2
	s_or_b64 exec, exec, s[28:29]
	s_and_saveexec_b64 s[22:23], s[4:5]
	s_cbranch_execnz .LBB3_957
.LBB3_952:                              ;   in Loop: Header=BB3_928 Depth=3
	s_or_b64 exec, exec, s[22:23]
                                        ; implicit-def: $vgpr2
	s_and_saveexec_b64 s[22:23], s[20:21]
	s_xor_b64 s[22:23], exec, s[22:23]
	s_cbranch_execz .LBB3_975
.LBB3_953:                              ;   in Loop: Header=BB3_928 Depth=3
	s_trap 2
	ds_read_b32 v4, v0
	v_cmp_lt_i32_e32 vcc, 0, v16
	v_and_b32_e32 v5, 16, v62
	v_and_b32_e32 v2, 16, v62
	s_waitcnt lgkmcnt(0)
	v_readfirstlane_b32 s28, v4
	s_cmp_eq_u32 s28, 0
	s_cselect_b64 s[28:29], -1, 0
	s_and_b64 s[28:29], vcc, s[28:29]
	v_cmp_ne_u32_e32 vcc, 0, v5
	s_and_b64 vcc, vcc, s[28:29]
	s_and_saveexec_b64 s[28:29], vcc
	s_cbranch_execz .LBB3_955
; %bb.954:                              ;   in Loop: Header=BB3_928 Depth=3
	v_mov_b32_e32 v2, 1
	buffer_wbl2 sc1
	s_waitcnt vmcnt(0)
	buffer_inv sc1
.LBB3_955:                              ;   in Loop: Header=BB3_928 Depth=3
	s_or_b64 exec, exec, s[28:29]
	s_andn2_saveexec_b64 s[22:23], s[22:23]
	s_cbranch_execz .LBB3_994
	s_branch .LBB3_976
.LBB3_956:                              ;   in Loop: Header=BB3_928 Depth=3
	s_or_b64 exec, exec, s[28:29]
	s_and_saveexec_b64 s[22:23], s[4:5]
	s_cbranch_execz .LBB3_952
.LBB3_957:                              ;   in Loop: Header=BB3_928 Depth=3
	s_and_saveexec_b64 s[28:29], s[38:39]
	s_xor_b64 s[28:29], exec, s[28:29]
	s_cbranch_execz .LBB3_972
; %bb.958:                              ;   in Loop: Header=BB3_928 Depth=3
	s_and_saveexec_b64 s[52:53], s[12:13]
	s_cbranch_execz .LBB3_971
; %bb.959:                              ;   in Loop: Header=BB3_928 Depth=3
	s_mov_b64 s[56:57], exec
	v_mbcnt_lo_u32_b32 v2, s56, 0
	v_mbcnt_hi_u32_b32 v2, s57, v2
	v_cmp_eq_u32_e32 vcc, 0, v2
	s_waitcnt lgkmcnt(0)
	s_and_saveexec_b64 s[54:55], vcc
	s_cbranch_execz .LBB3_961
; %bb.960:                              ;   in Loop: Header=BB3_928 Depth=3
	s_bcnt1_i32_b64 vcc_lo, s[56:57]
	v_mov_b32_e32 v2, vcc_lo
	ds_add_u64 v0, v[2:3]
	s_trap 2
.LBB3_961:                              ;   in Loop: Header=BB3_928 Depth=3
	s_or_b64 exec, exec, s[54:55]
	s_trap 2
	ds_read_b64 v[4:5], v0
	v_lshl_add_u64 v[12:13], v[12:13], 0, v[34:35]
	s_waitcnt lgkmcnt(0)
	v_cmp_lt_u64_e32 vcc, v[4:5], v[12:13]
	s_and_saveexec_b64 s[54:55], vcc
	s_cbranch_execz .LBB3_970
; %bb.962:                              ;   in Loop: Header=BB3_928 Depth=3
	s_mov_b32 s66, 0
	s_mov_b64 s[56:57], 0
                                        ; implicit-def: $sgpr58_sgpr59
                                        ; implicit-def: $sgpr60_sgpr61
	s_branch .LBB3_964
.LBB3_963:                              ;   in Loop: Header=BB3_964 Depth=4
	s_or_b64 exec, exec, s[64:65]
	s_and_b64 vcc, exec, vcc
	s_or_b64 s[56:57], vcc, s[56:57]
	s_andn2_b64 vcc, s[58:59], exec
	s_and_b64 s[58:59], s[60:61], exec
	s_or_b64 s[58:59], vcc, s[58:59]
	s_andn2_b64 exec, exec, s[56:57]
	s_cbranch_execz .LBB3_968
.LBB3_964:                              ;   Parent Loop BB3_47 Depth=1
                                        ;     Parent Loop BB3_745 Depth=2
                                        ;       Parent Loop BB3_928 Depth=3
                                        ; =>      This Inner Loop Header: Depth=4
	s_add_i32 s66, s66, 1
	s_cmpk_lg_i32 s66, 0x2710
	s_cselect_b64 s[62:63], -1, 0
	s_and_b64 vcc, exec, s[62:63]
                                        ; implicit-def: $sgpr64_sgpr65
	s_cbranch_vccnz .LBB3_966
; %bb.965:                              ;   in Loop: Header=BB3_964 Depth=4
	s_trap 2
	ds_read_b64 v[4:5], v0
	s_andn2_b64 s[62:63], s[62:63], exec
	s_mov_b32 s66, 0
	s_mov_b64 s[64:65], -1
	s_waitcnt vmcnt(0) lgkmcnt(0)
	flat_load_dword v2, v[4:5] sc0 sc1
	s_waitcnt vmcnt(0) lgkmcnt(0)
	buffer_inv sc0 sc1
	v_cmp_eq_u32_e32 vcc, 0, v2
	s_and_b64 vcc, vcc, exec
	s_or_b64 s[62:63], s[62:63], vcc
.LBB3_966:                              ;   in Loop: Header=BB3_964 Depth=4
	s_andn2_b64 s[60:61], s[60:61], exec
	s_and_b64 s[64:65], s[64:65], exec
	s_mov_b64 vcc, -1
	s_or_b64 s[60:61], s[60:61], s[64:65]
	s_and_saveexec_b64 s[64:65], s[62:63]
	s_cbranch_execz .LBB3_963
; %bb.967:                              ;   in Loop: Header=BB3_964 Depth=4
	s_sleep 1
	s_trap 2
	ds_read_b64 v[4:5], v0
	s_andn2_b64 s[60:61], s[60:61], exec
	s_waitcnt lgkmcnt(0)
	v_cmp_ge_u64_e32 vcc, v[4:5], v[12:13]
	s_orn2_b64 vcc, vcc, exec
	s_branch .LBB3_963
.LBB3_968:                              ;   in Loop: Header=BB3_928 Depth=3
	s_or_b64 exec, exec, s[56:57]
	s_and_saveexec_b64 vcc, s[58:59]
	s_xor_b64 vcc, exec, vcc
	s_cbranch_execz .LBB3_970
; %bb.969:                              ;   in Loop: Header=BB3_928 Depth=3
	ds_write_b32 v0, v56
	s_trap 2
.LBB3_970:                              ;   in Loop: Header=BB3_928 Depth=3
	s_or_b64 exec, exec, s[54:55]
	;;#ASMSTART
	s_wakeup
	;;#ASMEND
.LBB3_971:                              ;   in Loop: Header=BB3_928 Depth=3
	s_or_b64 exec, exec, s[52:53]
.LBB3_972:                              ;   in Loop: Header=BB3_928 Depth=3
	s_andn2_saveexec_b64 s[28:29], s[28:29]
	s_cbranch_execz .LBB3_974
; %bb.973:                              ;   in Loop: Header=BB3_928 Depth=3
	s_waitcnt lgkmcnt(0)
	s_barrier
.LBB3_974:                              ;   in Loop: Header=BB3_928 Depth=3
	s_or_b64 exec, exec, s[28:29]
	s_or_b64 exec, exec, s[22:23]
                                        ; implicit-def: $vgpr2
	s_and_saveexec_b64 s[22:23], s[20:21]
	s_xor_b64 s[22:23], exec, s[22:23]
	s_cbranch_execnz .LBB3_953
.LBB3_975:                              ;   in Loop: Header=BB3_928 Depth=3
	s_andn2_saveexec_b64 s[22:23], s[22:23]
	s_cbranch_execz .LBB3_994
.LBB3_976:                              ;   in Loop: Header=BB3_928 Depth=3
	s_and_saveexec_b64 s[28:29], s[38:39]
	s_xor_b64 s[28:29], exec, s[28:29]
	s_cbranch_execz .LBB3_991
; %bb.977:                              ;   in Loop: Header=BB3_928 Depth=3
	s_and_saveexec_b64 s[52:53], s[12:13]
	s_cbranch_execz .LBB3_990
; %bb.978:                              ;   in Loop: Header=BB3_928 Depth=3
	s_mov_b64 s[56:57], exec
	v_mbcnt_lo_u32_b32 v2, s56, 0
	v_mbcnt_hi_u32_b32 v2, s57, v2
	v_cmp_eq_u32_e32 vcc, 0, v2
	;;#ASMSTART
	s_waitcnt lgkmcnt(0) vmcnt(0)
	;;#ASMEND
	s_and_saveexec_b64 s[54:55], vcc
	s_cbranch_execz .LBB3_980
; %bb.979:                              ;   in Loop: Header=BB3_928 Depth=3
	s_bcnt1_i32_b64 vcc_lo, s[56:57]
	v_mov_b32_e32 v2, vcc_lo
	ds_add_u64 v0, v[2:3]
	s_trap 2
.LBB3_980:                              ;   in Loop: Header=BB3_928 Depth=3
	s_or_b64 exec, exec, s[54:55]
	s_trap 2
	ds_read_b64 v[4:5], v0
	v_lshl_add_u64 v[12:13], v[12:13], 0, v[34:35]
	s_waitcnt lgkmcnt(0)
	v_cmp_lt_u64_e32 vcc, v[4:5], v[12:13]
	s_and_saveexec_b64 s[54:55], vcc
	s_cbranch_execz .LBB3_989
; %bb.981:                              ;   in Loop: Header=BB3_928 Depth=3
	s_mov_b32 s66, 0
	s_mov_b64 s[56:57], 0
                                        ; implicit-def: $sgpr58_sgpr59
                                        ; implicit-def: $sgpr60_sgpr61
	s_branch .LBB3_983
.LBB3_982:                              ;   in Loop: Header=BB3_983 Depth=4
	s_or_b64 exec, exec, s[64:65]
	s_and_b64 vcc, exec, vcc
	s_or_b64 s[56:57], vcc, s[56:57]
	s_andn2_b64 vcc, s[58:59], exec
	s_and_b64 s[58:59], s[60:61], exec
	s_or_b64 s[58:59], vcc, s[58:59]
	s_andn2_b64 exec, exec, s[56:57]
	s_cbranch_execz .LBB3_987
.LBB3_983:                              ;   Parent Loop BB3_47 Depth=1
                                        ;     Parent Loop BB3_745 Depth=2
                                        ;       Parent Loop BB3_928 Depth=3
                                        ; =>      This Inner Loop Header: Depth=4
	s_add_i32 s66, s66, 1
	s_cmpk_lg_i32 s66, 0x2710
	s_cselect_b64 s[62:63], -1, 0
	s_and_b64 vcc, exec, s[62:63]
                                        ; implicit-def: $sgpr64_sgpr65
	s_cbranch_vccnz .LBB3_985
; %bb.984:                              ;   in Loop: Header=BB3_983 Depth=4
	s_trap 2
	ds_read_b64 v[4:5], v0
	s_andn2_b64 s[62:63], s[62:63], exec
	s_mov_b32 s66, 0
	s_mov_b64 s[64:65], -1
	s_waitcnt vmcnt(0) lgkmcnt(0)
	flat_load_dword v2, v[4:5] sc0 sc1
	s_waitcnt vmcnt(0) lgkmcnt(0)
	buffer_inv sc0 sc1
	v_cmp_eq_u32_e32 vcc, 0, v2
	s_and_b64 vcc, vcc, exec
	s_or_b64 s[62:63], s[62:63], vcc
.LBB3_985:                              ;   in Loop: Header=BB3_983 Depth=4
	s_andn2_b64 s[60:61], s[60:61], exec
	s_and_b64 s[64:65], s[64:65], exec
	s_mov_b64 vcc, -1
	s_or_b64 s[60:61], s[60:61], s[64:65]
	s_and_saveexec_b64 s[64:65], s[62:63]
	s_cbranch_execz .LBB3_982
; %bb.986:                              ;   in Loop: Header=BB3_983 Depth=4
	s_sleep 1
	s_trap 2
	ds_read_b64 v[4:5], v0
	s_andn2_b64 s[60:61], s[60:61], exec
	s_waitcnt lgkmcnt(0)
	v_cmp_ge_u64_e32 vcc, v[4:5], v[12:13]
	s_orn2_b64 vcc, vcc, exec
	s_branch .LBB3_982
.LBB3_987:                              ;   in Loop: Header=BB3_928 Depth=3
	s_or_b64 exec, exec, s[56:57]
	s_and_saveexec_b64 vcc, s[58:59]
	s_xor_b64 vcc, exec, vcc
	s_cbranch_execz .LBB3_989
; %bb.988:                              ;   in Loop: Header=BB3_928 Depth=3
	ds_write_b32 v0, v56
	s_trap 2
.LBB3_989:                              ;   in Loop: Header=BB3_928 Depth=3
	s_or_b64 exec, exec, s[54:55]
	;;#ASMSTART
	s_wakeup
	;;#ASMEND
.LBB3_990:                              ;   in Loop: Header=BB3_928 Depth=3
	s_or_b64 exec, exec, s[52:53]
.LBB3_991:                              ;   in Loop: Header=BB3_928 Depth=3
	s_andn2_saveexec_b64 s[28:29], s[28:29]
	s_cbranch_execz .LBB3_993
; %bb.992:                              ;   in Loop: Header=BB3_928 Depth=3
	;;#ASMSTART
	s_waitcnt lgkmcnt(0) vmcnt(0)
	;;#ASMEND
	s_barrier
.LBB3_993:                              ;   in Loop: Header=BB3_928 Depth=3
	s_or_b64 exec, exec, s[28:29]
	v_and_b32_e32 v2, 16, v62
.LBB3_994:                              ;   in Loop: Header=BB3_928 Depth=3
	s_or_b64 exec, exec, s[22:23]
	v_cmp_ne_u32_e32 vcc, 0, v2
	s_xor_b64 s[22:23], s[6:7], -1
	s_and_b64 s[28:29], vcc, s[22:23]
	s_and_saveexec_b64 s[22:23], s[28:29]
	s_cbranch_execz .LBB3_996
; %bb.995:                              ;   in Loop: Header=BB3_928 Depth=3
	flat_store_dword v[28:29], v56 sc0 sc1
.LBB3_996:                              ;   in Loop: Header=BB3_928 Depth=3
	s_or_b64 exec, exec, s[22:23]
	v_and_b32_e32 v2, 48, v62
	v_cmp_ne_u32_e32 vcc, 0, v2
	s_and_saveexec_b64 s[22:23], vcc
	s_cbranch_execz .LBB3_927
; %bb.997:                              ;   in Loop: Header=BB3_928 Depth=3
	v_lshl_add_u64 v[20:21], v[20:21], 0, 2
	flat_store_dwordx2 v[22:23], v[20:21] sc0 sc1
	s_branch .LBB3_927
.LBB3_998:                              ;   in Loop: Header=BB3_745 Depth=2
	s_or_b64 exec, exec, s[52:53]
	s_or_b64 exec, exec, s[28:29]
	v_cmp_gt_i32_e32 vcc, 2, v2
	s_and_saveexec_b64 s[24:25], vcc
	s_cbranch_execnz .LBB3_926
.LBB3_999:                              ;   in Loop: Header=BB3_745 Depth=2
	s_or_b64 exec, exec, s[24:25]
	s_add_i32 s22, s68, 1
	s_cmp_eq_u32 s68, s77
	s_cbranch_scc0 .LBB3_1001
	s_branch .LBB3_1002
.LBB3_1000:                             ;   in Loop: Header=BB3_745 Depth=2
	s_or_b64 exec, exec, s[26:27]
	s_or_b64 exec, exec, s[24:25]
	s_add_i32 s22, s68, 1
	s_cmp_eq_u32 s68, s77
	s_cbranch_scc1 .LBB3_1002
.LBB3_1001:                             ;   in Loop: Header=BB3_745 Depth=2
	s_mov_b32 s68, s22
	s_branch .LBB3_745
.LBB3_1002:                             ;   in Loop: Header=BB3_47 Depth=1
	v_accvgpr_read_b32 v10, a26
	v_accvgpr_read_b32 v11, a27
	v_mul_lo_u32 v2, v11, s78
	v_mul_lo_u32 v8, v10, s79
	v_mad_u64_u32 v[4:5], s[22:23], v10, s78, 0
	v_add3_u32 v5, v5, v8, v2
	v_accvgpr_read_b32 v8, a28
	v_accvgpr_read_b32 v9, a29
	v_sub_co_u32_e32 v8, vcc, v8, v4
	v_accvgpr_read_b32 v16, a16
	s_nop 0
	v_subb_co_u32_e32 v9, vcc, v9, v5, vcc
	v_cmp_lt_i64_e32 vcc, v[10:11], v[8:9]
	v_accvgpr_read_b32 v17, a17
	s_nop 0
	v_cndmask_b32_e32 v2, v8, v10, vcc
	v_max_i32_e32 v18, 0, v2
	v_add_u32_e32 v8, 31, v18
	v_ashrrev_i32_e32 v9, 31, v8
	v_lshrrev_b32_e32 v9, 27, v9
	v_add_u32_e32 v8, v8, v9
	v_ashrrev_i32_e32 v8, 5, v8
	v_lshlrev_b32_e32 v8, 4, v8
	v_cmp_lt_i32_e32 vcc, 0, v2
	v_max_i32_e32 v19, s76, v8
	s_and_b64 s[22:23], s[50:51], vcc
	v_mov_b32_e32 v2, 0
	v_mov_b32_e32 v8, 0
	s_and_saveexec_b64 s[24:25], s[22:23]
	s_cbranch_execz .LBB3_1142
; %bb.1003:                             ;   in Loop: Header=BB3_47 Depth=1
	v_accvgpr_read_b32 v8, a30
	v_accvgpr_read_b32 v9, a31
	v_lshl_add_u64 v[4:5], v[4:5], 0, v[8:9]
	s_mov_b32 s68, 1
	s_mov_b64 s[28:29], -1
	s_mov_b64 s[26:27], 0
	v_mov_b32_e32 v8, 0
	v_lshlrev_b64 v[10:11], 1, v[4:5]
	s_branch .LBB3_1005
.LBB3_1004:                             ;   in Loop: Header=BB3_1005 Depth=2
	s_or_b64 exec, exec, s[22:23]
	v_add_u32_e32 v8, v19, v8
	v_cmp_ge_i32_e32 vcc, v8, v18
	s_xor_b64 s[22:23], s[28:29], -1
	s_or_b64 s[22:23], s[22:23], vcc
	s_and_b64 s[22:23], exec, s[22:23]
	s_or_b64 s[26:27], s[22:23], s[26:27]
	s_mov_b64 s[28:29], 0
	v_mov_b32_e32 v2, s68
	s_mov_b32 s68, 2
	s_andn2_b64 exec, exec, s[26:27]
	s_cbranch_execz .LBB3_1141
.LBB3_1005:                             ;   Parent Loop BB3_47 Depth=1
                                        ; =>  This Loop Header: Depth=2
                                        ;       Child Loop BB3_1013 Depth 3
                                        ;       Child Loop BB3_1037 Depth 3
                                        ;       Child Loop BB3_1056 Depth 3
                                        ;       Child Loop BB3_1097 Depth 3
                                        ;       Child Loop BB3_1102 Depth 3
                                        ;       Child Loop BB3_1076 Depth 3
                                        ;       Child Loop BB3_1081 Depth 3
                                        ;       Child Loop BB3_1091 Depth 3
                                        ;       Child Loop BB3_1128 Depth 3
	s_and_saveexec_b64 s[22:23], s[0:1]
	s_cbranch_execz .LBB3_1007
; %bb.1006:                             ;   in Loop: Header=BB3_1005 Depth=2
	s_trap 2
	ds_read_b128 v[14:17], v0
	v_ashrrev_i32_e32 v9, 31, v8
	v_lshlrev_b64 v[4:5], 1, v[8:9]
	s_waitcnt lgkmcnt(0)
	v_lshl_add_u64 v[14:15], v[14:15], 0, v[10:11]
	v_lshl_add_u64 v[30:31], v[16:17], 0, v[10:11]
	;; [unrolled: 1-line block ×4, first 2 shown]
	v_cmp_ne_u64_e32 vcc, 0, v[16:17]
	v_accvgpr_read_b32 v16, a16
	v_accvgpr_read_b32 v17, a17
	v_cndmask_b32_e32 v5, 0, v5, vcc
	v_cndmask_b32_e32 v4, 0, v4, vcc
	ds_write_b64 v0, v[14:15]
	ds_write_b64 v0, v[4:5]
.LBB3_1007:                             ;   in Loop: Header=BB3_1005 Depth=2
	s_or_b64 exec, exec, s[22:23]
	v_and_b32_e32 v2, 4, v62
	v_cmp_ne_u32_e32 vcc, 0, v2
	s_mov_b64 s[52:53], -1
	s_and_saveexec_b64 s[22:23], vcc
	s_cbranch_execz .LBB3_1017
; %bb.1008:                             ;   in Loop: Header=BB3_1005 Depth=2
	v_lshl_add_u64 v[4:5], v[20:21], 0, 2
	v_cmp_lt_u64_e32 vcc, v[32:33], v[4:5]
	v_mov_b32_e32 v2, 1
	s_and_saveexec_b64 s[52:53], vcc
	s_cbranch_execz .LBB3_1028
; %bb.1009:                             ;   in Loop: Header=BB3_1005 Depth=2
	s_mov_b64 s[54:55], 0
	v_mov_b32_e32 v2, 0
                                        ; implicit-def: $sgpr56_sgpr57
	s_branch .LBB3_1013
.LBB3_1010:                             ;   in Loop: Header=BB3_1013 Depth=3
	s_or_b64 exec, exec, s[64:65]
	v_mov_b32_e32 v9, 0
	s_orn2_b64 s[62:63], s[62:63], exec
.LBB3_1011:                             ;   in Loop: Header=BB3_1013 Depth=3
	s_or_b64 exec, exec, s[60:61]
	s_andn2_b64 vcc, s[56:57], exec
	s_and_b64 s[56:57], s[62:63], exec
	s_or_b64 s[56:57], vcc, s[56:57]
	v_mov_b32_e32 v2, v9
.LBB3_1012:                             ;   in Loop: Header=BB3_1013 Depth=3
	s_or_b64 exec, exec, s[58:59]
	s_waitcnt vmcnt(0) lgkmcnt(0)
	v_cmp_ge_u64_e32 vcc, v[32:33], v[4:5]
	s_xor_b64 s[58:59], s[56:57], -1
	s_or_b64 vcc, s[58:59], vcc
	s_and_b64 vcc, exec, vcc
	s_or_b64 s[54:55], vcc, s[54:55]
	s_andn2_b64 exec, exec, s[54:55]
	s_cbranch_execz .LBB3_1027
.LBB3_1013:                             ;   Parent Loop BB3_47 Depth=1
                                        ;     Parent Loop BB3_1005 Depth=2
                                        ; =>    This Inner Loop Header: Depth=3
	s_sleep 1
	flat_load_dwordx2 v[32:33], v[22:23] sc0 sc1
	v_and_b32_e32 v9, 64, v62
	v_cmp_eq_u32_e32 vcc, 0, v9
	s_andn2_b64 s[56:57], s[56:57], exec
	s_and_saveexec_b64 s[58:59], vcc
	s_cbranch_execz .LBB3_1012
; %bb.1014:                             ;   in Loop: Header=BB3_1013 Depth=3
	v_add_u32_e32 v9, 1, v2
	v_cmp_lt_i32_e32 vcc, s72, v2
	s_mov_b64 s[62:63], -1
	s_and_saveexec_b64 s[60:61], vcc
	s_cbranch_execz .LBB3_1011
; %bb.1015:                             ;   in Loop: Header=BB3_1013 Depth=3
	s_trap 2
	ds_read_b64 v[14:15], v0
	s_waitcnt vmcnt(0) lgkmcnt(0)
	flat_load_dword v2, v[14:15] sc0 sc1
	s_waitcnt vmcnt(0) lgkmcnt(0)
	buffer_inv sc0 sc1
	v_cmp_ne_u32_e32 vcc, 0, v2
	s_and_saveexec_b64 s[64:65], vcc
	s_cbranch_execz .LBB3_1010
; %bb.1016:                             ;   in Loop: Header=BB3_1013 Depth=3
	v_or_b32_e32 v62, 64, v62
	s_xor_b64 s[62:63], exec, -1
	ds_write_b32 v0, v2
	s_trap 2
	s_branch .LBB3_1010
.LBB3_1017:                             ;   in Loop: Header=BB3_1005 Depth=2
	s_or_b64 exec, exec, s[22:23]
	s_xor_b64 s[22:23], s[52:53], -1
	s_and_saveexec_b64 s[52:53], s[22:23]
	s_cbranch_execz .LBB3_1029
.LBB3_1018:                             ;   in Loop: Header=BB3_1005 Depth=2
	v_and_b32_e32 v2, 0x100, v62
	v_cmp_ne_u32_e32 vcc, 0, v2
	v_and_b32_e32 v2, 7, v20
	s_mov_b64 s[22:23], -1
                                        ; implicit-def: $vgpr4_vgpr5
	s_and_saveexec_b64 s[54:55], vcc
	s_cbranch_execz .LBB3_1022
; %bb.1019:                             ;   in Loop: Header=BB3_1005 Depth=2
	v_mad_u64_u32 v[14:15], s[22:23], v2, 24, v[6:7]
	flat_load_dword v4, v[14:15]
	s_waitcnt vmcnt(0) lgkmcnt(0)
	v_cmp_ne_u32_e32 vcc, 1, v4
	v_cmp_eq_u32_e64 s[22:23], 1, v4
                                        ; implicit-def: $vgpr4_vgpr5
	s_and_saveexec_b64 s[56:57], s[22:23]
	s_cbranch_execz .LBB3_1021
; %bb.1020:                             ;   in Loop: Header=BB3_1005 Depth=2
	flat_load_dword v4, v[14:15] offset:4 sc0 sc1
	s_waitcnt vmcnt(0) lgkmcnt(0)
	v_ashrrev_i32_e32 v5, 31, v4
	v_lshrrev_b64 v[4:5], 1, v[4:5]
.LBB3_1021:                             ;   in Loop: Header=BB3_1005 Depth=2
	s_or_b64 exec, exec, s[56:57]
	s_orn2_b64 s[22:23], vcc, exec
.LBB3_1022:                             ;   in Loop: Header=BB3_1005 Depth=2
	s_or_b64 exec, exec, s[54:55]
	s_and_saveexec_b64 vcc, s[22:23]
; %bb.1023:                             ;   in Loop: Header=BB3_1005 Depth=2
	v_mad_i64_i32 v[4:5], s[22:23], v2, v24, 0
; %bb.1024:                             ;   in Loop: Header=BB3_1005 Depth=2
	s_or_b64 exec, exec, vcc
	v_and_b32_e32 v2, 0x2000, v62
	v_lshl_add_u64 v[4:5], v[4:5], 1, v[26:27]
	v_cmp_ne_u32_e32 vcc, 0, v2
	ds_write_b64 v0, v[4:5] offset:720
	s_and_saveexec_b64 s[22:23], vcc
	s_cbranch_execz .LBB3_1026
; %bb.1025:                             ;   in Loop: Header=BB3_1005 Depth=2
	ds_read_b64 v[4:5], v0 offset:584
	s_waitcnt lgkmcnt(0)
	v_lshl_add_u64 v[4:5], v[4:5], 0, 1
	ds_write_b64 v0, v[4:5] offset:584
.LBB3_1026:                             ;   in Loop: Header=BB3_1005 Depth=2
	s_or_b64 exec, exec, s[22:23]
	v_lshl_add_u64 v[20:21], v[20:21], 0, 2
	s_or_b64 exec, exec, s[52:53]
	s_and_saveexec_b64 s[22:23], s[4:5]
	s_cbranch_execz .LBB3_1048
	s_branch .LBB3_1030
.LBB3_1027:                             ;   in Loop: Header=BB3_1005 Depth=2
	s_or_b64 exec, exec, s[54:55]
	v_and_b32_e32 v2, 4, v62
.LBB3_1028:                             ;   in Loop: Header=BB3_1005 Depth=2
	s_or_b64 exec, exec, s[52:53]
	v_cmp_eq_u32_e32 vcc, 0, v2
	s_orn2_b64 s[52:53], vcc, exec
	;;#ASMSTART
	s_wakeup
	;;#ASMEND
	s_or_b64 exec, exec, s[22:23]
	s_xor_b64 s[22:23], s[52:53], -1
	s_and_saveexec_b64 s[52:53], s[22:23]
	s_cbranch_execnz .LBB3_1018
.LBB3_1029:                             ;   in Loop: Header=BB3_1005 Depth=2
	s_or_b64 exec, exec, s[52:53]
	s_and_saveexec_b64 s[22:23], s[4:5]
	s_cbranch_execz .LBB3_1048
.LBB3_1030:                             ;   in Loop: Header=BB3_1005 Depth=2
	s_and_saveexec_b64 vcc, s[38:39]
	s_xor_b64 s[52:53], exec, vcc
	s_cbranch_execz .LBB3_1045
; %bb.1031:                             ;   in Loop: Header=BB3_1005 Depth=2
	s_and_saveexec_b64 s[54:55], s[12:13]
	s_cbranch_execz .LBB3_1044
; %bb.1032:                             ;   in Loop: Header=BB3_1005 Depth=2
	s_mov_b64 s[58:59], exec
	v_mbcnt_lo_u32_b32 v2, s58, 0
	v_mbcnt_hi_u32_b32 v2, s59, v2
	v_cmp_eq_u32_e32 vcc, 0, v2
	s_waitcnt lgkmcnt(0)
	s_and_saveexec_b64 s[56:57], vcc
	s_cbranch_execz .LBB3_1034
; %bb.1033:                             ;   in Loop: Header=BB3_1005 Depth=2
	s_bcnt1_i32_b64 vcc_lo, s[58:59]
	v_mov_b32_e32 v2, vcc_lo
	ds_add_u64 v0, v[2:3]
	s_trap 2
.LBB3_1034:                             ;   in Loop: Header=BB3_1005 Depth=2
	s_or_b64 exec, exec, s[56:57]
	s_trap 2
	ds_read_b64 v[4:5], v0
	v_lshl_add_u64 v[12:13], v[12:13], 0, v[34:35]
	s_waitcnt lgkmcnt(0)
	v_cmp_lt_u64_e32 vcc, v[4:5], v[12:13]
	s_and_saveexec_b64 s[56:57], vcc
	s_cbranch_execz .LBB3_1043
; %bb.1035:                             ;   in Loop: Header=BB3_1005 Depth=2
	s_mov_b32 s69, 0
	s_mov_b64 s[58:59], 0
                                        ; implicit-def: $sgpr60_sgpr61
                                        ; implicit-def: $sgpr62_sgpr63
	s_branch .LBB3_1037
.LBB3_1036:                             ;   in Loop: Header=BB3_1037 Depth=3
	s_or_b64 exec, exec, s[66:67]
	s_and_b64 vcc, exec, vcc
	s_or_b64 s[58:59], vcc, s[58:59]
	s_andn2_b64 vcc, s[60:61], exec
	s_and_b64 s[60:61], s[62:63], exec
	s_or_b64 s[60:61], vcc, s[60:61]
	s_andn2_b64 exec, exec, s[58:59]
	s_cbranch_execz .LBB3_1041
.LBB3_1037:                             ;   Parent Loop BB3_47 Depth=1
                                        ;     Parent Loop BB3_1005 Depth=2
                                        ; =>    This Inner Loop Header: Depth=3
	s_add_i32 s69, s69, 1
	s_cmpk_lg_i32 s69, 0x2710
	s_cselect_b64 s[64:65], -1, 0
	s_and_b64 vcc, exec, s[64:65]
                                        ; implicit-def: $sgpr66_sgpr67
	s_cbranch_vccnz .LBB3_1039
; %bb.1038:                             ;   in Loop: Header=BB3_1037 Depth=3
	s_trap 2
	ds_read_b64 v[4:5], v0
	s_andn2_b64 s[64:65], s[64:65], exec
	s_mov_b32 s69, 0
	s_mov_b64 s[66:67], -1
	s_waitcnt vmcnt(0) lgkmcnt(0)
	flat_load_dword v2, v[4:5] sc0 sc1
	s_waitcnt vmcnt(0) lgkmcnt(0)
	buffer_inv sc0 sc1
	v_cmp_eq_u32_e32 vcc, 0, v2
	s_and_b64 vcc, vcc, exec
	s_or_b64 s[64:65], s[64:65], vcc
.LBB3_1039:                             ;   in Loop: Header=BB3_1037 Depth=3
	s_andn2_b64 s[62:63], s[62:63], exec
	s_and_b64 s[66:67], s[66:67], exec
	s_mov_b64 vcc, -1
	s_or_b64 s[62:63], s[62:63], s[66:67]
	s_and_saveexec_b64 s[66:67], s[64:65]
	s_cbranch_execz .LBB3_1036
; %bb.1040:                             ;   in Loop: Header=BB3_1037 Depth=3
	s_sleep 1
	s_trap 2
	ds_read_b64 v[4:5], v0
	s_andn2_b64 s[62:63], s[62:63], exec
	s_waitcnt lgkmcnt(0)
	v_cmp_ge_u64_e32 vcc, v[4:5], v[12:13]
	s_orn2_b64 vcc, vcc, exec
	s_branch .LBB3_1036
.LBB3_1041:                             ;   in Loop: Header=BB3_1005 Depth=2
	s_or_b64 exec, exec, s[58:59]
	s_and_saveexec_b64 vcc, s[60:61]
	s_xor_b64 vcc, exec, vcc
	s_cbranch_execz .LBB3_1043
; %bb.1042:                             ;   in Loop: Header=BB3_1005 Depth=2
	ds_write_b32 v0, v56
	s_trap 2
.LBB3_1043:                             ;   in Loop: Header=BB3_1005 Depth=2
	s_or_b64 exec, exec, s[56:57]
	;;#ASMSTART
	s_wakeup
	;;#ASMEND
.LBB3_1044:                             ;   in Loop: Header=BB3_1005 Depth=2
	s_or_b64 exec, exec, s[54:55]
.LBB3_1045:                             ;   in Loop: Header=BB3_1005 Depth=2
	s_andn2_saveexec_b64 vcc, s[52:53]
	s_cbranch_execz .LBB3_1047
; %bb.1046:                             ;   in Loop: Header=BB3_1005 Depth=2
	s_waitcnt lgkmcnt(0)
	s_barrier
.LBB3_1047:                             ;   in Loop: Header=BB3_1005 Depth=2
	s_or_b64 exec, exec, vcc
.LBB3_1048:                             ;   in Loop: Header=BB3_1005 Depth=2
	s_or_b64 exec, exec, s[22:23]
	s_trap 2
	ds_read_b32 v4, v0
	v_and_b32_e32 v2, 0x4000, v62
	v_cmp_ne_u32_e32 vcc, 0, v2
	s_xor_b64 s[22:23], s[2:3], -1
	s_and_b64 vcc, s[22:23], vcc
	s_and_saveexec_b64 s[22:23], vcc
	s_cbranch_execz .LBB3_1067
; %bb.1049:                             ;   in Loop: Header=BB3_1005 Depth=2
	s_and_saveexec_b64 vcc, s[38:39]
	s_xor_b64 s[52:53], exec, vcc
	s_cbranch_execz .LBB3_1064
; %bb.1050:                             ;   in Loop: Header=BB3_1005 Depth=2
	s_and_saveexec_b64 s[54:55], s[12:13]
	s_cbranch_execz .LBB3_1063
; %bb.1051:                             ;   in Loop: Header=BB3_1005 Depth=2
	s_mov_b64 s[58:59], exec
	v_mbcnt_lo_u32_b32 v2, s58, 0
	v_mbcnt_hi_u32_b32 v2, s59, v2
	v_cmp_eq_u32_e32 vcc, 0, v2
	s_waitcnt lgkmcnt(0)
	s_and_saveexec_b64 s[56:57], vcc
	s_cbranch_execz .LBB3_1053
; %bb.1052:                             ;   in Loop: Header=BB3_1005 Depth=2
	s_bcnt1_i32_b64 vcc_lo, s[58:59]
	v_mov_b32_e32 v2, vcc_lo
	ds_add_u64 v0, v[2:3]
	s_trap 2
.LBB3_1053:                             ;   in Loop: Header=BB3_1005 Depth=2
	s_or_b64 exec, exec, s[56:57]
	s_trap 2
	ds_read_b64 v[14:15], v0
	v_lshl_add_u64 v[12:13], v[12:13], 0, v[34:35]
	s_waitcnt lgkmcnt(0)
	v_cmp_lt_u64_e32 vcc, v[14:15], v[12:13]
	s_and_saveexec_b64 s[56:57], vcc
	s_cbranch_execz .LBB3_1062
; %bb.1054:                             ;   in Loop: Header=BB3_1005 Depth=2
	s_mov_b32 s69, 0
	s_mov_b64 s[58:59], 0
                                        ; implicit-def: $sgpr60_sgpr61
                                        ; implicit-def: $sgpr62_sgpr63
	s_branch .LBB3_1056
.LBB3_1055:                             ;   in Loop: Header=BB3_1056 Depth=3
	s_or_b64 exec, exec, s[66:67]
	s_and_b64 vcc, exec, vcc
	s_or_b64 s[58:59], vcc, s[58:59]
	s_andn2_b64 vcc, s[60:61], exec
	s_and_b64 s[60:61], s[62:63], exec
	s_or_b64 s[60:61], vcc, s[60:61]
	s_andn2_b64 exec, exec, s[58:59]
	s_cbranch_execz .LBB3_1060
.LBB3_1056:                             ;   Parent Loop BB3_47 Depth=1
                                        ;     Parent Loop BB3_1005 Depth=2
                                        ; =>    This Inner Loop Header: Depth=3
	s_add_i32 s69, s69, 1
	s_cmpk_lg_i32 s69, 0x2710
	s_cselect_b64 s[64:65], -1, 0
	s_and_b64 vcc, exec, s[64:65]
                                        ; implicit-def: $sgpr66_sgpr67
	s_cbranch_vccnz .LBB3_1058
; %bb.1057:                             ;   in Loop: Header=BB3_1056 Depth=3
	s_trap 2
	ds_read_b64 v[14:15], v0
	s_andn2_b64 s[64:65], s[64:65], exec
	s_mov_b32 s69, 0
	s_mov_b64 s[66:67], -1
	s_waitcnt vmcnt(0) lgkmcnt(0)
	flat_load_dword v2, v[14:15] sc0 sc1
	s_waitcnt vmcnt(0) lgkmcnt(0)
	buffer_inv sc0 sc1
	v_cmp_eq_u32_e32 vcc, 0, v2
	s_and_b64 vcc, vcc, exec
	s_or_b64 s[64:65], s[64:65], vcc
.LBB3_1058:                             ;   in Loop: Header=BB3_1056 Depth=3
	s_andn2_b64 s[62:63], s[62:63], exec
	s_and_b64 s[66:67], s[66:67], exec
	s_mov_b64 vcc, -1
	s_or_b64 s[62:63], s[62:63], s[66:67]
	s_and_saveexec_b64 s[66:67], s[64:65]
	s_cbranch_execz .LBB3_1055
; %bb.1059:                             ;   in Loop: Header=BB3_1056 Depth=3
	s_sleep 1
	s_trap 2
	ds_read_b64 v[14:15], v0
	s_andn2_b64 s[62:63], s[62:63], exec
	s_waitcnt lgkmcnt(0)
	v_cmp_ge_u64_e32 vcc, v[14:15], v[12:13]
	s_orn2_b64 vcc, vcc, exec
	s_branch .LBB3_1055
.LBB3_1060:                             ;   in Loop: Header=BB3_1005 Depth=2
	s_or_b64 exec, exec, s[58:59]
	s_and_saveexec_b64 vcc, s[60:61]
	s_xor_b64 vcc, exec, vcc
	s_cbranch_execz .LBB3_1062
; %bb.1061:                             ;   in Loop: Header=BB3_1005 Depth=2
	ds_write_b32 v0, v56
	s_trap 2
.LBB3_1062:                             ;   in Loop: Header=BB3_1005 Depth=2
	s_or_b64 exec, exec, s[56:57]
	;;#ASMSTART
	s_wakeup
	;;#ASMEND
.LBB3_1063:                             ;   in Loop: Header=BB3_1005 Depth=2
	s_or_b64 exec, exec, s[54:55]
.LBB3_1064:                             ;   in Loop: Header=BB3_1005 Depth=2
	s_andn2_saveexec_b64 vcc, s[52:53]
	s_cbranch_execz .LBB3_1066
; %bb.1065:                             ;   in Loop: Header=BB3_1005 Depth=2
	s_waitcnt lgkmcnt(0)
	s_barrier
.LBB3_1066:                             ;   in Loop: Header=BB3_1005 Depth=2
	s_or_b64 exec, exec, vcc
.LBB3_1067:                             ;   in Loop: Header=BB3_1005 Depth=2
	s_or_b64 exec, exec, s[22:23]
	s_trap 2
	ds_read_b64 v[14:15], v0
	v_sub_u32_e32 v2, v18, v8
	v_min_i32_e32 v19, v19, v2
	v_mov_b32_e32 v9, 0
	s_waitcnt lgkmcnt(0)
	v_readfirstlane_b32 s22, v14
	v_readfirstlane_b32 s23, v15
	s_cmp_eq_u64 s[22:23], 0
	s_cselect_b64 s[22:23], -1, 0
	s_or_b64 s[22:23], s[22:23], s[22:23]
	s_and_b64 vcc, exec, s[22:23]
	s_cbranch_vccnz .LBB3_1083
; %bb.1068:                             ;   in Loop: Header=BB3_1005 Depth=2
	s_mov_b64 s[22:23], -1
	s_and_saveexec_b64 s[52:53], s[16:17]
	s_cbranch_execz .LBB3_1070
; %bb.1069:                             ;   in Loop: Header=BB3_1005 Depth=2
	ds_read_b32 v2, v0 offset:720
	s_waitcnt lgkmcnt(0)
	v_and_b32_e32 v2, 15, v2
	v_cmp_eq_u32_e32 vcc, 0, v2
	s_orn2_b64 s[22:23], vcc, exec
.LBB3_1070:                             ;   in Loop: Header=BB3_1005 Depth=2
	s_or_b64 exec, exec, s[52:53]
	s_and_saveexec_b64 s[52:53], s[14:15]
	s_cbranch_execz .LBB3_1072
; %bb.1071:                             ;   in Loop: Header=BB3_1005 Depth=2
	ds_read_b32 v2, v0 offset:784
	s_waitcnt lgkmcnt(0)
	v_and_b32_e32 v2, 15, v2
	v_cmp_eq_u32_e32 vcc, 0, v2
	s_and_b64 vcc, s[22:23], vcc
	s_andn2_b64 s[22:23], s[22:23], exec
	s_and_b64 vcc, vcc, exec
	s_or_b64 s[22:23], s[22:23], vcc
.LBB3_1072:                             ;   in Loop: Header=BB3_1005 Depth=2
	s_or_b64 exec, exec, s[52:53]
	v_cmp_eq_u32_e32 vcc, 0, v4
	s_xor_b64 s[22:23], s[22:23], -1
	v_cndmask_b32_e64 v4, 0, 1, s[22:23]
	v_cndmask_b32_e32 v9, 0, v19, vcc
	v_mov_b32_e32 v30, 0
	v_lshlrev_b32_e32 v2, 1, v9
	s_mov_b64 s[54:55], -1
	;;#ASMSTART
	;;#ASMEND
	s_nop 0
	v_cmp_ne_u32_e32 vcc, 0, v4
	s_cbranch_vccz .LBB3_1095
; %bb.1073:                             ;   in Loop: Header=BB3_1005 Depth=2
	v_mov_b32_e32 v25, v60
	v_mov_b32_e32 v14, v61
	s_and_saveexec_b64 s[22:23], s[54:55]
	s_cbranch_execz .LBB3_1108
.LBB3_1074:                             ;   in Loop: Header=BB3_1005 Depth=2
	v_ashrrev_i32_e32 v4, 31, v2
	v_lshrrev_b32_e32 v4, 23, v4
	v_add_u32_e32 v4, v2, v4
	v_ashrrev_i32_e32 v37, 9, v4
	v_sub_u32_e32 v31, v37, v14
	v_ashrrev_i32_e32 v4, 31, v25
	v_cmp_lt_i32_e32 vcc, 0, v31
	v_lshrrev_b32_e32 v36, 26, v4
	s_and_saveexec_b64 s[52:53], vcc
	s_cbranch_execz .LBB3_1078
; %bb.1075:                             ;   in Loop: Header=BB3_1005 Depth=2
	s_trap 2
	ds_read_b64 v[4:5], v0
	v_add_u32_e32 v15, v25, v36
	v_and_b32_e32 v15, 0x7fffffc0, v15
	v_sub_u32_e32 v15, v25, v15
	v_lshlrev_b32_e32 v15, 1, v15
	v_lshlrev_b32_e32 v14, 9, v14
	v_add3_u32 v14, v15, v30, v14
	v_ashrrev_i32_e32 v15, 31, v14
	s_mov_b64 s[54:55], 0
	s_waitcnt lgkmcnt(0)
	v_mov_b64_e32 v[16:17], v[4:5]
.LBB3_1076:                             ;   Parent Loop BB3_47 Depth=1
                                        ;     Parent Loop BB3_1005 Depth=2
                                        ; =>    This Inner Loop Header: Depth=3
	v_lshl_add_u64 v[48:49], v[14:15], 0, v[16:17]
	flat_load_ushort v52, v[48:49] nt
	flat_load_ushort v53, v[48:49] offset:128 nt
	flat_load_ushort v54, v[48:49] offset:256 nt
	;; [unrolled: 1-line block ×3, first 2 shown]
	v_sub_u32_e32 v31, v31, v34
	v_cmp_gt_i32_e32 vcc, 1, v31
	v_lshl_add_u64 v[48:49], v[14:15], 0, v[4:5]
	v_lshl_add_u64 v[16:17], v[16:17], 0, v[40:41]
	;; [unrolled: 1-line block ×3, first 2 shown]
	s_or_b64 s[54:55], vcc, s[54:55]
	s_waitcnt vmcnt(0) lgkmcnt(0)
	flat_store_short v[48:49], v52 nt
	flat_store_short v[48:49], v53 offset:128 nt
	flat_store_short v[48:49], v54 offset:256 nt
	;; [unrolled: 1-line block ×3, first 2 shown]
	s_andn2_b64 exec, exec, s[54:55]
	s_cbranch_execnz .LBB3_1076
; %bb.1077:                             ;   in Loop: Header=BB3_1005 Depth=2
	s_or_b64 exec, exec, s[54:55]
	v_accvgpr_read_b32 v55, a21
	v_accvgpr_read_b32 v54, a20
.LBB3_1078:                             ;   in Loop: Header=BB3_1005 Depth=2
	s_or_b64 exec, exec, s[52:53]
	v_lshlrev_b32_e32 v4, 9, v37
	v_cmp_ne_u32_e32 vcc, v2, v4
	s_and_saveexec_b64 s[52:53], vcc
	s_cbranch_execz .LBB3_1082
; %bb.1079:                             ;   in Loop: Header=BB3_1005 Depth=2
	v_add_u32_e32 v5, v25, v36
	v_and_b32_e32 v5, 0xffffffc0, v5
	v_sub_u32_e32 v5, v25, v5
	v_lshlrev_b32_e32 v14, 6, v31
	v_sub_u32_e32 v5, v5, v14
	v_ashrrev_i32_e32 v14, 31, v5
	v_lshrrev_b32_e32 v14, 26, v14
	v_add_u32_e32 v14, v5, v14
	v_and_b32_e32 v15, 0x7fffffc0, v14
	v_sub_u32_e32 v5, v5, v15
	v_lshlrev_b32_e32 v14, 1, v14
	v_and_b32_e32 v14, 0xffffff80, v14
	v_lshlrev_b32_e32 v5, 1, v5
	v_add3_u32 v14, v14, v5, v4
	v_sub_u32_e32 v2, v2, v14
	v_cmp_lt_i32_e32 vcc, 1, v2
	s_and_b64 exec, exec, vcc
	s_cbranch_execz .LBB3_1082
; %bb.1080:                             ;   in Loop: Header=BB3_1005 Depth=2
	s_trap 2
	ds_read_b64 v[4:5], v0
	v_add_u32_e32 v14, v14, v30
	v_ashrrev_i32_e32 v15, 31, v14
	s_mov_b64 s[54:55], 0
.LBB3_1081:                             ;   Parent Loop BB3_47 Depth=1
                                        ;     Parent Loop BB3_1005 Depth=2
                                        ; =>    This Inner Loop Header: Depth=3
	s_waitcnt lgkmcnt(0)
	v_lshl_add_u64 v[16:17], v[4:5], 0, v[14:15]
	flat_load_ushort v25, v[16:17] nt
	v_sub_u32_e32 v2, v2, v39
	v_cmp_gt_i32_e32 vcc, 2, v2
	v_lshl_add_u64 v[14:15], v[14:15], 0, v[44:45]
	s_or_b64 s[54:55], vcc, s[54:55]
	s_waitcnt vmcnt(0) lgkmcnt(0)
	flat_store_short v[16:17], v25 nt
	s_andn2_b64 exec, exec, s[54:55]
	s_cbranch_execnz .LBB3_1081
.LBB3_1082:                             ;   in Loop: Header=BB3_1005 Depth=2
	s_or_b64 exec, exec, s[52:53]
	v_accvgpr_read_b32 v16, a16
	v_accvgpr_read_b32 v17, a17
	s_or_b64 exec, exec, s[22:23]
	s_and_saveexec_b64 s[22:23], s[4:5]
	s_cbranch_execz .LBB3_1109
	s_branch .LBB3_1084
.LBB3_1083:                             ;   in Loop: Header=BB3_1005 Depth=2
	s_and_saveexec_b64 s[22:23], s[4:5]
	s_cbranch_execz .LBB3_1109
.LBB3_1084:                             ;   in Loop: Header=BB3_1005 Depth=2
	s_and_saveexec_b64 vcc, s[38:39]
	s_xor_b64 s[52:53], exec, vcc
	s_cbranch_execz .LBB3_1117
; %bb.1085:                             ;   in Loop: Header=BB3_1005 Depth=2
	s_and_saveexec_b64 s[54:55], s[12:13]
	s_cbranch_execz .LBB3_1116
; %bb.1086:                             ;   in Loop: Header=BB3_1005 Depth=2
	s_mov_b64 s[58:59], exec
	v_mbcnt_lo_u32_b32 v2, s58, 0
	v_mbcnt_hi_u32_b32 v2, s59, v2
	v_cmp_eq_u32_e32 vcc, 0, v2
	s_waitcnt lgkmcnt(0)
	s_and_saveexec_b64 s[56:57], vcc
	s_cbranch_execz .LBB3_1088
; %bb.1087:                             ;   in Loop: Header=BB3_1005 Depth=2
	s_bcnt1_i32_b64 vcc_lo, s[58:59]
	v_mov_b32_e32 v2, vcc_lo
	ds_add_u64 v0, v[2:3]
	s_trap 2
.LBB3_1088:                             ;   in Loop: Header=BB3_1005 Depth=2
	s_or_b64 exec, exec, s[56:57]
	s_trap 2
	ds_read_b64 v[4:5], v0
	v_lshl_add_u64 v[12:13], v[12:13], 0, v[34:35]
	s_waitcnt lgkmcnt(0)
	v_cmp_lt_u64_e32 vcc, v[4:5], v[12:13]
	s_and_saveexec_b64 s[56:57], vcc
	s_cbranch_execz .LBB3_1115
; %bb.1089:                             ;   in Loop: Header=BB3_1005 Depth=2
	s_mov_b32 s69, 0
	s_mov_b64 s[58:59], 0
                                        ; implicit-def: $sgpr60_sgpr61
                                        ; implicit-def: $sgpr62_sgpr63
	s_branch .LBB3_1091
.LBB3_1090:                             ;   in Loop: Header=BB3_1091 Depth=3
	s_or_b64 exec, exec, s[66:67]
	s_and_b64 vcc, exec, vcc
	s_or_b64 s[58:59], vcc, s[58:59]
	s_andn2_b64 vcc, s[60:61], exec
	s_and_b64 s[60:61], s[62:63], exec
	s_or_b64 s[60:61], vcc, s[60:61]
	s_andn2_b64 exec, exec, s[58:59]
	s_cbranch_execz .LBB3_1113
.LBB3_1091:                             ;   Parent Loop BB3_47 Depth=1
                                        ;     Parent Loop BB3_1005 Depth=2
                                        ; =>    This Inner Loop Header: Depth=3
	s_add_i32 s69, s69, 1
	s_cmpk_lg_i32 s69, 0x2710
	s_cselect_b64 s[64:65], -1, 0
	s_and_b64 vcc, exec, s[64:65]
                                        ; implicit-def: $sgpr66_sgpr67
	s_cbranch_vccnz .LBB3_1093
; %bb.1092:                             ;   in Loop: Header=BB3_1091 Depth=3
	s_trap 2
	ds_read_b64 v[4:5], v0
	s_andn2_b64 s[64:65], s[64:65], exec
	s_mov_b32 s69, 0
	s_mov_b64 s[66:67], -1
	s_waitcnt vmcnt(0) lgkmcnt(0)
	flat_load_dword v2, v[4:5] sc0 sc1
	s_waitcnt vmcnt(0) lgkmcnt(0)
	buffer_inv sc0 sc1
	v_cmp_eq_u32_e32 vcc, 0, v2
	s_and_b64 vcc, vcc, exec
	s_or_b64 s[64:65], s[64:65], vcc
.LBB3_1093:                             ;   in Loop: Header=BB3_1091 Depth=3
	s_andn2_b64 s[62:63], s[62:63], exec
	s_and_b64 s[66:67], s[66:67], exec
	s_mov_b64 vcc, -1
	s_or_b64 s[62:63], s[62:63], s[66:67]
	s_and_saveexec_b64 s[66:67], s[64:65]
	s_cbranch_execz .LBB3_1090
; %bb.1094:                             ;   in Loop: Header=BB3_1091 Depth=3
	s_sleep 1
	s_trap 2
	ds_read_b64 v[4:5], v0
	s_andn2_b64 s[62:63], s[62:63], exec
	s_waitcnt lgkmcnt(0)
	v_cmp_ge_u64_e32 vcc, v[4:5], v[12:13]
	s_orn2_b64 vcc, vcc, exec
	s_branch .LBB3_1090
.LBB3_1095:                             ;   in Loop: Header=BB3_1005 Depth=2
	v_ashrrev_i32_e32 v4, 31, v2
	v_lshrrev_b32_e32 v4, 21, v4
	v_add_u32_e32 v4, v2, v4
	v_ashrrev_i32_e32 v16, 11, v4
	v_sub_u32_e32 v17, v16, v61
	v_cmp_lt_i32_e32 vcc, 0, v17
	s_and_saveexec_b64 s[22:23], vcc
	s_cbranch_execz .LBB3_1099
; %bb.1096:                             ;   in Loop: Header=BB3_1005 Depth=2
	s_trap 2
	ds_read_b64 v[4:5], v0
	v_accvgpr_read_b32 v14, a24
	s_mov_b64 s[52:53], 0
	v_accvgpr_read_b32 v15, a25
	v_mov_b64_e32 v[36:37], v[54:55]
.LBB3_1097:                             ;   Parent Loop BB3_47 Depth=1
                                        ;     Parent Loop BB3_1005 Depth=2
                                        ; =>    This Inner Loop Header: Depth=3
	s_waitcnt lgkmcnt(0)
	v_lshl_add_u64 v[30:31], v[4:5], 0, v[14:15]
	global_load_dwordx4 v[52:55], v[30:31], off nt
	global_load_dwordx4 v[46:49], v[30:31], off offset:1024 nt
	v_sub_u32_e32 v17, v17, v34
	v_cmp_gt_i32_e32 vcc, 1, v17
	v_lshl_add_u64 v[14:15], v[14:15], 0, v[36:37]
	s_or_b64 s[52:53], vcc, s[52:53]
	s_waitcnt vmcnt(0)
	global_store_dwordx4 v[30:31], v[52:55], off nt
	global_store_dwordx4 v[30:31], v[46:49], off offset:1024 nt
	s_andn2_b64 exec, exec, s[52:53]
	s_cbranch_execnz .LBB3_1097
; %bb.1098:                             ;   in Loop: Header=BB3_1005 Depth=2
	s_or_b64 exec, exec, s[52:53]
	v_mov_b64_e32 v[54:55], v[36:37]
.LBB3_1099:                             ;   in Loop: Header=BB3_1005 Depth=2
	s_or_b64 exec, exec, s[22:23]
	v_lshlrev_b32_e32 v16, 11, v16
	v_cmp_ne_u32_e32 vcc, v2, v16
	s_mov_b64 s[54:55], 0
	v_mov_b32_e32 v30, 0
                                        ; implicit-def: $vgpr25
                                        ; implicit-def: $vgpr14
	s_and_saveexec_b64 s[52:53], vcc
	s_cbranch_execz .LBB3_1107
; %bb.1100:                             ;   in Loop: Header=BB3_1005 Depth=2
	v_lshlrev_b32_e32 v5, 6, v17
	v_accvgpr_read_b32 v14, a22
	v_sub_u32_e32 v5, v14, v5
	v_ashrrev_i32_e32 v14, 31, v5
	v_lshrrev_b32_e32 v14, 26, v14
	v_add_u32_e32 v14, v5, v14
	v_ashrrev_i32_e32 v15, 6, v14
	v_and_b32_e32 v14, 0xffffffc0, v14
	v_sub_u32_e32 v17, v5, v14
	v_sub_u32_e32 v4, v2, v16
	v_lshlrev_b32_e32 v5, 4, v17
	v_lshl_add_u32 v14, v15, 10, v5
	v_ashrrev_i32_e32 v5, 31, v4
	v_lshrrev_b32_e32 v5, 22, v5
	v_add_u32_e32 v5, v4, v5
	v_and_b32_e32 v31, 0xfffffc00, v5
	v_sub_u32_e32 v37, v4, v31
	v_ashrrev_i32_e32 v30, 10, v5
	v_cmp_lt_i32_e32 vcc, 15, v37
	v_sub_u32_e32 v25, v4, v14
	s_nop 0
	v_addc_co_u32_e64 v4, s[22:23], 0, v30, vcc
	v_sub_u32_e32 v36, v4, v15
	v_cmp_lt_i32_e64 s[22:23], 15, v25
	s_and_saveexec_b64 s[54:55], s[22:23]
	s_cbranch_execz .LBB3_1104
; %bb.1101:                             ;   in Loop: Header=BB3_1005 Depth=2
	s_trap 2
	ds_read_b64 v[4:5], v0
	v_add_u32_e32 v14, v14, v16
	v_ashrrev_i32_e32 v15, 31, v14
	s_mov_b64 s[56:57], 0
.LBB3_1102:                             ;   Parent Loop BB3_47 Depth=1
                                        ;     Parent Loop BB3_1005 Depth=2
                                        ; =>    This Inner Loop Header: Depth=3
	s_waitcnt lgkmcnt(0)
	v_lshl_add_u64 v[48:49], v[4:5], 0, v[14:15]
	global_load_dwordx4 v[52:55], v[48:49], off nt
	v_sub_u32_e32 v25, v25, v38
	v_cmp_gt_i32_e64 s[22:23], 16, v25
	v_sub_u32_e32 v36, v36, v34
	v_lshl_add_u64 v[14:15], v[14:15], 0, v[42:43]
	s_or_b64 s[56:57], s[22:23], s[56:57]
	s_waitcnt vmcnt(0)
	global_store_dwordx4 v[48:49], v[52:55], off nt
	s_andn2_b64 exec, exec, s[56:57]
	s_cbranch_execnz .LBB3_1102
; %bb.1103:                             ;   in Loop: Header=BB3_1005 Depth=2
	s_or_b64 exec, exec, s[56:57]
	v_accvgpr_read_b32 v55, a21
	v_accvgpr_read_b32 v54, a20
.LBB3_1104:                             ;   in Loop: Header=BB3_1005 Depth=2
	s_or_b64 exec, exec, s[54:55]
	v_and_b32_e32 v4, 14, v2
	v_cndmask_b32_e32 v2, v37, v4, vcc
	v_cmp_ne_u32_e64 s[22:23], 0, v2
	s_mov_b64 s[54:55], 0
	v_mov_b32_e32 v30, 0
                                        ; implicit-def: $vgpr25
                                        ; implicit-def: $vgpr14
	s_and_saveexec_b64 s[56:57], s[22:23]
	s_cbranch_execz .LBB3_1106
; %bb.1105:                             ;   in Loop: Header=BB3_1005 Depth=2
	v_sub_u32_e32 v4, v37, v4
	v_cndmask_b32_e32 v4, 0, v4, vcc
	v_cmp_lt_i32_e32 vcc, 0, v36
	v_add3_u32 v30, v31, v16, v4
	s_mov_b64 s[54:55], exec
	v_cndmask_b32_e32 v4, 0, v34, vcc
	v_sub_u32_e32 v4, v4, v36
	v_lshl_add_u32 v25, v4, 6, v17
	v_ashrrev_i32_e32 v4, 31, v25
	v_lshrrev_b32_e32 v4, 26, v4
	v_add_u32_e32 v4, v25, v4
	v_ashrrev_i32_e32 v14, 6, v4
.LBB3_1106:                             ;   in Loop: Header=BB3_1005 Depth=2
	s_or_b64 exec, exec, s[56:57]
	s_and_b64 s[54:55], s[54:55], exec
.LBB3_1107:                             ;   in Loop: Header=BB3_1005 Depth=2
	s_or_b64 exec, exec, s[52:53]
	v_accvgpr_read_b32 v16, a16
	v_accvgpr_read_b32 v17, a17
	s_and_saveexec_b64 s[22:23], s[54:55]
	s_cbranch_execnz .LBB3_1074
.LBB3_1108:                             ;   in Loop: Header=BB3_1005 Depth=2
	s_or_b64 exec, exec, s[22:23]
	s_and_saveexec_b64 s[22:23], s[4:5]
	s_cbranch_execnz .LBB3_1084
.LBB3_1109:                             ;   in Loop: Header=BB3_1005 Depth=2
	s_or_b64 exec, exec, s[22:23]
	s_and_saveexec_b64 s[22:23], s[20:21]
	s_xor_b64 s[52:53], exec, s[22:23]
	s_cbranch_execz .LBB3_1120
.LBB3_1110:                             ;   in Loop: Header=BB3_1005 Depth=2
	v_and_b32_e32 v2, 16, v62
	v_cmp_lt_i32_e32 vcc, 0, v9
	v_cmp_ne_u32_e64 s[22:23], 0, v2
	s_and_b64 vcc, s[22:23], vcc
	s_and_saveexec_b64 s[22:23], vcc
	s_cbranch_execz .LBB3_1112
; %bb.1111:                             ;   in Loop: Header=BB3_1005 Depth=2
	buffer_wbl2 sc1
	s_waitcnt vmcnt(0) lgkmcnt(0)
	buffer_inv sc1
.LBB3_1112:                             ;   in Loop: Header=BB3_1005 Depth=2
	s_or_b64 exec, exec, s[22:23]
	s_andn2_saveexec_b64 s[22:23], s[52:53]
	s_cbranch_execz .LBB3_1139
	s_branch .LBB3_1121
.LBB3_1113:                             ;   in Loop: Header=BB3_1005 Depth=2
	s_or_b64 exec, exec, s[58:59]
	s_and_saveexec_b64 vcc, s[60:61]
	s_xor_b64 vcc, exec, vcc
	s_cbranch_execz .LBB3_1115
; %bb.1114:                             ;   in Loop: Header=BB3_1005 Depth=2
	ds_write_b32 v0, v56
	s_trap 2
.LBB3_1115:                             ;   in Loop: Header=BB3_1005 Depth=2
	s_or_b64 exec, exec, s[56:57]
	;;#ASMSTART
	s_wakeup
	;;#ASMEND
.LBB3_1116:                             ;   in Loop: Header=BB3_1005 Depth=2
	s_or_b64 exec, exec, s[54:55]
.LBB3_1117:                             ;   in Loop: Header=BB3_1005 Depth=2
	s_andn2_saveexec_b64 vcc, s[52:53]
	s_cbranch_execz .LBB3_1119
; %bb.1118:                             ;   in Loop: Header=BB3_1005 Depth=2
	s_waitcnt lgkmcnt(0)
	s_barrier
.LBB3_1119:                             ;   in Loop: Header=BB3_1005 Depth=2
	s_or_b64 exec, exec, vcc
	s_or_b64 exec, exec, s[22:23]
	s_and_saveexec_b64 s[22:23], s[20:21]
	s_xor_b64 s[52:53], exec, s[22:23]
	s_cbranch_execnz .LBB3_1110
.LBB3_1120:                             ;   in Loop: Header=BB3_1005 Depth=2
	s_andn2_saveexec_b64 s[22:23], s[52:53]
	s_cbranch_execz .LBB3_1139
.LBB3_1121:                             ;   in Loop: Header=BB3_1005 Depth=2
	s_and_saveexec_b64 vcc, s[38:39]
	s_xor_b64 s[52:53], exec, vcc
	s_cbranch_execz .LBB3_1136
; %bb.1122:                             ;   in Loop: Header=BB3_1005 Depth=2
	s_and_saveexec_b64 s[54:55], s[12:13]
	s_cbranch_execz .LBB3_1135
; %bb.1123:                             ;   in Loop: Header=BB3_1005 Depth=2
	s_mov_b64 s[58:59], exec
	v_mbcnt_lo_u32_b32 v2, s58, 0
	v_mbcnt_hi_u32_b32 v2, s59, v2
	v_cmp_eq_u32_e32 vcc, 0, v2
	;;#ASMSTART
	s_waitcnt lgkmcnt(0) vmcnt(0)
	;;#ASMEND
	s_and_saveexec_b64 s[56:57], vcc
	s_cbranch_execz .LBB3_1125
; %bb.1124:                             ;   in Loop: Header=BB3_1005 Depth=2
	s_bcnt1_i32_b64 vcc_lo, s[58:59]
	v_mov_b32_e32 v2, vcc_lo
	ds_add_u64 v0, v[2:3]
	s_trap 2
.LBB3_1125:                             ;   in Loop: Header=BB3_1005 Depth=2
	s_or_b64 exec, exec, s[56:57]
	s_trap 2
	ds_read_b64 v[4:5], v0
	v_lshl_add_u64 v[12:13], v[12:13], 0, v[34:35]
	s_waitcnt lgkmcnt(0)
	v_cmp_lt_u64_e32 vcc, v[4:5], v[12:13]
	s_and_saveexec_b64 s[56:57], vcc
	s_cbranch_execz .LBB3_1134
; %bb.1126:                             ;   in Loop: Header=BB3_1005 Depth=2
	s_mov_b32 s69, 0
	s_mov_b64 s[58:59], 0
                                        ; implicit-def: $sgpr60_sgpr61
                                        ; implicit-def: $sgpr62_sgpr63
	s_branch .LBB3_1128
.LBB3_1127:                             ;   in Loop: Header=BB3_1128 Depth=3
	s_or_b64 exec, exec, s[66:67]
	s_and_b64 vcc, exec, vcc
	s_or_b64 s[58:59], vcc, s[58:59]
	s_andn2_b64 vcc, s[60:61], exec
	s_and_b64 s[60:61], s[62:63], exec
	s_or_b64 s[60:61], vcc, s[60:61]
	s_andn2_b64 exec, exec, s[58:59]
	s_cbranch_execz .LBB3_1132
.LBB3_1128:                             ;   Parent Loop BB3_47 Depth=1
                                        ;     Parent Loop BB3_1005 Depth=2
                                        ; =>    This Inner Loop Header: Depth=3
	s_add_i32 s69, s69, 1
	s_cmpk_lg_i32 s69, 0x2710
	s_cselect_b64 s[64:65], -1, 0
	s_and_b64 vcc, exec, s[64:65]
                                        ; implicit-def: $sgpr66_sgpr67
	s_cbranch_vccnz .LBB3_1130
; %bb.1129:                             ;   in Loop: Header=BB3_1128 Depth=3
	s_trap 2
	ds_read_b64 v[4:5], v0
	s_andn2_b64 s[64:65], s[64:65], exec
	s_mov_b32 s69, 0
	s_mov_b64 s[66:67], -1
	s_waitcnt vmcnt(0) lgkmcnt(0)
	flat_load_dword v2, v[4:5] sc0 sc1
	s_waitcnt vmcnt(0) lgkmcnt(0)
	buffer_inv sc0 sc1
	v_cmp_eq_u32_e32 vcc, 0, v2
	s_and_b64 vcc, vcc, exec
	s_or_b64 s[64:65], s[64:65], vcc
.LBB3_1130:                             ;   in Loop: Header=BB3_1128 Depth=3
	s_andn2_b64 s[62:63], s[62:63], exec
	s_and_b64 s[66:67], s[66:67], exec
	s_mov_b64 vcc, -1
	s_or_b64 s[62:63], s[62:63], s[66:67]
	s_and_saveexec_b64 s[66:67], s[64:65]
	s_cbranch_execz .LBB3_1127
; %bb.1131:                             ;   in Loop: Header=BB3_1128 Depth=3
	s_sleep 1
	s_trap 2
	ds_read_b64 v[4:5], v0
	s_andn2_b64 s[62:63], s[62:63], exec
	s_waitcnt lgkmcnt(0)
	v_cmp_ge_u64_e32 vcc, v[4:5], v[12:13]
	s_orn2_b64 vcc, vcc, exec
	s_branch .LBB3_1127
.LBB3_1132:                             ;   in Loop: Header=BB3_1005 Depth=2
	s_or_b64 exec, exec, s[58:59]
	s_and_saveexec_b64 vcc, s[60:61]
	s_xor_b64 vcc, exec, vcc
	s_cbranch_execz .LBB3_1134
; %bb.1133:                             ;   in Loop: Header=BB3_1005 Depth=2
	ds_write_b32 v0, v56
	s_trap 2
.LBB3_1134:                             ;   in Loop: Header=BB3_1005 Depth=2
	s_or_b64 exec, exec, s[56:57]
	;;#ASMSTART
	s_wakeup
	;;#ASMEND
.LBB3_1135:                             ;   in Loop: Header=BB3_1005 Depth=2
	s_or_b64 exec, exec, s[54:55]
.LBB3_1136:                             ;   in Loop: Header=BB3_1005 Depth=2
	s_andn2_saveexec_b64 vcc, s[52:53]
	s_cbranch_execz .LBB3_1138
; %bb.1137:                             ;   in Loop: Header=BB3_1005 Depth=2
	;;#ASMSTART
	s_waitcnt lgkmcnt(0) vmcnt(0)
	;;#ASMEND
	s_barrier
.LBB3_1138:                             ;   in Loop: Header=BB3_1005 Depth=2
	s_or_b64 exec, exec, vcc
.LBB3_1139:                             ;   in Loop: Header=BB3_1005 Depth=2
	s_or_b64 exec, exec, s[22:23]
	v_and_b32_e32 v2, 32, v62
	v_cmp_ne_u32_e32 vcc, 0, v2
	s_and_saveexec_b64 s[22:23], vcc
	s_cbranch_execz .LBB3_1004
; %bb.1140:                             ;   in Loop: Header=BB3_1005 Depth=2
	v_lshl_add_u64 v[20:21], v[20:21], 0, 2
	flat_store_dwordx2 v[22:23], v[20:21] sc0 sc1
	s_branch .LBB3_1004
.LBB3_1141:                             ;   in Loop: Header=BB3_47 Depth=1
	s_or_b64 exec, exec, s[26:27]
.LBB3_1142:                             ;   in Loop: Header=BB3_47 Depth=1
	s_or_b64 exec, exec, s[24:25]
	v_cmp_gt_i32_e32 vcc, 2, v2
	s_and_saveexec_b64 s[24:25], vcc
	s_cbranch_execz .LBB3_46
; %bb.1143:                             ;   in Loop: Header=BB3_47 Depth=1
	v_cmp_eq_u32_e64 s[22:23], 0, v2
	s_mov_b64 s[26:27], 0
	s_branch .LBB3_1145
.LBB3_1144:                             ;   in Loop: Header=BB3_1145 Depth=2
	s_or_b64 exec, exec, s[22:23]
	v_add_u32_e32 v8, v19, v8
	s_mov_b64 s[22:23], 0
	s_andn2_b64 exec, exec, s[26:27]
	s_cbranch_execz .LBB3_45
.LBB3_1145:                             ;   Parent Loop BB3_47 Depth=1
                                        ; =>  This Loop Header: Depth=2
                                        ;       Child Loop BB3_1151 Depth 3
                                        ;       Child Loop BB3_1175 Depth 3
	;; [unrolled: 1-line block ×3, first 2 shown]
	v_and_b32_e32 v2, 4, v62
	s_mov_b64 s[52:53], -1
	v_cmp_ne_u32_e32 vcc, 0, v2
	s_and_saveexec_b64 s[28:29], vcc
	s_cbranch_execz .LBB3_1157
; %bb.1146:                             ;   in Loop: Header=BB3_1145 Depth=2
	v_lshl_add_u64 v[4:5], v[20:21], 0, 2
	v_cmp_lt_u64_e32 vcc, v[32:33], v[4:5]
	v_mov_b32_e32 v2, 1
	s_and_saveexec_b64 s[52:53], vcc
	s_cbranch_execz .LBB3_1156
; %bb.1147:                             ;   in Loop: Header=BB3_1145 Depth=2
	s_mov_b64 s[54:55], 0
	v_mov_b32_e32 v2, 0
                                        ; implicit-def: $sgpr56_sgpr57
	s_branch .LBB3_1151
.LBB3_1148:                             ;   in Loop: Header=BB3_1151 Depth=3
	s_or_b64 exec, exec, s[64:65]
	v_mov_b32_e32 v9, 0
	s_orn2_b64 s[62:63], s[62:63], exec
.LBB3_1149:                             ;   in Loop: Header=BB3_1151 Depth=3
	s_or_b64 exec, exec, s[60:61]
	s_andn2_b64 vcc, s[56:57], exec
	s_and_b64 s[56:57], s[62:63], exec
	s_or_b64 s[56:57], vcc, s[56:57]
	v_mov_b32_e32 v2, v9
.LBB3_1150:                             ;   in Loop: Header=BB3_1151 Depth=3
	s_or_b64 exec, exec, s[58:59]
	s_waitcnt vmcnt(0) lgkmcnt(0)
	v_cmp_ge_u64_e32 vcc, v[32:33], v[4:5]
	s_xor_b64 s[58:59], s[56:57], -1
	s_or_b64 vcc, s[58:59], vcc
	s_and_b64 vcc, exec, vcc
	s_or_b64 s[54:55], vcc, s[54:55]
	s_andn2_b64 exec, exec, s[54:55]
	s_cbranch_execz .LBB3_1155
.LBB3_1151:                             ;   Parent Loop BB3_47 Depth=1
                                        ;     Parent Loop BB3_1145 Depth=2
                                        ; =>    This Inner Loop Header: Depth=3
	s_sleep 1
	flat_load_dwordx2 v[32:33], v[22:23] sc0 sc1
	v_and_b32_e32 v9, 64, v62
	v_cmp_eq_u32_e32 vcc, 0, v9
	s_andn2_b64 s[56:57], s[56:57], exec
	s_and_saveexec_b64 s[58:59], vcc
	s_cbranch_execz .LBB3_1150
; %bb.1152:                             ;   in Loop: Header=BB3_1151 Depth=3
	v_add_u32_e32 v9, 1, v2
	v_cmp_lt_i32_e32 vcc, s72, v2
	s_mov_b64 s[62:63], -1
	s_and_saveexec_b64 s[60:61], vcc
	s_cbranch_execz .LBB3_1149
; %bb.1153:                             ;   in Loop: Header=BB3_1151 Depth=3
	s_trap 2
	ds_read_b64 v[10:11], v0
	s_waitcnt vmcnt(0) lgkmcnt(0)
	flat_load_dword v2, v[10:11] sc0 sc1
	s_waitcnt vmcnt(0) lgkmcnt(0)
	buffer_inv sc0 sc1
	v_cmp_ne_u32_e32 vcc, 0, v2
	s_and_saveexec_b64 s[64:65], vcc
	s_cbranch_execz .LBB3_1148
; %bb.1154:                             ;   in Loop: Header=BB3_1151 Depth=3
	v_or_b32_e32 v62, 64, v62
	s_xor_b64 s[62:63], exec, -1
	ds_write_b32 v0, v2
	s_trap 2
	s_branch .LBB3_1148
.LBB3_1155:                             ;   in Loop: Header=BB3_1145 Depth=2
	s_or_b64 exec, exec, s[54:55]
	v_and_b32_e32 v2, 4, v62
.LBB3_1156:                             ;   in Loop: Header=BB3_1145 Depth=2
	s_or_b64 exec, exec, s[52:53]
	v_cmp_eq_u32_e32 vcc, 0, v2
	s_orn2_b64 s[52:53], vcc, exec
	;;#ASMSTART
	s_wakeup
	;;#ASMEND
.LBB3_1157:                             ;   in Loop: Header=BB3_1145 Depth=2
	s_or_b64 exec, exec, s[28:29]
	s_xor_b64 s[22:23], s[22:23], -1
	s_and_b64 s[22:23], exec, s[22:23]
	s_or_b64 s[26:27], s[22:23], s[26:27]
	s_xor_b64 s[22:23], s[52:53], -1
	s_and_saveexec_b64 s[28:29], s[22:23]
	s_cbranch_execz .LBB3_1167
; %bb.1158:                             ;   in Loop: Header=BB3_1145 Depth=2
	v_and_b32_e32 v2, 0x100, v62
	v_cmp_ne_u32_e32 vcc, 0, v2
	v_and_b32_e32 v2, 7, v20
	s_mov_b64 s[22:23], -1
                                        ; implicit-def: $vgpr4_vgpr5
	s_and_saveexec_b64 s[52:53], vcc
	s_cbranch_execz .LBB3_1162
; %bb.1159:                             ;   in Loop: Header=BB3_1145 Depth=2
	v_mad_u64_u32 v[10:11], s[22:23], v2, 24, v[6:7]
	flat_load_dword v4, v[10:11]
	s_waitcnt vmcnt(0) lgkmcnt(0)
	v_cmp_ne_u32_e32 vcc, 1, v4
	v_cmp_eq_u32_e64 s[22:23], 1, v4
                                        ; implicit-def: $vgpr4_vgpr5
	s_and_saveexec_b64 s[54:55], s[22:23]
	s_cbranch_execz .LBB3_1161
; %bb.1160:                             ;   in Loop: Header=BB3_1145 Depth=2
	flat_load_dword v4, v[10:11] offset:4 sc0 sc1
	s_waitcnt vmcnt(0) lgkmcnt(0)
	v_ashrrev_i32_e32 v5, 31, v4
	v_lshrrev_b64 v[4:5], 1, v[4:5]
.LBB3_1161:                             ;   in Loop: Header=BB3_1145 Depth=2
	s_or_b64 exec, exec, s[54:55]
	s_orn2_b64 s[22:23], vcc, exec
.LBB3_1162:                             ;   in Loop: Header=BB3_1145 Depth=2
	s_or_b64 exec, exec, s[52:53]
	s_and_saveexec_b64 vcc, s[22:23]
; %bb.1163:                             ;   in Loop: Header=BB3_1145 Depth=2
	v_mad_i64_i32 v[4:5], s[22:23], v2, v24, 0
; %bb.1164:                             ;   in Loop: Header=BB3_1145 Depth=2
	s_or_b64 exec, exec, vcc
	v_and_b32_e32 v2, 0x2000, v62
	v_lshl_add_u64 v[4:5], v[4:5], 1, v[26:27]
	v_cmp_ne_u32_e32 vcc, 0, v2
	ds_write_b64 v0, v[4:5] offset:720
	s_and_saveexec_b64 s[22:23], vcc
	s_cbranch_execz .LBB3_1166
; %bb.1165:                             ;   in Loop: Header=BB3_1145 Depth=2
	ds_read_b64 v[4:5], v0 offset:584
	s_waitcnt lgkmcnt(0)
	v_lshl_add_u64 v[4:5], v[4:5], 0, 1
	ds_write_b64 v0, v[4:5] offset:584
.LBB3_1166:                             ;   in Loop: Header=BB3_1145 Depth=2
	s_or_b64 exec, exec, s[22:23]
	v_lshl_add_u64 v[20:21], v[20:21], 0, 2
.LBB3_1167:                             ;   in Loop: Header=BB3_1145 Depth=2
	s_or_b64 exec, exec, s[28:29]
	s_and_saveexec_b64 s[22:23], s[4:5]
	s_cbranch_execz .LBB3_1186
; %bb.1168:                             ;   in Loop: Header=BB3_1145 Depth=2
	s_and_saveexec_b64 s[28:29], s[38:39]
	s_xor_b64 s[28:29], exec, s[28:29]
	s_cbranch_execz .LBB3_1183
; %bb.1169:                             ;   in Loop: Header=BB3_1145 Depth=2
	s_and_saveexec_b64 s[52:53], s[12:13]
	s_cbranch_execz .LBB3_1182
; %bb.1170:                             ;   in Loop: Header=BB3_1145 Depth=2
	s_mov_b64 s[56:57], exec
	v_mbcnt_lo_u32_b32 v2, s56, 0
	v_mbcnt_hi_u32_b32 v2, s57, v2
	v_cmp_eq_u32_e32 vcc, 0, v2
	s_waitcnt lgkmcnt(0)
	s_and_saveexec_b64 s[54:55], vcc
	s_cbranch_execz .LBB3_1172
; %bb.1171:                             ;   in Loop: Header=BB3_1145 Depth=2
	s_bcnt1_i32_b64 vcc_lo, s[56:57]
	v_mov_b32_e32 v2, vcc_lo
	ds_add_u64 v0, v[2:3]
	s_trap 2
.LBB3_1172:                             ;   in Loop: Header=BB3_1145 Depth=2
	s_or_b64 exec, exec, s[54:55]
	s_trap 2
	ds_read_b64 v[4:5], v0
	v_lshl_add_u64 v[12:13], v[12:13], 0, v[34:35]
	s_waitcnt lgkmcnt(0)
	v_cmp_lt_u64_e32 vcc, v[4:5], v[12:13]
	s_and_saveexec_b64 s[54:55], vcc
	s_cbranch_execz .LBB3_1181
; %bb.1173:                             ;   in Loop: Header=BB3_1145 Depth=2
	s_mov_b32 s66, 0
	s_mov_b64 s[56:57], 0
                                        ; implicit-def: $sgpr58_sgpr59
                                        ; implicit-def: $sgpr60_sgpr61
	s_branch .LBB3_1175
.LBB3_1174:                             ;   in Loop: Header=BB3_1175 Depth=3
	s_or_b64 exec, exec, s[64:65]
	s_and_b64 vcc, exec, vcc
	s_or_b64 s[56:57], vcc, s[56:57]
	s_andn2_b64 vcc, s[58:59], exec
	s_and_b64 s[58:59], s[60:61], exec
	s_or_b64 s[58:59], vcc, s[58:59]
	s_andn2_b64 exec, exec, s[56:57]
	s_cbranch_execz .LBB3_1179
.LBB3_1175:                             ;   Parent Loop BB3_47 Depth=1
                                        ;     Parent Loop BB3_1145 Depth=2
                                        ; =>    This Inner Loop Header: Depth=3
	s_add_i32 s66, s66, 1
	s_cmpk_lg_i32 s66, 0x2710
	s_cselect_b64 s[62:63], -1, 0
	s_and_b64 vcc, exec, s[62:63]
                                        ; implicit-def: $sgpr64_sgpr65
	s_cbranch_vccnz .LBB3_1177
; %bb.1176:                             ;   in Loop: Header=BB3_1175 Depth=3
	s_trap 2
	ds_read_b64 v[4:5], v0
	s_andn2_b64 s[62:63], s[62:63], exec
	s_mov_b32 s66, 0
	s_mov_b64 s[64:65], -1
	s_waitcnt vmcnt(0) lgkmcnt(0)
	flat_load_dword v2, v[4:5] sc0 sc1
	s_waitcnt vmcnt(0) lgkmcnt(0)
	buffer_inv sc0 sc1
	v_cmp_eq_u32_e32 vcc, 0, v2
	s_and_b64 vcc, vcc, exec
	s_or_b64 s[62:63], s[62:63], vcc
.LBB3_1177:                             ;   in Loop: Header=BB3_1175 Depth=3
	s_andn2_b64 s[60:61], s[60:61], exec
	s_and_b64 s[64:65], s[64:65], exec
	s_mov_b64 vcc, -1
	s_or_b64 s[60:61], s[60:61], s[64:65]
	s_and_saveexec_b64 s[64:65], s[62:63]
	s_cbranch_execz .LBB3_1174
; %bb.1178:                             ;   in Loop: Header=BB3_1175 Depth=3
	s_sleep 1
	s_trap 2
	ds_read_b64 v[4:5], v0
	s_andn2_b64 s[60:61], s[60:61], exec
	s_waitcnt lgkmcnt(0)
	v_cmp_ge_u64_e32 vcc, v[4:5], v[12:13]
	s_orn2_b64 vcc, vcc, exec
	s_branch .LBB3_1174
.LBB3_1179:                             ;   in Loop: Header=BB3_1145 Depth=2
	s_or_b64 exec, exec, s[56:57]
	s_and_saveexec_b64 vcc, s[58:59]
	s_xor_b64 vcc, exec, vcc
	s_cbranch_execz .LBB3_1181
; %bb.1180:                             ;   in Loop: Header=BB3_1145 Depth=2
	ds_write_b32 v0, v56
	s_trap 2
.LBB3_1181:                             ;   in Loop: Header=BB3_1145 Depth=2
	s_or_b64 exec, exec, s[54:55]
	;;#ASMSTART
	s_wakeup
	;;#ASMEND
.LBB3_1182:                             ;   in Loop: Header=BB3_1145 Depth=2
	s_or_b64 exec, exec, s[52:53]
.LBB3_1183:                             ;   in Loop: Header=BB3_1145 Depth=2
	s_andn2_saveexec_b64 s[28:29], s[28:29]
	s_cbranch_execz .LBB3_1185
; %bb.1184:                             ;   in Loop: Header=BB3_1145 Depth=2
	s_waitcnt lgkmcnt(0)
	s_barrier
.LBB3_1185:                             ;   in Loop: Header=BB3_1145 Depth=2
	s_or_b64 exec, exec, s[28:29]
.LBB3_1186:                             ;   in Loop: Header=BB3_1145 Depth=2
	s_or_b64 exec, exec, s[22:23]
	v_sub_u32_e32 v2, v18, v8
	v_min_i32_e32 v19, v19, v2
	s_and_saveexec_b64 s[22:23], s[20:21]
	s_xor_b64 s[22:23], exec, s[22:23]
	s_cbranch_execz .LBB3_1190
; %bb.1187:                             ;   in Loop: Header=BB3_1145 Depth=2
	s_trap 2
	ds_read_b32 v2, v0
	v_cmp_lt_i32_e32 vcc, 0, v19
	v_and_b32_e32 v4, 16, v62
	s_waitcnt lgkmcnt(0)
	v_readfirstlane_b32 s28, v2
	s_cmp_eq_u32 s28, 0
	s_cselect_b64 s[28:29], -1, 0
	s_and_b64 s[28:29], vcc, s[28:29]
	v_cmp_ne_u32_e32 vcc, 0, v4
	s_and_b64 vcc, vcc, s[28:29]
	s_and_saveexec_b64 s[28:29], vcc
	s_cbranch_execz .LBB3_1189
; %bb.1188:                             ;   in Loop: Header=BB3_1145 Depth=2
	buffer_wbl2 sc1
	s_waitcnt vmcnt(0)
	buffer_inv sc1
.LBB3_1189:                             ;   in Loop: Header=BB3_1145 Depth=2
	s_or_b64 exec, exec, s[28:29]
.LBB3_1190:                             ;   in Loop: Header=BB3_1145 Depth=2
	s_andn2_saveexec_b64 s[22:23], s[22:23]
	s_cbranch_execz .LBB3_1209
; %bb.1191:                             ;   in Loop: Header=BB3_1145 Depth=2
	s_and_saveexec_b64 s[28:29], s[38:39]
	s_xor_b64 s[28:29], exec, s[28:29]
	s_cbranch_execz .LBB3_1206
; %bb.1192:                             ;   in Loop: Header=BB3_1145 Depth=2
	s_and_saveexec_b64 s[52:53], s[12:13]
	s_cbranch_execz .LBB3_1205
; %bb.1193:                             ;   in Loop: Header=BB3_1145 Depth=2
	s_mov_b64 s[56:57], exec
	v_mbcnt_lo_u32_b32 v2, s56, 0
	v_mbcnt_hi_u32_b32 v2, s57, v2
	v_cmp_eq_u32_e32 vcc, 0, v2
	;;#ASMSTART
	s_waitcnt lgkmcnt(0) vmcnt(0)
	;;#ASMEND
	s_and_saveexec_b64 s[54:55], vcc
	s_cbranch_execz .LBB3_1195
; %bb.1194:                             ;   in Loop: Header=BB3_1145 Depth=2
	s_bcnt1_i32_b64 vcc_lo, s[56:57]
	v_mov_b32_e32 v2, vcc_lo
	ds_add_u64 v0, v[2:3]
	s_trap 2
.LBB3_1195:                             ;   in Loop: Header=BB3_1145 Depth=2
	s_or_b64 exec, exec, s[54:55]
	s_trap 2
	ds_read_b64 v[4:5], v0
	v_lshl_add_u64 v[12:13], v[12:13], 0, v[34:35]
	s_waitcnt lgkmcnt(0)
	v_cmp_lt_u64_e32 vcc, v[4:5], v[12:13]
	s_and_saveexec_b64 s[54:55], vcc
	s_cbranch_execz .LBB3_1204
; %bb.1196:                             ;   in Loop: Header=BB3_1145 Depth=2
	s_mov_b32 s66, 0
	s_mov_b64 s[56:57], 0
                                        ; implicit-def: $sgpr58_sgpr59
                                        ; implicit-def: $sgpr60_sgpr61
	s_branch .LBB3_1198
.LBB3_1197:                             ;   in Loop: Header=BB3_1198 Depth=3
	s_or_b64 exec, exec, s[64:65]
	s_and_b64 vcc, exec, vcc
	s_or_b64 s[56:57], vcc, s[56:57]
	s_andn2_b64 vcc, s[58:59], exec
	s_and_b64 s[58:59], s[60:61], exec
	s_or_b64 s[58:59], vcc, s[58:59]
	s_andn2_b64 exec, exec, s[56:57]
	s_cbranch_execz .LBB3_1202
.LBB3_1198:                             ;   Parent Loop BB3_47 Depth=1
                                        ;     Parent Loop BB3_1145 Depth=2
                                        ; =>    This Inner Loop Header: Depth=3
	s_add_i32 s66, s66, 1
	s_cmpk_lg_i32 s66, 0x2710
	s_cselect_b64 s[62:63], -1, 0
	s_and_b64 vcc, exec, s[62:63]
                                        ; implicit-def: $sgpr64_sgpr65
	s_cbranch_vccnz .LBB3_1200
; %bb.1199:                             ;   in Loop: Header=BB3_1198 Depth=3
	s_trap 2
	ds_read_b64 v[4:5], v0
	s_andn2_b64 s[62:63], s[62:63], exec
	s_mov_b32 s66, 0
	s_mov_b64 s[64:65], -1
	s_waitcnt vmcnt(0) lgkmcnt(0)
	flat_load_dword v2, v[4:5] sc0 sc1
	s_waitcnt vmcnt(0) lgkmcnt(0)
	buffer_inv sc0 sc1
	v_cmp_eq_u32_e32 vcc, 0, v2
	s_and_b64 vcc, vcc, exec
	s_or_b64 s[62:63], s[62:63], vcc
.LBB3_1200:                             ;   in Loop: Header=BB3_1198 Depth=3
	s_andn2_b64 s[60:61], s[60:61], exec
	s_and_b64 s[64:65], s[64:65], exec
	s_mov_b64 vcc, -1
	s_or_b64 s[60:61], s[60:61], s[64:65]
	s_and_saveexec_b64 s[64:65], s[62:63]
	s_cbranch_execz .LBB3_1197
; %bb.1201:                             ;   in Loop: Header=BB3_1198 Depth=3
	s_sleep 1
	s_trap 2
	ds_read_b64 v[4:5], v0
	s_andn2_b64 s[60:61], s[60:61], exec
	s_waitcnt lgkmcnt(0)
	v_cmp_ge_u64_e32 vcc, v[4:5], v[12:13]
	s_orn2_b64 vcc, vcc, exec
	s_branch .LBB3_1197
.LBB3_1202:                             ;   in Loop: Header=BB3_1145 Depth=2
	s_or_b64 exec, exec, s[56:57]
	s_and_saveexec_b64 vcc, s[58:59]
	s_xor_b64 vcc, exec, vcc
	s_cbranch_execz .LBB3_1204
; %bb.1203:                             ;   in Loop: Header=BB3_1145 Depth=2
	ds_write_b32 v0, v56
	s_trap 2
.LBB3_1204:                             ;   in Loop: Header=BB3_1145 Depth=2
	s_or_b64 exec, exec, s[54:55]
	;;#ASMSTART
	s_wakeup
	;;#ASMEND
.LBB3_1205:                             ;   in Loop: Header=BB3_1145 Depth=2
	s_or_b64 exec, exec, s[52:53]
.LBB3_1206:                             ;   in Loop: Header=BB3_1145 Depth=2
	s_andn2_saveexec_b64 s[28:29], s[28:29]
	s_cbranch_execz .LBB3_1208
; %bb.1207:                             ;   in Loop: Header=BB3_1145 Depth=2
	;;#ASMSTART
	s_waitcnt lgkmcnt(0) vmcnt(0)
	;;#ASMEND
	s_barrier
.LBB3_1208:                             ;   in Loop: Header=BB3_1145 Depth=2
	s_or_b64 exec, exec, s[28:29]
.LBB3_1209:                             ;   in Loop: Header=BB3_1145 Depth=2
	s_or_b64 exec, exec, s[22:23]
	v_and_b32_e32 v2, 32, v62
	v_cmp_ne_u32_e32 vcc, 0, v2
	s_and_saveexec_b64 s[22:23], vcc
	s_cbranch_execz .LBB3_1144
; %bb.1210:                             ;   in Loop: Header=BB3_1145 Depth=2
	v_lshl_add_u64 v[20:21], v[20:21], 0, 2
	flat_store_dwordx2 v[22:23], v[20:21] sc0 sc1
	s_branch .LBB3_1144
.LBB3_1211:
	s_or_b64 exec, exec, s[36:37]
	v_accvgpr_read_b32 v35, a11
	v_accvgpr_read_b32 v15, a0
	v_accvgpr_read_b32 v31, a1
	v_accvgpr_read_b32 v17, a2
	v_accvgpr_read_b32 v34, a10
.LBB3_1212:
	s_or_b64 exec, exec, s[34:35]
	v_and_b32_e32 v0, 0x800, v62
	v_cmp_eq_u32_e32 vcc, 0, v0
	s_and_saveexec_b64 s[0:1], vcc
	s_cbranch_execz .LBB3_1247
; %bb.1213:
	v_and_b32_e32 v0, 48, v62
	v_cmp_ne_u32_e32 vcc, 0, v0
	s_and_saveexec_b64 s[2:3], vcc
	s_cbranch_execz .LBB3_1215
; %bb.1214:
	flat_store_dwordx2 v[34:35], v[20:21] offset:104
.LBB3_1215:
	s_or_b64 exec, exec, s[2:3]
	s_movk_i32 s2, 0x88
	v_and_b32_e32 v0, 0x88, v62
	v_cmp_eq_u32_e32 vcc, s2, v0
	s_and_saveexec_b64 s[2:3], vcc
	s_cbranch_execz .LBB3_1227
; %bb.1216:
	v_add_u32_e32 v0, 6, v20
	v_and_b32_e32 v0, 7, v0
	v_mad_u64_u32 v[0:1], s[4:5], v0, 24, v[6:7]
	v_lshl_add_u64 v[2:3], v[0:1], 0, 8
	s_mov_b64 s[4:5], 0
	v_mov_b32_e32 v0, 0
	s_movk_i32 s20, 0x270e
                                        ; implicit-def: $sgpr6_sgpr7
	s_branch .LBB3_1221
.LBB3_1217:                             ;   in Loop: Header=BB3_1221 Depth=1
	s_or_b64 exec, exec, s[18:19]
	v_mov_b32_e32 v1, 0
	s_orn2_b64 s[16:17], s[16:17], exec
.LBB3_1218:                             ;   in Loop: Header=BB3_1221 Depth=1
	s_or_b64 exec, exec, s[14:15]
	s_and_b64 s[14:15], s[16:17], exec
	v_mov_b32_e32 v0, v1
.LBB3_1219:                             ;   in Loop: Header=BB3_1221 Depth=1
	s_or_b64 exec, exec, s[12:13]
	s_xor_b64 s[12:13], s[14:15], -1
	s_andn2_b64 s[6:7], s[6:7], exec
	s_and_b64 s[12:13], s[12:13], exec
	s_or_b64 s[6:7], s[6:7], s[12:13]
.LBB3_1220:                             ;   in Loop: Header=BB3_1221 Depth=1
	s_or_b64 exec, exec, s[10:11]
	s_and_b64 s[10:11], exec, s[6:7]
	s_or_b64 s[4:5], s[10:11], s[4:5]
	s_andn2_b64 exec, exec, s[4:5]
	s_cbranch_execz .LBB3_1226
.LBB3_1221:                             ; =>This Inner Loop Header: Depth=1
	flat_load_dwordx2 v[4:5], v[2:3] sc0 sc1
	s_waitcnt vmcnt(0)
	s_or_b64 s[6:7], s[6:7], exec
	s_waitcnt lgkmcnt(0)
	v_cmp_ne_u64_e32 vcc, -1, v[4:5]
	s_and_saveexec_b64 s[10:11], vcc
	s_cbranch_execz .LBB3_1220
; %bb.1222:                             ;   in Loop: Header=BB3_1221 Depth=1
	v_and_b32_e32 v1, 64, v62
	v_cmp_eq_u32_e32 vcc, 0, v1
	s_mov_b64 s[14:15], 0
	s_and_saveexec_b64 s[12:13], vcc
	s_cbranch_execz .LBB3_1219
; %bb.1223:                             ;   in Loop: Header=BB3_1221 Depth=1
	v_add_u32_e32 v1, 1, v0
	v_cmp_lt_i32_e32 vcc, s20, v0
	s_mov_b64 s[16:17], -1
	s_and_saveexec_b64 s[14:15], vcc
	s_cbranch_execz .LBB3_1218
; %bb.1224:                             ;   in Loop: Header=BB3_1221 Depth=1
	s_trap 2
	ds_read_b64 v[0:1], v0
	s_waitcnt lgkmcnt(0)
	flat_load_dword v0, v[0:1] sc0 sc1
	s_waitcnt vmcnt(0) lgkmcnt(0)
	buffer_inv sc0 sc1
	v_cmp_ne_u32_e32 vcc, 0, v0
	s_and_saveexec_b64 s[18:19], vcc
	s_cbranch_execz .LBB3_1217
; %bb.1225:                             ;   in Loop: Header=BB3_1221 Depth=1
	v_or_b32_e32 v62, 64, v62
	s_xor_b64 s[16:17], exec, -1
	ds_write_b32 v0, v0
	s_trap 2
	s_branch .LBB3_1217
.LBB3_1226:
	s_or_b64 exec, exec, s[4:5]
.LBB3_1227:
	s_or_b64 exec, exec, s[2:3]
	v_and_b32_e32 v0, 0x2000, v62
	v_cmp_ne_u32_e32 vcc, 0, v0
	s_and_saveexec_b64 s[2:3], vcc
	s_cbranch_execz .LBB3_1229
; %bb.1228:
	s_trap 2
	ds_read_b64 v[0:1], v0
	v_accvgpr_read_b32 v2, a8
	v_accvgpr_read_b32 v3, a9
	s_waitcnt lgkmcnt(0)
	flat_store_dwordx2 v[2:3], v[0:1] offset:16
.LBB3_1229:
	s_or_b64 exec, exec, s[2:3]
	v_cmp_ne_u32_e32 vcc, 64, v15
	s_and_b64 exec, exec, vcc
	s_cbranch_execz .LBB3_1247
; %bb.1230:
	v_cmp_ne_u32_sdwa s[2:3], v17, v15 src0_sel:WORD_0 src1_sel:DWORD
	s_and_saveexec_b64 s[4:5], s[2:3]
	s_xor_b64 s[2:3], exec, s[4:5]
	s_cbranch_execz .LBB3_1245
; %bb.1231:
	v_and_b32_e32 v0, 63, v31
	v_cmp_eq_u32_e32 vcc, 0, v0
	s_and_saveexec_b64 s[4:5], vcc
	s_cbranch_execz .LBB3_1244
; %bb.1232:
	s_mov_b64 s[10:11], exec
	v_mbcnt_lo_u32_b32 v0, s10, 0
	v_mbcnt_hi_u32_b32 v0, s11, v0
	v_cmp_eq_u32_e32 vcc, 0, v0
	s_waitcnt lgkmcnt(0)
	s_and_saveexec_b64 s[6:7], vcc
	s_cbranch_execz .LBB3_1234
; %bb.1233:
	s_bcnt1_i32_b64 s10, s[10:11]
	v_mov_b32_e32 v0, s10
	v_mov_b32_e32 v1, 0
	ds_add_u64 v0, v[0:1]
	s_trap 2
.LBB3_1234:
	s_or_b64 exec, exec, s[6:7]
	v_ashrrev_i32_e32 v0, 31, v15
	v_lshrrev_b32_e32 v0, 26, v0
	s_trap 2
	ds_read_b64 v[2:3], v0
	v_add_u32_e32 v0, v15, v0
	v_ashrrev_i32_e32 v0, 6, v0
	v_ashrrev_i32_e32 v1, 31, v0
	v_lshl_add_u64 v[0:1], v[12:13], 0, v[0:1]
	s_waitcnt lgkmcnt(0)
	v_cmp_lt_u64_e32 vcc, v[2:3], v[0:1]
	s_and_saveexec_b64 s[6:7], vcc
	s_cbranch_execz .LBB3_1243
; %bb.1235:
	s_mov_b32 s22, 0
	s_mov_b64 s[10:11], 0
                                        ; implicit-def: $sgpr12_sgpr13
                                        ; implicit-def: $sgpr14_sgpr15
	s_branch .LBB3_1237
.LBB3_1236:                             ;   in Loop: Header=BB3_1237 Depth=1
	s_or_b64 exec, exec, s[20:21]
	s_and_b64 s[16:17], exec, s[18:19]
	s_or_b64 s[10:11], s[16:17], s[10:11]
	s_andn2_b64 s[12:13], s[12:13], exec
	s_and_b64 s[16:17], s[14:15], exec
	s_or_b64 s[12:13], s[12:13], s[16:17]
	s_andn2_b64 exec, exec, s[10:11]
	s_cbranch_execz .LBB3_1241
.LBB3_1237:                             ; =>This Inner Loop Header: Depth=1
	s_add_i32 s22, s22, 1
	s_cmpk_lg_i32 s22, 0x2710
	s_cselect_b64 s[16:17], -1, 0
	s_and_b64 vcc, exec, s[16:17]
                                        ; implicit-def: $sgpr20_sgpr21
	s_cbranch_vccnz .LBB3_1239
; %bb.1238:                             ;   in Loop: Header=BB3_1237 Depth=1
	s_trap 2
	ds_read_b64 v[2:3], v0
	s_andn2_b64 s[16:17], s[16:17], exec
	s_mov_b32 s22, 0
	s_mov_b64 s[20:21], -1
	s_waitcnt vmcnt(0) lgkmcnt(0)
	flat_load_dword v2, v[2:3] sc0 sc1
	s_waitcnt vmcnt(0) lgkmcnt(0)
	buffer_inv sc0 sc1
	v_cmp_eq_u32_e32 vcc, 0, v2
	s_and_b64 s[18:19], vcc, exec
	s_or_b64 s[16:17], s[16:17], s[18:19]
.LBB3_1239:                             ;   in Loop: Header=BB3_1237 Depth=1
	s_andn2_b64 s[14:15], s[14:15], exec
	s_and_b64 s[20:21], s[20:21], exec
	s_mov_b64 s[18:19], -1
	s_or_b64 s[14:15], s[14:15], s[20:21]
	s_and_saveexec_b64 s[20:21], s[16:17]
	s_cbranch_execz .LBB3_1236
; %bb.1240:                             ;   in Loop: Header=BB3_1237 Depth=1
	s_sleep 1
	s_trap 2
	ds_read_b64 v[2:3], v0
	s_andn2_b64 s[14:15], s[14:15], exec
	s_waitcnt lgkmcnt(0)
	v_cmp_ge_u64_e32 vcc, v[2:3], v[0:1]
	s_orn2_b64 s[18:19], vcc, exec
	s_branch .LBB3_1236
.LBB3_1241:
	s_or_b64 exec, exec, s[10:11]
	s_and_saveexec_b64 s[10:11], s[12:13]
	s_xor_b64 s[10:11], exec, s[10:11]
	s_cbranch_execz .LBB3_1243
; %bb.1242:
	v_mov_b32_e32 v0, 1
	ds_write_b32 v0, v0
	s_trap 2
.LBB3_1243:
	s_or_b64 exec, exec, s[6:7]
	;;#ASMSTART
	s_wakeup
	;;#ASMEND
.LBB3_1244:
	s_or_b64 exec, exec, s[4:5]
.LBB3_1245:
	s_andn2_saveexec_b64 s[2:3], s[2:3]
	s_cbranch_execz .LBB3_1247
; %bb.1246:
	s_waitcnt lgkmcnt(0)
	s_barrier
.LBB3_1247:
	s_or_b64 exec, exec, s[0:1]
.LBB3_1248:
	s_andn2_saveexec_b64 s[22:23], s[30:31]
	s_cbranch_execz .LBB3_1250
; %bb.1249:
	s_getpc_b64 s[0:1]
	s_add_u32 s0, s0, __PRETTY_FUNCTION__._ZN10PrimitivesI6__half8FuncProdIS0_E12FanSymmetricILi1EELi0E11ProtoSimpleILi2ELi2ELi0ELi1ELi0ELi0EELi0ELb0ELi0ELi0ELi0EEC2EiiPKiS9_PKvPvmhhhP15ncclDevWorkCollP14ncclDevWorkP2pii@rel32@lo+4
	s_addc_u32 s1, s1, __PRETTY_FUNCTION__._ZN10PrimitivesI6__half8FuncProdIS0_E12FanSymmetricILi1EELi0E11ProtoSimpleILi2ELi2ELi0ELi1ELi0ELi0EELi0ELb0ELi0ELi0ELi0EEC2EiiPKiS9_PKvPvmhhhP15ncclDevWorkCollP14ncclDevWorkP2pii@rel32@hi+12
	v_mov_b32_e32 v0, s0
	v_mov_b32_e32 v1, s1
	s_getpc_b64 s[2:3]
	s_add_u32 s2, s2, __assert_fail@rel32@lo+4
	s_addc_u32 s3, s3, __assert_fail@rel32@hi+12
	s_swappc_b64 s[30:31], s[2:3]
	; divergent unreachable
.LBB3_1250:
	s_or_b64 exec, exec, s[22:23]
	scratch_load_dword a37, off, s33        ; 4-byte Folded Reload
	scratch_load_dword a36, off, s33 offset:4 ; 4-byte Folded Reload
	scratch_load_dword a35, off, s33 offset:8 ; 4-byte Folded Reload
	;; [unrolled: 1-line block ×20, first 2 shown]
	v_readlane_b32 s30, v63, 50
	v_readlane_b32 s31, v63, 51
	;; [unrolled: 1-line block ×53, first 2 shown]
	s_or_saveexec_b64 s[2:3], -1
	scratch_load_dword v63, off, s33 offset:84 ; 4-byte Folded Reload
	s_mov_b64 exec, s[2:3]
	s_addk_i32 s32, 0xffa0
	s_mov_b32 s33, s0
	s_waitcnt vmcnt(0) lgkmcnt(0)
	s_setpc_b64 s[30:31]
.Lfunc_end3:
	.size	_ZN12_GLOBAL__N_17runRingI6__half8FuncProdIS1_E11ProtoSimpleILi2ELi2ELi0ELi1ELi0ELi0EELi0ELi0ELi1ELi0EEEviiP15ncclDevWorkColl, .Lfunc_end3-_ZN12_GLOBAL__N_17runRingI6__half8FuncProdIS1_E11ProtoSimpleILi2ELi2ELi0ELi1ELi0ELi0EELi0ELi0ELi1ELi0EEEviiP15ncclDevWorkColl
                                        ; -- End function
	.section	.AMDGPU.csdata,"",@progbits
; Function info:
; codeLenInByte = 37636
; NumSgprs: 90
; NumVgprs: 64
; NumAgprs: 38
; TotalNumVgprs: 102
; ScratchSize: 160
; MemoryBound: 1
	.text
	.p2align	2                               ; -- Begin function _Z48ncclDevFunc_AllReduce_RING_SIMPLE_Prod_f16_0_0_1v
	.type	_Z48ncclDevFunc_AllReduce_RING_SIMPLE_Prod_f16_0_0_1v,@function
_Z48ncclDevFunc_AllReduce_RING_SIMPLE_Prod_f16_0_0_1v: ; @_Z48ncclDevFunc_AllReduce_RING_SIMPLE_Prod_f16_0_0_1v
; %bb.0:
	s_waitcnt vmcnt(0) expcnt(0) lgkmcnt(0)
	s_mov_b32 s0, s33
	s_mov_b32 s33, s32
	s_or_saveexec_b64 s[2:3], -1
	scratch_store_dword off, v44, s33 offset:20 ; 4-byte Folded Spill
	s_mov_b64 exec, s[2:3]
	v_writelane_b32 v44, s0, 60
	s_add_i32 s32, s32, 32
	scratch_store_dword off, v40, s33 offset:16 ; 4-byte Folded Spill
	scratch_store_dword off, v41, s33 offset:12 ; 4-byte Folded Spill
	;; [unrolled: 1-line block ×4, first 2 shown]
	scratch_store_dword off, v63, s33       ; 4-byte Folded Spill
	v_writelane_b32 v44, s34, 0
	v_writelane_b32 v44, s35, 1
	;; [unrolled: 1-line block ×59, first 2 shown]
	s_nop 1
	v_writelane_b32 v44, s31, 59
	s_trap 2
	ds_read_b32 v0, v0
	v_mov_b32_e32 v40, v31
	s_mov_b32 s86, s12
	s_mov_b64 s[84:85], s[8:9]
	s_waitcnt lgkmcnt(0)
	v_cmp_gt_i32_e32 vcc, 1, v0
	s_cbranch_vccnz .LBB4_11
; %bb.1:
	s_mov_b32 s87, 0
	v_and_b32_e32 v41, 0x3ff, v40
	s_mov_b64 s[88:89], src_shared_base
	v_mov_b32_e32 v43, 6
	s_branch .LBB4_3
.LBB4_2:                                ;   in Loop: Header=BB4_3 Depth=1
	s_or_b64 exec, exec, s[90:91]
	s_trap 2
	ds_read_b32 v0, v0
	s_add_i32 s87, s87, 1
	s_waitcnt lgkmcnt(0)
	v_cmp_lt_i32_e32 vcc, s87, v0
	s_cbranch_vccz .LBB4_11
.LBB4_3:                                ; =>This Inner Loop Header: Depth=1
	s_trap 2
	ds_read_b32 v0, v0
	s_cmp_eq_u32 s87, 0
	s_cbranch_scc1 .LBB4_6
; %bb.4:                                ;   in Loop: Header=BB4_3 Depth=1
	s_trap 2
	s_waitcnt lgkmcnt(0)
	ds_read_b32 v1, v0
	s_waitcnt lgkmcnt(0)
	v_xor_b32_e32 v1, v1, v0
	v_and_b32_e32 v1, 0xff0000, v1
	v_cmp_eq_u32_e32 vcc, 0, v1
	s_cbranch_vccnz .LBB4_6
; %bb.5:                                ;   in Loop: Header=BB4_3 Depth=1
	s_barrier
	ds_read_b32 v0, v0
.LBB4_6:                                ;   in Loop: Header=BB4_3 Depth=1
	s_waitcnt lgkmcnt(0)
	v_lshlrev_b32_sdwa v42, v43, v0 dst_sel:DWORD dst_unused:UNUSED_PAD src0_sel:DWORD src1_sel:BYTE_2
	v_cmp_lt_u32_e32 vcc, v41, v42
	s_and_saveexec_b64 s[90:91], vcc
	s_cbranch_execz .LBB4_2
; %bb.7:                                ;   in Loop: Header=BB4_3 Depth=1
	v_cmp_lt_i32_e32 vcc, -1, v0
	s_mov_b64 s[0:1], -1
	s_cbranch_vccnz .LBB4_9
; %bb.8:                                ;   in Loop: Header=BB4_3 Depth=1
	s_mov_b64 s[8:9], s[84:85]
	s_mov_b32 s12, s86
	v_mov_b32_e32 v31, v40
	v_mov_b32_e32 v0, v41
	;; [unrolled: 1-line block ×4, first 2 shown]
	s_getpc_b64 s[0:1]
	s_add_u32 s0, s0, _ZN12_GLOBAL__N_17runRingI6__half8FuncProdIS1_E11ProtoSimpleILi1ELi4ELi0ELi1ELi0ELi0EELi0ELi0ELi1ELi0EEEviiP15ncclDevWorkColl@rel32@lo+4
	s_addc_u32 s1, s1, _ZN12_GLOBAL__N_17runRingI6__half8FuncProdIS1_E11ProtoSimpleILi1ELi4ELi0ELi1ELi0ELi0EELi0ELi0ELi1ELi0EEEviiP15ncclDevWorkColl@rel32@hi+12
	s_swappc_b64 s[30:31], s[0:1]
	s_mov_b64 s[0:1], 0
.LBB4_9:                                ;   in Loop: Header=BB4_3 Depth=1
	s_andn2_b64 vcc, exec, s[0:1]
	s_cbranch_vccnz .LBB4_2
; %bb.10:                               ;   in Loop: Header=BB4_3 Depth=1
	s_mov_b64 s[8:9], s[84:85]
	s_mov_b32 s12, s86
	v_mov_b32_e32 v31, v40
	v_mov_b32_e32 v0, v41
	;; [unrolled: 1-line block ×4, first 2 shown]
	s_getpc_b64 s[0:1]
	s_add_u32 s0, s0, _ZN12_GLOBAL__N_17runRingI6__half8FuncProdIS1_E11ProtoSimpleILi2ELi2ELi0ELi1ELi0ELi0EELi0ELi0ELi1ELi0EEEviiP15ncclDevWorkColl@rel32@lo+4
	s_addc_u32 s1, s1, _ZN12_GLOBAL__N_17runRingI6__half8FuncProdIS1_E11ProtoSimpleILi2ELi2ELi0ELi1ELi0ELi0EELi0ELi0ELi1ELi0EEEviiP15ncclDevWorkColl@rel32@hi+12
	s_swappc_b64 s[30:31], s[0:1]
	s_branch .LBB4_2
.LBB4_11:
	scratch_load_dword v63, off, s33        ; 4-byte Folded Reload
	scratch_load_dword v43, off, s33 offset:4 ; 4-byte Folded Reload
	scratch_load_dword v42, off, s33 offset:8 ; 4-byte Folded Reload
	;; [unrolled: 1-line block ×4, first 2 shown]
	v_readlane_b32 s30, v44, 58
	v_readlane_b32 s31, v44, 59
	;; [unrolled: 1-line block ×61, first 2 shown]
	s_or_saveexec_b64 s[2:3], -1
	scratch_load_dword v44, off, s33 offset:20 ; 4-byte Folded Reload
	s_mov_b64 exec, s[2:3]
	s_addk_i32 s32, 0xffe0
	s_mov_b32 s33, s0
	s_waitcnt vmcnt(0)
	s_setpc_b64 s[30:31]
.Lfunc_end4:
	.size	_Z48ncclDevFunc_AllReduce_RING_SIMPLE_Prod_f16_0_0_1v, .Lfunc_end4-_Z48ncclDevFunc_AllReduce_RING_SIMPLE_Prod_f16_0_0_1v
                                        ; -- End function
	.section	.AMDGPU.csdata,"",@progbits
; Function info:
; codeLenInByte = 1436
; NumSgprs: 98
; NumVgprs: 64
; NumAgprs: 38
; TotalNumVgprs: 102
; ScratchSize: 192
; MemoryBound: 0
	.text
	.p2align	2                               ; -- Begin function _ZN12_GLOBAL__N_17runRingI6__half8FuncProdIS1_E11ProtoSimpleILi1ELi4ELi1ELi1ELi0ELi0EELi0ELi1ELi1ELi0EEEviiP15ncclDevWorkColl
	.type	_ZN12_GLOBAL__N_17runRingI6__half8FuncProdIS1_E11ProtoSimpleILi1ELi4ELi1ELi1ELi0ELi0EELi0ELi1ELi1ELi0EEEviiP15ncclDevWorkColl,@function
_ZN12_GLOBAL__N_17runRingI6__half8FuncProdIS1_E11ProtoSimpleILi1ELi4ELi1ELi1ELi0ELi0EELi0ELi1ELi1ELi0EEEviiP15ncclDevWorkColl: ; @_ZN12_GLOBAL__N_17runRingI6__half8FuncProdIS1_E11ProtoSimpleILi1ELi4ELi1ELi1ELi0ELi0EELi0ELi1ELi1ELi0EEEviiP15ncclDevWorkColl
; %bb.0:
	s_waitcnt vmcnt(0) expcnt(0) lgkmcnt(0)
	s_mov_b32 s0, s33
	s_mov_b32 s33, s32
	s_or_saveexec_b64 s[2:3], -1
	scratch_store_dword off, v63, s33 offset:124 ; 4-byte Folded Spill
	s_mov_b64 exec, s[2:3]
	v_writelane_b32 v63, s0, 54
	s_addk_i32 s32, 0x90
	scratch_store_dword off, v40, s33 offset:120 ; 4-byte Folded Spill
	scratch_store_dword off, v41, s33 offset:116 ; 4-byte Folded Spill
	;; [unrolled: 1-line block ×30, first 2 shown]
	scratch_store_dword off, a47, s33       ; 4-byte Folded Spill
	v_writelane_b32 v63, s34, 0
	v_writelane_b32 v63, s35, 1
	;; [unrolled: 1-line block ×53, first 2 shown]
	s_nop 1
	v_writelane_b32 v63, s31, 53
	s_trap 2
	flat_load_dword v4, v[2:3]
	ds_read_b32 v5, v0
	v_mov_b32_e32 v59, v0
                                        ; implicit-def: $vgpr16_vgpr17
                                        ; implicit-def: $agpr4_agpr5
                                        ; implicit-def: $vgpr26_vgpr27
	s_waitcnt lgkmcnt(0)
	v_readfirstlane_b32 s72, v5
	s_waitcnt vmcnt(0)
	v_cmp_ne_u32_sdwa s[0:1], v4, v5 src0_sel:BYTE_0 src1_sel:DWORD
	s_and_saveexec_b64 s[2:3], s[0:1]
	s_xor_b64 s[0:1], exec, s[2:3]
	s_cbranch_execz .LBB5_6
; %bb.1:
	v_not_b32_sdwa v0, v4 dst_sel:DWORD dst_unused:UNUSED_PAD src0_sel:BYTE_0
	v_cmp_ne_u32_sdwa s[2:3], v4, v5 src0_sel:BYTE_1 src1_sel:DWORD
                                        ; implicit-def: $vgpr16_vgpr17
                                        ; implicit-def: $agpr4_agpr5
                                        ; implicit-def: $vgpr26_vgpr27
	s_and_saveexec_b64 s[4:5], s[2:3]
	s_xor_b64 s[2:3], exec, s[4:5]
	s_cbranch_execz .LBB5_3
; %bb.2:
	flat_load_dwordx4 v[6:9], v[2:3] offset:72
	flat_load_dwordx2 v[10:11], v[2:3] offset:96
	v_add_u32_e32 v0, v5, v0
	v_ashrrev_i32_e32 v4, 31, v0
	s_waitcnt vmcnt(0) lgkmcnt(0)
	v_mul_lo_u32 v4, v8, v4
	v_mad_u64_u32 v[6:7], s[4:5], v8, v0, v[6:7]
	v_mul_lo_u32 v0, v9, v0
	v_add3_u32 v7, v0, v7, v4
	v_accvgpr_write_b32 a4, v6
	v_lshrrev_b64 v[16:17], 13, v[10:11]
	v_accvgpr_write_b32 a5, v7
	v_mov_b64_e32 v[26:27], v[8:9]
                                        ; implicit-def: $vgpr4
                                        ; implicit-def: $vgpr0
.LBB5_3:
	s_andn2_saveexec_b64 s[2:3], s[2:3]
	s_cbranch_execz .LBB5_5
; %bb.4:
	flat_load_dwordx4 v[6:9], v[2:3] offset:72
	flat_load_dwordx4 v[26:29], v[2:3] offset:88
	v_add_u32_sdwa v0, v4, v0 dst_sel:DWORD dst_unused:UNUSED_PAD src0_sel:BYTE_1 src1_sel:DWORD
	v_ashrrev_i32_e32 v4, 31, v0
	s_waitcnt vmcnt(0) lgkmcnt(0)
	v_mul_lo_u32 v4, v8, v4
	v_mad_u64_u32 v[6:7], s[4:5], v8, v0, v[6:7]
	v_mul_lo_u32 v0, v9, v0
	v_add3_u32 v7, v0, v7, v4
	v_accvgpr_write_b32 a4, v6
	v_accvgpr_write_b32 a5, v7
	v_lshrrev_b32_e32 v16, 2, v29
.LBB5_5:
	s_or_b64 exec, exec, s[2:3]
.LBB5_6:
	s_andn2_saveexec_b64 s[0:1], s[0:1]
	s_cbranch_execz .LBB5_8
; %bb.7:
	flat_load_dwordx2 v[4:5], v[2:3] offset:96
	flat_load_dwordx2 v[26:27], v[2:3] offset:72
	s_waitcnt vmcnt(0) lgkmcnt(0)
	v_lshlrev_b64 v[16:17], 8, v[4:5]
	v_mov_b64_e32 v[4:5], 0
	v_accvgpr_write_b32 a4, v4
	v_accvgpr_write_b32 a5, v5
.LBB5_8:
	s_or_b64 exec, exec, s[0:1]
	s_trap 2
	ds_read_b64 v[4:5], v0
	s_waitcnt lgkmcnt(0)
	v_cmp_ne_u32_e32 vcc, -1, v4
	s_nop 1
	v_cndmask_b32_e64 v4, 0, 1, vcc
	v_cmp_ne_u32_e32 vcc, -1, v5
	s_nop 1
	v_addc_co_u32_e64 v0, s[0:1], 0, v4, vcc
	v_lshlrev_b32_e32 v5, 1, v0
	v_cmp_le_i32_e64 s[0:1], v5, v1
	s_and_saveexec_b64 s[2:3], s[0:1]
	s_xor_b64 s[34:35], exec, s[2:3]
	s_cbranch_execz .LBB5_1223
; %bb.9:
	flat_load_dwordx2 v[34:35], v[2:3] offset:104
	flat_load_dwordx4 v[10:13], v[2:3] offset:16
	flat_load_ushort v7, v[2:3] offset:8
	flat_load_dword v6, v[2:3] offset:4
	s_trap 2
	s_load_dword s0, s[8:9], 0x0
	v_mov_b32_e32 v5, 0
	v_mov_b32_e32 v62, 4
	s_waitcnt lgkmcnt(0)
	s_cmp_lt_u32 s12, s0
	s_cselect_b32 s0, 12, 18
	s_add_u32 s0, s8, s0
	s_addc_u32 s1, s9, 0
	global_load_ushort v14, v5, s[0:1]
	ds_read_b32 v5, v0
	v_cmp_ge_i32_e64 s[0:1], v59, v4
	s_waitcnt lgkmcnt(0)
	v_readfirstlane_b32 s16, v5
	s_and_saveexec_b64 s[2:3], s[0:1]
	s_cbranch_execz .LBB5_19
; %bb.10:
	v_cmp_le_u32_e64 s[0:1], v0, v59
                                        ; implicit-def: $vgpr62
	s_and_saveexec_b64 s[4:5], s[0:1]
	s_xor_b64 s[0:1], exec, s[4:5]
	s_cbranch_execz .LBB5_16
; %bb.11:
	v_cndmask_b32_e64 v5, 0, 1, vcc
	v_sub_u32_e32 v5, v1, v5
	v_cmp_ge_u32_e32 vcc, v59, v5
                                        ; implicit-def: $sgpr6
	s_and_saveexec_b64 s[4:5], vcc
	s_xor_b64 s[4:5], exec, s[4:5]
; %bb.12:
	s_mov_b32 s6, 16
                                        ; implicit-def: $vgpr0
; %bb.13:
	s_or_saveexec_b64 s[4:5], s[4:5]
	v_mov_b32_e32 v62, s6
	s_xor_b64 exec, exec, s[4:5]
; %bb.14:
	v_sub_u32_e32 v0, v1, v0
	v_cmp_ge_i32_e32 vcc, v59, v0
	s_nop 1
	v_cndmask_b32_e64 v0, 0, 1, vcc
	v_lshlrev_b32_e32 v62, 5, v0
; %bb.15:
	s_or_b64 exec, exec, s[4:5]
.LBB5_16:
	s_andn2_saveexec_b64 s[0:1], s[0:1]
; %bb.17:
	v_mov_b32_e32 v62, 8
; %bb.18:
	s_or_b64 exec, exec, s[0:1]
.LBB5_19:
	s_or_b64 exec, exec, s[2:3]
	v_and_b32_e32 v0, 36, v62
	v_cmp_ne_u32_e32 vcc, 0, v0
	v_mov_b32_e32 v8, -1
	s_and_saveexec_b64 s[0:1], vcc
	s_cbranch_execz .LBB5_21
; %bb.20:
	s_trap 2
	ds_read_b32 v8, v0
.LBB5_21:
	s_or_b64 exec, exec, s[0:1]
	v_and_b32_e32 v0, 24, v62
	v_cmp_ne_u32_e64 s[0:1], 0, v0
	s_and_saveexec_b64 s[2:3], s[0:1]
	s_cbranch_execz .LBB5_23
; %bb.22:
	s_trap 2
	s_waitcnt lgkmcnt(0)
	ds_read_b32 v8, v0
.LBB5_23:
	s_or_b64 exec, exec, s[2:3]
	s_waitcnt vmcnt(0)
	v_lshrrev_b64 v[6:7], 31, v[6:7]
	v_mov_b64_e32 v[28:29], 0
	v_and_b32_e32 v0, 3, v6
	s_waitcnt lgkmcnt(0)
	v_ashrrev_i32_e32 v9, 31, v8
	v_mov_b64_e32 v[52:53], v[28:29]
                                        ; implicit-def: $agpr8_agpr9
                                        ; implicit-def: $agpr32
                                        ; implicit-def: $vgpr20_vgpr21
                                        ; implicit-def: $vgpr60_vgpr61
                                        ; implicit-def: $vgpr32_vgpr33
                                        ; implicit-def: $vgpr22_vgpr23
	s_and_saveexec_b64 s[0:1], vcc
	s_cbranch_execz .LBB5_33
; %bb.24:
	s_trap 2
	ds_read_b64 v[6:7], v0
	v_and_b32_e32 v5, 0xffff, v0
	s_movk_i32 s2, 0xa8
                                        ; implicit-def: $agpr8_agpr9
	s_waitcnt lgkmcnt(0)
	v_lshl_add_u64 v[6:7], v[8:9], 3, v[6:7]
	flat_load_dwordx2 v[6:7], v[6:7]
	s_waitcnt vmcnt(0) lgkmcnt(0)
	v_mad_u64_u32 v[6:7], s[2:3], v5, s2, v[6:7]
	flat_load_dword v5, v[6:7] offset:640
	s_mov_b64 s[2:3], 0x1f8
	v_lshl_add_u64 v[28:29], v[6:7], 0, s[2:3]
	s_waitcnt vmcnt(0) lgkmcnt(0)
	v_cmp_eq_u32_e32 vcc, 1, v5
	s_and_saveexec_b64 s[2:3], vcc
	s_cbranch_execz .LBB5_26
; %bb.25:
	flat_load_dwordx2 v[18:19], v[28:29] offset:144
	v_or_b32_e32 v62, 0x2000, v62
	s_waitcnt vmcnt(0) lgkmcnt(0)
	flat_load_dwordx2 v[6:7], v[18:19]
	s_trap 2
	v_accvgpr_write_b32 a8, v18
	v_accvgpr_write_b32 a9, v19
	s_waitcnt vmcnt(0) lgkmcnt(0)
	ds_write_b64 v0, v[6:7]
	flat_load_dwordx2 v[6:7], v[18:19] offset:8
	s_waitcnt vmcnt(0) lgkmcnt(0)
	ds_write_b64 v0, v[6:7]
	flat_load_dwordx2 v[6:7], v[18:19] offset:16
	s_waitcnt vmcnt(0) lgkmcnt(0)
	ds_write_b64 v0, v[6:7]
.LBB5_26:
	s_or_b64 exec, exec, s[2:3]
	flat_load_dwordx2 v[6:7], v[28:29] offset:104
	v_and_b32_e32 v5, 32, v62
	v_cmp_ne_u32_e32 vcc, 0, v5
                                        ; implicit-def: $vgpr22_vgpr23
	s_waitcnt vmcnt(0) lgkmcnt(0)
	v_lshl_add_u64 v[20:21], v[6:7], 0, 3
	v_and_b32_e32 v20, -4, v20
	s_and_saveexec_b64 s[2:3], vcc
	s_cbranch_execz .LBB5_28
; %bb.27:
	flat_load_dwordx2 v[22:23], v[28:29] offset:56
	s_waitcnt vmcnt(0) lgkmcnt(0)
	flat_store_dwordx2 v[22:23], v[20:21] sc0 sc1
.LBB5_28:
	s_or_b64 exec, exec, s[2:3]
	v_and_b32_e32 v5, 4, v62
	v_cmp_ne_u32_e32 vcc, 0, v5
	v_mov_b64_e32 v[52:53], 0
                                        ; implicit-def: $agpr32
                                        ; implicit-def: $vgpr60_vgpr61
                                        ; implicit-def: $vgpr32_vgpr33
	s_and_saveexec_b64 s[2:3], vcc
	s_cbranch_execz .LBB5_32
; %bb.29:
	v_and_b32_e32 v5, 0x800, v62
	v_cmp_eq_u32_e32 vcc, 0, v5
	s_and_saveexec_b64 s[4:5], vcc
	s_cbranch_execz .LBB5_31
; %bb.30:
	s_trap 2
	ds_write_b64 v0, v[28:29]
.LBB5_31:
	s_or_b64 exec, exec, s[4:5]
	flat_load_dwordx2 v[22:23], v[28:29] offset:48
	v_or_b32_e32 v6, 0x100, v62
	s_waitcnt vmcnt(0) lgkmcnt(0)
	flat_load_dwordx2 v[32:33], v[22:23] sc0 sc1
	flat_load_dword v5, v[28:29] offset:72
	flat_load_dwordx2 v[52:53], v[28:29] offset:96
	flat_load_dwordx2 v[60:61], v[28:29] offset:16
	s_waitcnt vmcnt(0) lgkmcnt(0)
	v_ashrrev_i32_e32 v18, 1, v5
	v_cmp_eq_u64_e32 vcc, 0, v[52:53]
	v_accvgpr_write_b32 a32, v18
	s_nop 0
	v_cndmask_b32_e32 v62, v6, v62, vcc
.LBB5_32:
	s_or_b64 exec, exec, s[2:3]
.LBB5_33:
	s_or_b64 exec, exec, s[0:1]
	v_and_b32_e32 v5, 24, v62
	v_cmp_ne_u32_e32 vcc, 0, v5
                                        ; implicit-def: $vgpr48_vgpr49
	s_and_saveexec_b64 s[0:1], vcc
	s_cbranch_execz .LBB5_41
; %bb.34:
	s_trap 2
	ds_read_b64 v[6:7], v0
	v_and_b32_e32 v0, 0xffff, v0
	s_movk_i32 s2, 0xa8
                                        ; implicit-def: $vgpr48_vgpr49
	s_waitcnt lgkmcnt(0)
	v_lshl_add_u64 v[6:7], v[8:9], 3, v[6:7]
	flat_load_dwordx2 v[6:7], v[6:7]
	s_waitcnt vmcnt(0) lgkmcnt(0)
	v_mad_u64_u32 v[28:29], s[2:3], v0, s2, v[6:7]
	flat_load_dwordx4 v[52:55], v[28:29] offset:96
	v_or_b32_e32 v0, 0x100, v62
	s_waitcnt vmcnt(0) lgkmcnt(0)
	v_cmp_eq_u64_e32 vcc, 0, v[52:53]
	s_nop 1
	v_cndmask_b32_e32 v62, v0, v62, vcc
	v_and_b32_e32 v0, 16, v62
	v_cmp_ne_u32_e32 vcc, 0, v0
	s_and_saveexec_b64 s[2:3], vcc
	s_cbranch_execz .LBB5_36
; %bb.35:
	flat_load_dwordx2 v[48:49], v[28:29] offset:120
	flat_load_dwordx2 v[22:23], v[28:29] offset:48
	;; [unrolled: 1-line block ×3, first 2 shown]
.LBB5_36:
	s_or_b64 exec, exec, s[2:3]
	v_lshl_add_u64 v[20:21], v[54:55], 0, 3
	v_and_b32_e32 v0, 8, v62
	v_and_b32_e32 v20, -4, v20
	v_cmp_ne_u32_e32 vcc, 0, v0
	s_and_saveexec_b64 s[2:3], vcc
	s_cbranch_execz .LBB5_40
; %bb.37:
	v_and_b32_e32 v0, 0x800, v62
	v_cmp_eq_u32_e32 vcc, 0, v0
	s_and_saveexec_b64 s[4:5], vcc
	s_cbranch_execz .LBB5_39
; %bb.38:
	s_trap 2
	ds_write_b64 v0, v[28:29]
.LBB5_39:
	s_or_b64 exec, exec, s[4:5]
	s_waitcnt vmcnt(0) lgkmcnt(0)
	flat_load_dwordx2 v[22:23], v[28:29] offset:56
	s_waitcnt vmcnt(0) lgkmcnt(0)
	flat_load_dwordx2 v[32:33], v[22:23] sc0 sc1
	flat_load_dword v0, v[28:29] offset:72
	flat_load_dwordx2 v[60:61], v[28:29] offset:16
	s_waitcnt vmcnt(0) lgkmcnt(0)
	v_ashrrev_i32_e32 v0, 1, v0
	v_accvgpr_write_b32 a32, v0
.LBB5_40:
	s_or_b64 exec, exec, s[2:3]
.LBB5_41:
	s_or_b64 exec, exec, s[0:1]
	v_cmp_eq_u32_e64 s[0:1], 0, v59
	s_and_saveexec_b64 s[2:3], s[0:1]
	s_cbranch_execz .LBB5_43
; %bb.42:
	flat_load_dwordx2 v[6:7], v[2:3] offset:32
	v_mov_b32_e32 v8, v12
	v_mov_b32_e32 v9, v13
	ds_write2_b64 v0, v[8:9], v[10:11] offset1:1
	s_trap 2
	s_waitcnt vmcnt(0) lgkmcnt(0)
	ds_write_b64 v0, v[6:7]
	ds_write_b64 v0, v[34:35]
.LBB5_43:
	s_or_b64 exec, exec, s[2:3]
	s_mov_b64 s[38:39], 0
	v_cmp_lt_i64_e32 vcc, 0, v[26:27]
	v_mov_b64_e32 v[12:13], 0
	s_and_saveexec_b64 s[36:37], vcc
	s_cbranch_execz .LBB5_1187
; %bb.44:
	flat_load_dword v0, v[2:3] offset:4
	s_ashr_i32 s17, s16, 31
	s_lshr_b32 s17, s17, 29
	s_add_i32 s22, s16, s17
	s_ashr_i32 s73, s72, 31
	s_ashr_i32 s23, s22, 4
	s_add_u32 s46, s72, -1
	s_addc_u32 s47, s73, -1
	s_add_i32 s76, s72, s72
	s_not_b32 s24, s72
	v_accvgpr_read_b32 v6, a32
	s_cmp_gt_i32 s72, 0
	v_ashrrev_i32_e32 v55, 31, v6
	v_lshrrev_b32_e32 v34, 6, v1
	v_mov_b32_e32 v6, 0xfffff800
	s_cselect_b32 s24, s24, -1
	s_ashr_i32 s22, s22, 31
	v_cmp_ge_i32_e64 s[2:3], v59, v1
	v_cmp_eq_u32_e64 s[4:5], 64, v1
	v_cmp_ne_u32_e64 s[6:7], 64, v1
	v_cmp_ne_u32_sdwa s[40:41], v14, v1 src0_sel:WORD_0 src1_sel:DWORD
	v_accvgpr_write_b32 a1, v1
	v_ashrrev_i32_e32 v1, 31, v59
	v_mov_b32_e32 v7, 0xfffffe00
	v_lshl_add_u32 v6, v34, 11, v6
	s_lshr_b32 s22, s22, 29
	s_mov_b64 s[18:19], 0x800
	v_lshrrev_b32_e32 v1, 26, v1
	v_lshl_add_u32 v8, v34, 9, v7
	v_ashrrev_i32_e32 v7, 31, v6
	s_add_i32 s77, s24, s76
	s_add_i32 s23, s23, s22
	v_and_b32_e32 v2, 0x1fffff00, v16
	v_lshlrev_b32_e32 v10, 4, v59
	v_add_u32_e32 v1, v59, v1
	v_lshl_add_u64 v[6:7], v[6:7], 0, s[18:19]
	s_ashr_i32 s78, s77, 31
	s_ashr_i32 s79, s23, 3
	v_and_b32_e32 v5, 63, v31
	v_mad_i64_i32 v[46:47], s[14:15], v2, s72, 0
	v_ashrrev_i32_e32 v11, 31, v10
	v_ashrrev_i32_e32 v58, 6, v1
	v_and_b32_e32 v1, 0xffffffc0, v1
	v_accvgpr_write_b32 a31, v7
	s_cmp_gt_i32 s72, 2
	v_cmp_eq_u32_e64 s[14:15], 0, v5
	v_lshlrev_b32_e32 v38, 10, v34
	v_accvgpr_write_b32 a21, v11
	v_accvgpr_write_b32 a30, v6
	v_sub_u32_e32 v5, v59, v1
	v_lshlrev_b32_e32 v1, 11, v58
	v_sub_u32_e32 v6, 0, v58
	s_cselect_b64 s[48:49], -1, 0
	s_add_i32 s24, s72, 1
	v_accvgpr_write_b32 a10, v28
	v_lshlrev_b32_e32 v24, 7, v34
	v_accvgpr_write_b32 a20, v10
	v_add_u32_e32 v10, 0xfffffc00, v38
	v_accvgpr_write_b32 a35, v6
	v_lshl_add_u32 v6, v5, 4, v1
	v_accvgpr_write_b32 a11, v29
	v_add_u32_e32 v28, 0xffffff80, v24
	v_ashrrev_i32_e32 v11, 31, v10
	v_ashrrev_i32_e32 v7, 31, v6
	v_mov_b32_e32 v3, 0
	s_mov_b64 s[42:43], 0x400
	s_mov_b64 s[20:21], 0x200
	;; [unrolled: 1-line block ×3, first 2 shown]
	v_mov_b64_e32 v[50:51], 0
	v_ashrrev_i32_e32 v9, 31, v8
	v_ashrrev_i32_e32 v29, 31, v28
	v_accvgpr_write_b32 a27, v11
	v_accvgpr_write_b32 a37, v7
	;; [unrolled: 1-line block ×3, first 2 shown]
	s_waitcnt vmcnt(0) lgkmcnt(0)
	v_accvgpr_write_b32 a14, v60
	v_accvgpr_write_b32 a16, v48
	;; [unrolled: 1-line block ×5, first 2 shown]
	v_and_b32_e32 v0, 1, v0
	v_cmp_eq_u32_e64 s[22:23], 1, v0
	s_xor_b64 s[50:51], s[22:23], -1
	s_cmp_le_i32 s72, s24
	s_cselect_b32 s25, s72, 0
	s_sub_i32 s81, s24, s25
	v_accvgpr_write_b32 a0, v31
	s_movk_i32 s74, 0xff80
	v_cmp_eq_u64_e64 s[10:11], 0, v[48:49]
	v_cmp_ne_u64_e64 s[12:13], 0, v[48:49]
	s_movk_i32 s75, 0x270e
	v_mov_b32_e32 v35, v3
	v_lshl_add_u64 v[40:41], v[8:9], 0, s[20:21]
	v_accvgpr_write_b32 a26, v10
	v_lshl_add_u64 v[42:43], v[10:11], 0, s[42:43]
	v_lshl_add_u64 v[44:45], v[28:29], 0, s[44:45]
	v_cmp_gt_i32_e64 s[16:17], 1, v5
	v_cmp_lt_i32_e64 s[18:19], v5, v4
	v_accvgpr_write_b32 a34, v5
	v_cmp_le_i32_e64 s[20:21], v5, v4
	v_accvgpr_write_b32 a36, v6
	s_add_i32 s80, s72, -2
	s_ashr_i32 s82, s81, 31
	v_mov_b32_e32 v25, 1
	s_movk_i32 s83, 0x108
	s_mov_b64 s[52:53], 0x180
	v_mov_b64_e32 v[56:57], v[2:3]
	v_mov_b64_e32 v[12:13], v[50:51]
	v_accvgpr_write_b32 a3, v59
	v_accvgpr_write_b32 a13, v53
	;; [unrolled: 1-line block ×9, first 2 shown]
	s_trap 2
	s_branch .LBB5_47
.LBB5_45:                               ;   in Loop: Header=BB5_47 Depth=1
	s_or_b64 exec, exec, s[24:25]
.LBB5_46:                               ;   in Loop: Header=BB5_47 Depth=1
	s_or_b64 exec, exec, s[28:29]
	v_lshl_add_u64 v[50:51], v[50:51], 0, v[46:47]
	v_cmp_ge_i64_e32 vcc, v[50:51], v[26:27]
	s_or_b64 s[38:39], vcc, s[38:39]
	s_andn2_b64 exec, exec, s[38:39]
	s_cbranch_execz .LBB5_1186
.LBB5_47:                               ; =>This Loop Header: Depth=1
                                        ;     Child Loop BB5_62 Depth 2
                                        ;     Child Loop BB5_86 Depth 2
	;; [unrolled: 1-line block ×13, first 2 shown]
                                        ;       Child Loop BB5_275 Depth 3
                                        ;       Child Loop BB5_301 Depth 3
	;; [unrolled: 1-line block ×12, first 2 shown]
                                        ;     Child Loop BB5_491 Depth 2
                                        ;     Child Loop BB5_524 Depth 2
	;; [unrolled: 1-line block ×8, first 2 shown]
                                        ;       Child Loop BB5_620 Depth 3
                                        ;     Child Loop BB5_626 Depth 2
                                        ;       Child Loop BB5_627 Depth 3
                                        ;     Child Loop BB5_636 Depth 2
                                        ;     Child Loop BB5_641 Depth 2
                                        ;       Child Loop BB5_642 Depth 3
                                        ;     Child Loop BB5_681 Depth 2
                                        ;     Child Loop BB5_712 Depth 2
                                        ;     Child Loop BB5_498 Depth 2
                                        ;     Child Loop BB5_554 Depth 2
                                        ;     Child Loop BB5_592 Depth 2
                                        ;     Child Loop BB5_730 Depth 2
                                        ;       Child Loop BB5_743 Depth 3
                                        ;       Child Loop BB5_776 Depth 3
	;; [unrolled: 1-line block ×8, first 2 shown]
                                        ;         Child Loop BB5_872 Depth 4
                                        ;       Child Loop BB5_878 Depth 3
                                        ;         Child Loop BB5_879 Depth 4
                                        ;       Child Loop BB5_888 Depth 3
                                        ;       Child Loop BB5_893 Depth 3
                                        ;         Child Loop BB5_894 Depth 4
                                        ;       Child Loop BB5_933 Depth 3
                                        ;       Child Loop BB5_964 Depth 3
	;; [unrolled: 1-line block ×5, first 2 shown]
                                        ;     Child Loop BB5_991 Depth 2
                                        ;     Child Loop BB5_1015 Depth 2
	;; [unrolled: 1-line block ×12, first 2 shown]
	v_mov_b64_e32 v[0:1], v[50:51]
	v_sub_co_u32_e32 v50, vcc, v26, v0
	v_accvgpr_write_b32 a6, v26
	v_accvgpr_write_b32 a23, v1
	v_accvgpr_write_b32 a7, v27
	v_accvgpr_write_b32 a22, v0
	v_subb_co_u32_e32 v51, vcc, v27, v1, vcc
	v_cmp_lt_i64_e32 vcc, v[50:51], v[46:47]
	s_mov_b64 s[26:27], exec
	v_accvgpr_read_b32 v26, a30
	s_and_b64 s[24:25], s[26:27], vcc
	v_accvgpr_read_b32 v27, a31
	s_mov_b64 exec, s[24:25]
	s_cbranch_execz .LBB5_53
; %bb.48:                               ;   in Loop: Header=BB5_47 Depth=1
	s_waitcnt lgkmcnt(0)
	v_lshl_add_u64 v[8:9], s[46:47], 0, v[50:51]
	v_or_b32_e32 v1, s73, v9
	v_mov_b32_e32 v0, v3
	v_cmp_ne_u64_e32 vcc, 0, v[0:1]
                                        ; implicit-def: $vgpr4_vgpr5
	s_and_saveexec_b64 s[24:25], vcc
	s_xor_b64 s[28:29], exec, s[24:25]
	s_cbranch_execz .LBB5_50
; %bb.49:                               ;   in Loop: Header=BB5_47 Depth=1
	s_add_u32 s24, s72, s73
	s_mov_b32 s30, s73
	s_mov_b32 s31, s73
	s_addc_u32 s25, s73, s73
	s_xor_b64 s[54:55], s[24:25], s[30:31]
	v_cvt_f32_u32_e32 v0, s54
	v_cvt_f32_u32_e32 v1, s55
	s_sub_u32 s24, 0, s54
	s_subb_u32 s25, 0, s55
	v_fmac_f32_e32 v0, 0x4f800000, v1
	v_rcp_f32_e32 v0, v0
	s_nop 0
	v_mul_f32_e32 v0, 0x5f7ffffc, v0
	v_mul_f32_e32 v1, 0x2f800000, v0
	v_trunc_f32_e32 v1, v1
	v_fmac_f32_e32 v0, 0xcf800000, v1
	v_cvt_u32_f32_e32 v4, v1
	v_cvt_u32_f32_e32 v5, v0
	v_mul_lo_u32 v0, s24, v4
	v_mul_hi_u32 v2, s24, v5
	v_mul_lo_u32 v1, s25, v5
	v_add_u32_e32 v0, v2, v0
	v_mul_lo_u32 v6, s24, v5
	v_add_u32_e32 v7, v0, v1
	v_mul_hi_u32 v1, v5, v7
	v_mul_lo_u32 v0, v5, v7
	v_mul_hi_u32 v2, v5, v6
	v_lshl_add_u64 v[0:1], v[2:3], 0, v[0:1]
	v_mul_hi_u32 v2, v4, v6
	v_mul_lo_u32 v6, v4, v6
	v_add_co_u32_e32 v0, vcc, v0, v6
	v_mul_hi_u32 v10, v4, v7
	s_nop 0
	v_addc_co_u32_e32 v2, vcc, v1, v2, vcc
	v_mul_lo_u32 v0, v4, v7
	s_nop 0
	v_addc_co_u32_e32 v1, vcc, 0, v10, vcc
	v_lshl_add_u64 v[0:1], v[2:3], 0, v[0:1]
	v_add_co_u32_e32 v5, vcc, v5, v0
	v_mul_lo_u32 v2, s24, v5
	s_nop 0
	v_addc_co_u32_e32 v4, vcc, v4, v1, vcc
	v_mul_lo_u32 v0, s24, v4
	v_mul_hi_u32 v1, s24, v5
	v_add_u32_e32 v0, v1, v0
	v_mul_lo_u32 v1, s25, v5
	v_add_u32_e32 v6, v0, v1
	v_mul_hi_u32 v10, v4, v2
	v_mul_lo_u32 v11, v4, v2
	v_mul_hi_u32 v1, v5, v6
	v_mul_lo_u32 v0, v5, v6
	v_mul_hi_u32 v2, v5, v2
	v_lshl_add_u64 v[0:1], v[2:3], 0, v[0:1]
	v_add_co_u32_e32 v0, vcc, v0, v11
	v_mul_hi_u32 v7, v4, v6
	s_nop 0
	v_addc_co_u32_e32 v2, vcc, v1, v10, vcc
	v_mul_lo_u32 v0, v4, v6
	s_nop 0
	v_addc_co_u32_e32 v1, vcc, 0, v7, vcc
	v_lshl_add_u64 v[0:1], v[2:3], 0, v[0:1]
	v_add_co_u32_e32 v10, vcc, v5, v0
	s_nop 1
	v_addc_co_u32_e32 v6, vcc, v4, v1, vcc
	v_ashrrev_i32_e32 v4, 31, v9
	v_mov_b32_e32 v5, v4
	v_lshl_add_u64 v[0:1], v[8:9], 0, v[4:5]
	v_xor_b32_e32 v11, v0, v4
	v_xor_b32_e32 v5, v1, v4
	v_mad_u64_u32 v[0:1], s[24:25], v11, v6, 0
	v_mul_hi_u32 v2, v11, v10
	v_lshl_add_u64 v[0:1], v[2:3], 0, v[0:1]
	v_mad_u64_u32 v[8:9], s[24:25], v5, v10, 0
	v_add_co_u32_e32 v0, vcc, v0, v8
	v_mad_u64_u32 v[6:7], s[24:25], v5, v6, 0
	s_nop 0
	v_addc_co_u32_e32 v2, vcc, v1, v9, vcc
	s_nop 1
	v_addc_co_u32_e32 v7, vcc, 0, v7, vcc
	v_lshl_add_u64 v[0:1], v[2:3], 0, v[6:7]
	v_mul_lo_u32 v2, s55, v0
	v_mul_lo_u32 v8, s54, v1
	v_mad_u64_u32 v[6:7], s[24:25], s54, v0, 0
	v_add3_u32 v2, v7, v8, v2
	v_sub_u32_e32 v7, v5, v2
	v_mov_b32_e32 v8, s55
	v_sub_co_u32_e32 v10, vcc, v11, v6
	s_nop 1
	v_subb_co_u32_e64 v6, s[24:25], v7, v8, vcc
	v_subrev_co_u32_e64 v7, s[24:25], s54, v10
	v_subb_co_u32_e32 v2, vcc, v5, v2, vcc
	s_nop 0
	v_subbrev_co_u32_e64 v6, s[24:25], 0, v6, s[24:25]
	v_cmp_le_u32_e64 s[24:25], s55, v6
	v_cmp_le_u32_e32 vcc, s55, v2
	s_nop 0
	v_cndmask_b32_e64 v8, 0, -1, s[24:25]
	v_cmp_le_u32_e64 s[24:25], s54, v7
	v_cndmask_b32_e64 v5, 0, -1, vcc
	v_cmp_le_u32_e32 vcc, s54, v10
	v_cndmask_b32_e64 v7, 0, -1, s[24:25]
	v_cmp_eq_u32_e64 s[24:25], s55, v6
	s_nop 1
	v_cndmask_b32_e64 v11, v8, v7, s[24:25]
	v_lshl_add_u64 v[6:7], v[0:1], 0, 2
	v_lshl_add_u64 v[8:9], v[0:1], 0, 1
	v_cmp_ne_u32_e64 s[24:25], 0, v11
	s_nop 1
	v_cndmask_b32_e64 v7, v9, v7, s[24:25]
	v_cndmask_b32_e64 v9, 0, -1, vcc
	v_cmp_eq_u32_e32 vcc, s55, v2
	s_nop 1
	v_cndmask_b32_e32 v2, v5, v9, vcc
	v_cmp_ne_u32_e32 vcc, 0, v2
	v_cndmask_b32_e64 v2, v8, v6, s[24:25]
                                        ; implicit-def: $vgpr8_vgpr9
	s_nop 0
	v_cndmask_b32_e32 v0, v0, v2, vcc
	v_xor_b32_e32 v2, s31, v4
	v_xor_b32_e32 v4, s30, v4
	v_cndmask_b32_e32 v1, v1, v7, vcc
	v_xor_b32_e32 v0, v0, v4
	v_xor_b32_e32 v1, v1, v2
	v_sub_co_u32_e32 v4, vcc, v0, v4
	s_nop 1
	v_subb_co_u32_e32 v5, vcc, v1, v2, vcc
.LBB5_50:                               ;   in Loop: Header=BB5_47 Depth=1
	s_andn2_saveexec_b64 s[24:25], s[28:29]
	s_cbranch_execz .LBB5_52
; %bb.51:                               ;   in Loop: Header=BB5_47 Depth=1
	v_cvt_f32_u32_e32 v0, s72
	s_sub_i32 s28, 0, s72
	v_rcp_iflag_f32_e32 v0, v0
	s_nop 0
	v_mul_f32_e32 v0, 0x4f7ffffe, v0
	v_cvt_u32_f32_e32 v0, v0
	v_mul_lo_u32 v1, s28, v0
	v_mul_hi_u32 v1, v0, v1
	v_add_u32_e32 v0, v0, v1
	v_mul_hi_u32 v0, v8, v0
	v_mul_lo_u32 v1, v0, s72
	v_sub_u32_e32 v1, v8, v1
	v_add_u32_e32 v2, 1, v0
	v_subrev_u32_e32 v4, s72, v1
	v_cmp_le_u32_e32 vcc, s72, v1
	s_nop 1
	v_cndmask_b32_e32 v1, v1, v4, vcc
	v_cndmask_b32_e32 v0, v0, v2, vcc
	v_add_u32_e32 v2, 1, v0
	v_cmp_le_u32_e32 vcc, s72, v1
	s_nop 1
	v_cndmask_b32_e32 v2, v0, v2, vcc
	v_mov_b64_e32 v[4:5], v[2:3]
.LBB5_52:                               ;   in Loop: Header=BB5_47 Depth=1
	s_or_b64 exec, exec, s[24:25]
	v_lshl_add_u64 v[56:57], v[4:5], 0, 7
	v_and_b32_e32 v56, -8, v56
.LBB5_53:                               ;   in Loop: Header=BB5_47 Depth=1
	s_or_b64 exec, exec, s[26:27]
	v_mul_lo_u32 v0, v57, s77
	v_mul_lo_u32 v1, v56, s78
	v_mad_u64_u32 v[4:5], s[24:25], v56, s77, 0
	v_add3_u32 v5, v5, v1, v0
	v_accvgpr_read_b32 v0, a4
	v_accvgpr_read_b32 v6, a22
	;; [unrolled: 1-line block ×4, first 2 shown]
	v_lshl_add_u64 v[0:1], v[6:7], 0, v[0:1]
	v_accvgpr_write_b32 a39, v1
	v_accvgpr_write_b32 a38, v0
	v_sub_co_u32_e32 v0, vcc, v50, v4
	s_nop 1
	v_subb_co_u32_e32 v1, vcc, v51, v5, vcc
	v_cmp_lt_i64_e32 vcc, v[56:57], v[0:1]
	s_nop 1
	v_cndmask_b32_e32 v0, v0, v56, vcc
	s_waitcnt lgkmcnt(0)
	v_max_i32_e32 v30, 0, v0
	v_add_u32_e32 v1, 15, v30
	v_ashrrev_i32_e32 v2, 31, v1
	v_lshrrev_b32_e32 v2, 28, v2
	v_add_u32_e32 v1, v1, v2
	v_cmp_gt_i32_e32 vcc, 1, v0
	v_and_b32_e32 v1, -16, v1
	s_or_b64 s[26:27], s[2:3], vcc
	v_max_i32_e32 v8, s79, v1
	s_xor_b64 s[24:25], s[26:27], -1
	v_mov_b32_e32 v0, 0
	s_and_saveexec_b64 s[28:29], s[24:25]
	s_cbranch_execz .LBB5_192
; %bb.54:                               ;   in Loop: Header=BB5_47 Depth=1
	s_and_saveexec_b64 s[24:25], s[0:1]
	s_cbranch_execz .LBB5_56
; %bb.55:                               ;   in Loop: Header=BB5_47 Depth=1
	s_trap 2
	ds_read_b64 v[0:1], v0
	v_accvgpr_read_b32 v6, a38
	v_accvgpr_read_b32 v7, a39
	v_mov_b32_e32 v2, v3
	s_waitcnt lgkmcnt(0)
	v_lshl_add_u64 v[0:1], v[6:7], 1, v[0:1]
	v_lshl_add_u64 v[0:1], v[4:5], 1, v[0:1]
	ds_write_b64 v0, v[0:1]
	ds_write_b64 v0, v[2:3]
.LBB5_56:                               ;   in Loop: Header=BB5_47 Depth=1
	s_or_b64 exec, exec, s[24:25]
	v_and_b32_e32 v0, 8, v62
	v_cmp_ne_u32_e32 vcc, 0, v0
	s_mov_b64 s[30:31], -1
	s_and_saveexec_b64 s[24:25], vcc
	s_cbranch_execz .LBB5_68
; %bb.57:                               ;   in Loop: Header=BB5_47 Depth=1
	v_lshl_add_u64 v[0:1], v[32:33], 0, 8
	v_lshl_add_u64 v[10:11], v[20:21], 0, 4
	v_cmp_lt_u64_e32 vcc, v[0:1], v[10:11]
	v_mov_b32_e32 v0, 1
	s_and_saveexec_b64 s[30:31], vcc
	s_cbranch_execz .LBB5_67
; %bb.58:                               ;   in Loop: Header=BB5_47 Depth=1
	s_mov_b64 s[54:55], 0
	v_mov_b32_e32 v0, 0
                                        ; implicit-def: $sgpr56_sgpr57
	s_branch .LBB5_62
.LBB5_59:                               ;   in Loop: Header=BB5_62 Depth=2
	s_or_b64 exec, exec, s[64:65]
	v_mov_b32_e32 v1, 0
	s_orn2_b64 s[62:63], s[62:63], exec
.LBB5_60:                               ;   in Loop: Header=BB5_62 Depth=2
	s_or_b64 exec, exec, s[60:61]
	s_andn2_b64 vcc, s[56:57], exec
	s_and_b64 s[56:57], s[62:63], exec
	s_or_b64 s[56:57], vcc, s[56:57]
	v_mov_b32_e32 v0, v1
.LBB5_61:                               ;   in Loop: Header=BB5_62 Depth=2
	s_or_b64 exec, exec, s[58:59]
	s_waitcnt vmcnt(0) lgkmcnt(0)
	v_lshl_add_u64 v[4:5], v[32:33], 0, 8
	v_cmp_ge_u64_e32 vcc, v[4:5], v[10:11]
	s_xor_b64 s[58:59], s[56:57], -1
	s_or_b64 vcc, s[58:59], vcc
	s_and_b64 vcc, exec, vcc
	s_or_b64 s[54:55], vcc, s[54:55]
	s_andn2_b64 exec, exec, s[54:55]
	s_cbranch_execz .LBB5_66
.LBB5_62:                               ;   Parent Loop BB5_47 Depth=1
                                        ; =>  This Inner Loop Header: Depth=2
	s_sleep 1
	flat_load_dwordx2 v[32:33], v[22:23] sc0 sc1
	v_and_b32_e32 v1, 64, v62
	v_cmp_eq_u32_e32 vcc, 0, v1
	s_andn2_b64 s[56:57], s[56:57], exec
	s_and_saveexec_b64 s[58:59], vcc
	s_cbranch_execz .LBB5_61
; %bb.63:                               ;   in Loop: Header=BB5_62 Depth=2
	v_add_u32_e32 v1, 1, v0
	v_cmp_lt_i32_e32 vcc, s75, v0
	s_mov_b64 s[62:63], -1
	s_and_saveexec_b64 s[60:61], vcc
	s_cbranch_execz .LBB5_60
; %bb.64:                               ;   in Loop: Header=BB5_62 Depth=2
	s_trap 2
	ds_read_b64 v[0:1], v0
	s_waitcnt vmcnt(0) lgkmcnt(0)
	flat_load_dword v0, v[0:1] sc0 sc1
	s_waitcnt vmcnt(0) lgkmcnt(0)
	buffer_inv sc0 sc1
	v_cmp_ne_u32_e32 vcc, 0, v0
	s_and_saveexec_b64 s[64:65], vcc
	s_cbranch_execz .LBB5_59
; %bb.65:                               ;   in Loop: Header=BB5_62 Depth=2
	v_or_b32_e32 v62, 64, v62
	s_xor_b64 s[62:63], exec, -1
	ds_write_b32 v0, v0
	s_trap 2
	s_branch .LBB5_59
.LBB5_66:                               ;   in Loop: Header=BB5_47 Depth=1
	s_or_b64 exec, exec, s[54:55]
	v_and_b32_e32 v0, 8, v62
.LBB5_67:                               ;   in Loop: Header=BB5_47 Depth=1
	s_or_b64 exec, exec, s[30:31]
	v_cmp_eq_u32_e32 vcc, 0, v0
	s_orn2_b64 s[30:31], vcc, exec
	;;#ASMSTART
	s_wakeup
	;;#ASMEND
.LBB5_68:                               ;   in Loop: Header=BB5_47 Depth=1
	s_or_b64 exec, exec, s[24:25]
	s_xor_b64 s[24:25], s[30:31], -1
	v_min_i32_e32 v8, v8, v30
	s_and_saveexec_b64 s[30:31], s[24:25]
	s_cbranch_execz .LBB5_78
; %bb.69:                               ;   in Loop: Header=BB5_47 Depth=1
	v_and_b32_e32 v0, 0x100, v62
	v_cmp_ne_u32_e32 vcc, 0, v0
	v_and_b32_e32 v0, 7, v20
	s_mov_b64 s[24:25], -1
                                        ; implicit-def: $vgpr4_vgpr5
	s_and_saveexec_b64 s[54:55], vcc
	s_cbranch_execz .LBB5_73
; %bb.70:                               ;   in Loop: Header=BB5_47 Depth=1
	v_mad_u64_u32 v[10:11], s[24:25], v0, 24, v[52:53]
	flat_load_dword v1, v[10:11]
	v_ashrrev_i32_e32 v9, 31, v8
	v_lshlrev_b64 v[4:5], 1, v[8:9]
	flat_store_dwordx2 v[10:11], v[4:5] offset:8
                                        ; implicit-def: $vgpr4_vgpr5
	s_waitcnt vmcnt(0) lgkmcnt(0)
	v_cmp_ne_u32_e32 vcc, 1, v1
	v_cmp_eq_u32_e64 s[24:25], 1, v1
	s_and_saveexec_b64 s[56:57], s[24:25]
	s_cbranch_execz .LBB5_72
; %bb.71:                               ;   in Loop: Header=BB5_47 Depth=1
	flat_load_dword v4, v[10:11] offset:4 sc0 sc1
	s_waitcnt vmcnt(0) lgkmcnt(0)
	v_ashrrev_i32_e32 v5, 31, v4
	v_lshrrev_b64 v[4:5], 1, v[4:5]
.LBB5_72:                               ;   in Loop: Header=BB5_47 Depth=1
	s_or_b64 exec, exec, s[56:57]
	s_orn2_b64 s[24:25], vcc, exec
.LBB5_73:                               ;   in Loop: Header=BB5_47 Depth=1
	s_or_b64 exec, exec, s[54:55]
	s_and_saveexec_b64 vcc, s[24:25]
; %bb.74:                               ;   in Loop: Header=BB5_47 Depth=1
	v_accvgpr_read_b32 v2, a32
	v_mad_i64_i32 v[4:5], s[24:25], v0, v2, 0
; %bb.75:                               ;   in Loop: Header=BB5_47 Depth=1
	s_or_b64 exec, exec, vcc
	v_lshl_add_u64 v[0:1], v[4:5], 1, v[60:61]
	ds_write_b64 v0, v[0:1] offset:784
	v_and_b32_e32 v0, 0x2000, v62
	v_cmp_ne_u32_e32 vcc, 0, v0
	s_and_saveexec_b64 s[24:25], vcc
	s_cbranch_execz .LBB5_77
; %bb.76:                               ;   in Loop: Header=BB5_47 Depth=1
	ds_read_b64 v[0:1], v0 offset:584
	s_waitcnt lgkmcnt(0)
	v_lshl_add_u64 v[0:1], v[0:1], 0, 1
	ds_write_b64 v0, v[0:1] offset:584
.LBB5_77:                               ;   in Loop: Header=BB5_47 Depth=1
	s_or_b64 exec, exec, s[24:25]
	v_lshl_add_u64 v[20:21], v[20:21], 0, 4
.LBB5_78:                               ;   in Loop: Header=BB5_47 Depth=1
	s_or_b64 exec, exec, s[30:31]
	s_and_saveexec_b64 s[24:25], s[6:7]
	s_cbranch_execz .LBB5_97
; %bb.79:                               ;   in Loop: Header=BB5_47 Depth=1
	s_and_saveexec_b64 vcc, s[40:41]
	s_xor_b64 s[30:31], exec, vcc
	s_cbranch_execz .LBB5_94
; %bb.80:                               ;   in Loop: Header=BB5_47 Depth=1
	s_and_saveexec_b64 s[54:55], s[14:15]
	s_cbranch_execz .LBB5_93
; %bb.81:                               ;   in Loop: Header=BB5_47 Depth=1
	s_mov_b64 s[58:59], exec
	v_mbcnt_lo_u32_b32 v0, s58, 0
	v_mbcnt_hi_u32_b32 v0, s59, v0
	v_cmp_eq_u32_e32 vcc, 0, v0
	s_waitcnt lgkmcnt(0)
	s_and_saveexec_b64 s[56:57], vcc
	s_cbranch_execz .LBB5_83
; %bb.82:                               ;   in Loop: Header=BB5_47 Depth=1
	s_bcnt1_i32_b64 vcc_lo, s[58:59]
	v_mov_b32_e32 v2, vcc_lo
	ds_add_u64 v0, v[2:3]
	s_trap 2
.LBB5_83:                               ;   in Loop: Header=BB5_47 Depth=1
	s_or_b64 exec, exec, s[56:57]
	s_trap 2
	ds_read_b64 v[0:1], v0
	v_lshl_add_u64 v[12:13], v[12:13], 0, v[34:35]
	s_waitcnt lgkmcnt(0)
	v_cmp_lt_u64_e32 vcc, v[0:1], v[12:13]
	s_and_saveexec_b64 s[56:57], vcc
	s_cbranch_execz .LBB5_92
; %bb.84:                               ;   in Loop: Header=BB5_47 Depth=1
	s_mov_b32 s68, 0
	s_mov_b64 s[58:59], 0
                                        ; implicit-def: $sgpr60_sgpr61
                                        ; implicit-def: $sgpr62_sgpr63
	s_branch .LBB5_86
.LBB5_85:                               ;   in Loop: Header=BB5_86 Depth=2
	s_or_b64 exec, exec, s[66:67]
	s_and_b64 vcc, exec, vcc
	s_or_b64 s[58:59], vcc, s[58:59]
	s_andn2_b64 vcc, s[60:61], exec
	s_and_b64 s[60:61], s[62:63], exec
	s_or_b64 s[60:61], vcc, s[60:61]
	s_andn2_b64 exec, exec, s[58:59]
	s_cbranch_execz .LBB5_90
.LBB5_86:                               ;   Parent Loop BB5_47 Depth=1
                                        ; =>  This Inner Loop Header: Depth=2
	s_add_i32 s68, s68, 1
	s_cmpk_lg_i32 s68, 0x2710
	s_cselect_b64 s[64:65], -1, 0
	s_and_b64 vcc, exec, s[64:65]
                                        ; implicit-def: $sgpr66_sgpr67
	s_cbranch_vccnz .LBB5_88
; %bb.87:                               ;   in Loop: Header=BB5_86 Depth=2
	s_trap 2
	ds_read_b64 v[0:1], v0
	s_andn2_b64 s[64:65], s[64:65], exec
	s_mov_b32 s68, 0
	s_mov_b64 s[66:67], -1
	s_waitcnt lgkmcnt(0)
	flat_load_dword v0, v[0:1] sc0 sc1
	s_waitcnt vmcnt(0) lgkmcnt(0)
	buffer_inv sc0 sc1
	v_cmp_eq_u32_e32 vcc, 0, v0
	s_and_b64 vcc, vcc, exec
	s_or_b64 s[64:65], s[64:65], vcc
.LBB5_88:                               ;   in Loop: Header=BB5_86 Depth=2
	s_andn2_b64 s[62:63], s[62:63], exec
	s_and_b64 s[66:67], s[66:67], exec
	s_mov_b64 vcc, -1
	s_or_b64 s[62:63], s[62:63], s[66:67]
	s_and_saveexec_b64 s[66:67], s[64:65]
	s_cbranch_execz .LBB5_85
; %bb.89:                               ;   in Loop: Header=BB5_86 Depth=2
	s_sleep 1
	s_trap 2
	ds_read_b64 v[0:1], v0
	s_andn2_b64 s[62:63], s[62:63], exec
	s_waitcnt lgkmcnt(0)
	v_cmp_ge_u64_e32 vcc, v[0:1], v[12:13]
	s_orn2_b64 vcc, vcc, exec
	s_branch .LBB5_85
.LBB5_90:                               ;   in Loop: Header=BB5_47 Depth=1
	s_or_b64 exec, exec, s[58:59]
	s_and_saveexec_b64 vcc, s[60:61]
	s_xor_b64 vcc, exec, vcc
	s_cbranch_execz .LBB5_92
; %bb.91:                               ;   in Loop: Header=BB5_47 Depth=1
	ds_write_b32 v0, v25
	s_trap 2
.LBB5_92:                               ;   in Loop: Header=BB5_47 Depth=1
	s_or_b64 exec, exec, s[56:57]
	;;#ASMSTART
	s_wakeup
	;;#ASMEND
.LBB5_93:                               ;   in Loop: Header=BB5_47 Depth=1
	s_or_b64 exec, exec, s[54:55]
.LBB5_94:                               ;   in Loop: Header=BB5_47 Depth=1
	s_andn2_saveexec_b64 vcc, s[30:31]
	s_cbranch_execz .LBB5_96
; %bb.95:                               ;   in Loop: Header=BB5_47 Depth=1
	s_waitcnt lgkmcnt(0)
	s_barrier
.LBB5_96:                               ;   in Loop: Header=BB5_47 Depth=1
	s_or_b64 exec, exec, vcc
.LBB5_97:                               ;   in Loop: Header=BB5_47 Depth=1
	s_or_b64 exec, exec, s[24:25]
	s_trap 2
	ds_read_b32 v0, v0
	v_and_b32_e32 v1, 0x4000, v62
	v_cmp_ne_u32_e32 vcc, 0, v1
	s_xor_b64 s[24:25], s[4:5], -1
	s_and_b64 vcc, s[24:25], vcc
	s_and_saveexec_b64 s[24:25], vcc
	s_cbranch_execz .LBB5_116
; %bb.98:                               ;   in Loop: Header=BB5_47 Depth=1
	s_and_saveexec_b64 vcc, s[40:41]
	s_xor_b64 s[30:31], exec, vcc
	s_cbranch_execz .LBB5_113
; %bb.99:                               ;   in Loop: Header=BB5_47 Depth=1
	s_and_saveexec_b64 s[54:55], s[14:15]
	s_cbranch_execz .LBB5_112
; %bb.100:                              ;   in Loop: Header=BB5_47 Depth=1
	s_mov_b64 s[58:59], exec
	v_mbcnt_lo_u32_b32 v1, s58, 0
	v_mbcnt_hi_u32_b32 v1, s59, v1
	v_cmp_eq_u32_e32 vcc, 0, v1
	s_waitcnt lgkmcnt(0)
	s_and_saveexec_b64 s[56:57], vcc
	s_cbranch_execz .LBB5_102
; %bb.101:                              ;   in Loop: Header=BB5_47 Depth=1
	s_bcnt1_i32_b64 vcc_lo, s[58:59]
	v_mov_b32_e32 v2, vcc_lo
	ds_add_u64 v0, v[2:3]
	s_trap 2
.LBB5_102:                              ;   in Loop: Header=BB5_47 Depth=1
	s_or_b64 exec, exec, s[56:57]
	s_trap 2
	ds_read_b64 v[4:5], v0
	v_lshl_add_u64 v[12:13], v[12:13], 0, v[34:35]
	s_waitcnt lgkmcnt(0)
	v_cmp_lt_u64_e32 vcc, v[4:5], v[12:13]
	s_and_saveexec_b64 s[56:57], vcc
	s_cbranch_execz .LBB5_111
; %bb.103:                              ;   in Loop: Header=BB5_47 Depth=1
	s_mov_b32 s68, 0
	s_mov_b64 s[58:59], 0
                                        ; implicit-def: $sgpr60_sgpr61
                                        ; implicit-def: $sgpr62_sgpr63
	s_branch .LBB5_105
.LBB5_104:                              ;   in Loop: Header=BB5_105 Depth=2
	s_or_b64 exec, exec, s[66:67]
	s_and_b64 vcc, exec, vcc
	s_or_b64 s[58:59], vcc, s[58:59]
	s_andn2_b64 vcc, s[60:61], exec
	s_and_b64 s[60:61], s[62:63], exec
	s_or_b64 s[60:61], vcc, s[60:61]
	s_andn2_b64 exec, exec, s[58:59]
	s_cbranch_execz .LBB5_109
.LBB5_105:                              ;   Parent Loop BB5_47 Depth=1
                                        ; =>  This Inner Loop Header: Depth=2
	s_add_i32 s68, s68, 1
	s_cmpk_lg_i32 s68, 0x2710
	s_cselect_b64 s[64:65], -1, 0
	s_and_b64 vcc, exec, s[64:65]
                                        ; implicit-def: $sgpr66_sgpr67
	s_cbranch_vccnz .LBB5_107
; %bb.106:                              ;   in Loop: Header=BB5_105 Depth=2
	s_trap 2
	ds_read_b64 v[4:5], v0
	s_andn2_b64 s[64:65], s[64:65], exec
	s_mov_b32 s68, 0
	s_mov_b64 s[66:67], -1
	s_waitcnt lgkmcnt(0)
	flat_load_dword v1, v[4:5] sc0 sc1
	s_waitcnt vmcnt(0) lgkmcnt(0)
	buffer_inv sc0 sc1
	v_cmp_eq_u32_e32 vcc, 0, v1
	s_and_b64 vcc, vcc, exec
	s_or_b64 s[64:65], s[64:65], vcc
.LBB5_107:                              ;   in Loop: Header=BB5_105 Depth=2
	s_andn2_b64 s[62:63], s[62:63], exec
	s_and_b64 s[66:67], s[66:67], exec
	s_mov_b64 vcc, -1
	s_or_b64 s[62:63], s[62:63], s[66:67]
	s_and_saveexec_b64 s[66:67], s[64:65]
	s_cbranch_execz .LBB5_104
; %bb.108:                              ;   in Loop: Header=BB5_105 Depth=2
	s_sleep 1
	s_trap 2
	ds_read_b64 v[4:5], v0
	s_andn2_b64 s[62:63], s[62:63], exec
	s_waitcnt lgkmcnt(0)
	v_cmp_ge_u64_e32 vcc, v[4:5], v[12:13]
	s_orn2_b64 vcc, vcc, exec
	s_branch .LBB5_104
.LBB5_109:                              ;   in Loop: Header=BB5_47 Depth=1
	s_or_b64 exec, exec, s[58:59]
	s_and_saveexec_b64 vcc, s[60:61]
	s_xor_b64 vcc, exec, vcc
	s_cbranch_execz .LBB5_111
; %bb.110:                              ;   in Loop: Header=BB5_47 Depth=1
	ds_write_b32 v0, v25
	s_trap 2
.LBB5_111:                              ;   in Loop: Header=BB5_47 Depth=1
	s_or_b64 exec, exec, s[56:57]
	;;#ASMSTART
	s_wakeup
	;;#ASMEND
.LBB5_112:                              ;   in Loop: Header=BB5_47 Depth=1
	s_or_b64 exec, exec, s[54:55]
.LBB5_113:                              ;   in Loop: Header=BB5_47 Depth=1
	s_andn2_saveexec_b64 vcc, s[30:31]
	s_cbranch_execz .LBB5_115
; %bb.114:                              ;   in Loop: Header=BB5_47 Depth=1
	s_waitcnt lgkmcnt(0)
	s_barrier
.LBB5_115:                              ;   in Loop: Header=BB5_47 Depth=1
	s_or_b64 exec, exec, vcc
.LBB5_116:                              ;   in Loop: Header=BB5_47 Depth=1
	s_or_b64 exec, exec, s[24:25]
	s_trap 2
	s_waitcnt lgkmcnt(0)
	ds_read_b64 v[4:5], v0
	s_waitcnt lgkmcnt(0)
	v_readfirstlane_b32 s24, v4
	v_readfirstlane_b32 s25, v5
	s_cmp_eq_u64 s[24:25], 0
	s_cselect_b64 s[24:25], -1, 0
	s_or_b64 vcc, s[24:25], s[24:25]
	s_mov_b64 s[24:25], 0
	s_and_b64 vcc, exec, vcc
	s_cbranch_vccnz .LBB5_123
; %bb.117:                              ;   in Loop: Header=BB5_47 Depth=1
	s_mov_b64 s[24:25], -1
	s_and_saveexec_b64 s[30:31], s[16:17]
	s_cbranch_execz .LBB5_119
; %bb.118:                              ;   in Loop: Header=BB5_47 Depth=1
	ds_read_b32 v1, v0 offset:720
	s_waitcnt lgkmcnt(0)
	v_and_b32_e32 v1, 15, v1
	v_cmp_eq_u32_e32 vcc, 0, v1
	s_orn2_b64 s[24:25], vcc, exec
.LBB5_119:                              ;   in Loop: Header=BB5_47 Depth=1
	s_or_b64 exec, exec, s[30:31]
	s_and_saveexec_b64 s[30:31], s[18:19]
	s_cbranch_execz .LBB5_121
; %bb.120:                              ;   in Loop: Header=BB5_47 Depth=1
	ds_read_b32 v1, v0 offset:784
	s_waitcnt lgkmcnt(0)
	v_and_b32_e32 v1, 15, v1
	v_cmp_eq_u32_e32 vcc, 0, v1
	s_and_b64 vcc, s[24:25], vcc
	s_andn2_b64 s[24:25], s[24:25], exec
	s_and_b64 vcc, vcc, exec
	s_or_b64 s[24:25], s[24:25], vcc
.LBB5_121:                              ;   in Loop: Header=BB5_47 Depth=1
	s_or_b64 exec, exec, s[30:31]
	v_cmp_eq_u32_e32 vcc, 0, v0
	s_xor_b64 s[24:25], s[24:25], -1
	v_cndmask_b32_e64 v0, 0, 1, s[24:25]
	v_cndmask_b32_e32 v2, 0, v8, vcc
	v_mov_b32_e32 v1, 0
	v_lshlrev_b32_e32 v9, 1, v2
	s_mov_b64 s[54:55], -1
	;;#ASMSTART
	;;#ASMEND
	s_nop 0
	v_cmp_ne_u32_e32 vcc, 0, v0
	s_cbranch_vccz .LBB5_129
; %bb.122:                              ;   in Loop: Header=BB5_47 Depth=1
	v_mov_b32_e32 v0, v59
	v_mov_b32_e32 v10, v58
	s_and_saveexec_b64 s[24:25], s[54:55]
	s_cbranch_execnz .LBB5_142
	s_branch .LBB5_150
.LBB5_123:                              ;   in Loop: Header=BB5_47 Depth=1
	s_and_saveexec_b64 s[30:31], s[6:7]
	s_cbranch_execnz .LBB5_151
.LBB5_124:                              ;   in Loop: Header=BB5_47 Depth=1
	s_or_b64 exec, exec, s[30:31]
                                        ; implicit-def: $vgpr0
	s_and_saveexec_b64 vcc, s[22:23]
	s_xor_b64 s[30:31], exec, vcc
	s_cbranch_execz .LBB5_169
.LBB5_125:                              ;   in Loop: Header=BB5_47 Depth=1
	v_and_b32_e32 v1, 16, v62
	v_cmp_ne_u32_e32 vcc, 0, v1
	v_and_b32_e32 v0, 16, v62
	s_and_b64 vcc, vcc, s[24:25]
	s_and_saveexec_b64 s[24:25], vcc
	s_cbranch_execz .LBB5_127
; %bb.126:                              ;   in Loop: Header=BB5_47 Depth=1
	v_mov_b32_e32 v0, 1
	buffer_wbl2 sc1
	s_waitcnt vmcnt(0) lgkmcnt(0)
	buffer_inv sc1
.LBB5_127:                              ;   in Loop: Header=BB5_47 Depth=1
	s_or_b64 exec, exec, s[24:25]
	s_andn2_saveexec_b64 s[24:25], s[30:31]
	s_cbranch_execnz .LBB5_170
.LBB5_128:                              ;   in Loop: Header=BB5_47 Depth=1
	s_or_b64 exec, exec, s[24:25]
	v_cmp_ne_u32_e32 vcc, 0, v0
	s_and_saveexec_b64 s[24:25], vcc
	s_cbranch_execnz .LBB5_188
	s_branch .LBB5_191
.LBB5_129:                              ;   in Loop: Header=BB5_47 Depth=1
	v_ashrrev_i32_e32 v0, 31, v9
	v_lshrrev_b32_e32 v0, 21, v0
	v_add_u32_e32 v0, v9, v0
	v_ashrrev_i32_e32 v0, 11, v0
	v_sub_u32_e32 v15, v0, v58
	v_cmp_lt_i32_e32 vcc, 0, v15
	s_and_saveexec_b64 s[24:25], vcc
	s_cbranch_execz .LBB5_133
; %bb.130:                              ;   in Loop: Header=BB5_47 Depth=1
	s_trap 2
	ds_read_b64 v[4:5], v0
	v_accvgpr_read_b32 v10, a36
	s_mov_b64 s[30:31], 0
	v_accvgpr_read_b32 v11, a37
.LBB5_131:                              ;   Parent Loop BB5_47 Depth=1
                                        ; =>  This Inner Loop Header: Depth=2
	s_waitcnt lgkmcnt(0)
	v_lshl_add_u64 v[6:7], v[4:5], 0, v[10:11]
	global_load_dwordx4 v[46:49], v[6:7], off nt
	global_load_dwordx4 v[16:19], v[6:7], off offset:1024 nt
	v_sub_u32_e32 v15, v15, v34
	v_cmp_gt_i32_e32 vcc, 1, v15
	v_lshl_add_u64 v[10:11], v[10:11], 0, v[26:27]
	s_or_b64 s[30:31], vcc, s[30:31]
	s_waitcnt vmcnt(0)
	global_store_dwordx4 v[6:7], v[46:49], off nt
	s_waitcnt vmcnt(1)
	global_store_dwordx4 v[6:7], v[16:19], off offset:1024 nt
	s_andn2_b64 exec, exec, s[30:31]
	s_cbranch_execnz .LBB5_131
; %bb.132:                              ;   in Loop: Header=BB5_47 Depth=1
	s_or_b64 exec, exec, s[30:31]
	v_accvgpr_read_b32 v49, a17
	v_accvgpr_read_b32 v47, a25
	;; [unrolled: 1-line block ×4, first 2 shown]
.LBB5_133:                              ;   in Loop: Header=BB5_47 Depth=1
	s_or_b64 exec, exec, s[24:25]
	v_lshlrev_b32_e32 v14, 11, v0
	v_cmp_ne_u32_e32 vcc, v9, v14
	s_mov_b64 s[54:55], 0
	v_mov_b32_e32 v1, 0
                                        ; implicit-def: $vgpr0
                                        ; implicit-def: $vgpr10
	s_and_saveexec_b64 s[30:31], vcc
	s_cbranch_execz .LBB5_141
; %bb.134:                              ;   in Loop: Header=BB5_47 Depth=1
	v_lshlrev_b32_e32 v0, 6, v15
	v_accvgpr_read_b32 v1, a34
	v_sub_u32_e32 v0, v1, v0
	v_sub_u32_e32 v4, v9, v14
	v_ashrrev_i32_e32 v1, 31, v0
	v_lshrrev_b32_e32 v1, 26, v1
	v_ashrrev_i32_e32 v6, 31, v4
	v_add_u32_e32 v1, v0, v1
	v_lshrrev_b32_e32 v6, 22, v6
	v_ashrrev_i32_e32 v5, 6, v1
	v_and_b32_e32 v1, 0xffffffc0, v1
	v_add_u32_e32 v6, v4, v6
	v_sub_u32_e32 v15, v0, v1
	v_and_b32_e32 v17, 0xfffffc00, v6
	v_lshlrev_b32_e32 v0, 4, v15
	v_sub_u32_e32 v19, v4, v17
	v_lshl_add_u32 v1, v5, 10, v0
	v_ashrrev_i32_e32 v7, 10, v6
	v_cmp_lt_i32_e32 vcc, 15, v19
	v_sub_u32_e32 v0, v4, v1
	s_nop 0
	v_addc_co_u32_e64 v4, s[24:25], 0, v7, vcc
	v_sub_u32_e32 v18, v4, v5
	v_cmp_lt_i32_e64 s[24:25], 15, v0
	s_and_saveexec_b64 s[54:55], s[24:25]
	s_cbranch_execz .LBB5_138
; %bb.135:                              ;   in Loop: Header=BB5_47 Depth=1
	s_trap 2
	ds_read_b64 v[4:5], v0
	v_add_u32_e32 v10, v1, v14
	v_ashrrev_i32_e32 v11, 31, v10
	s_mov_b64 s[56:57], 0
.LBB5_136:                              ;   Parent Loop BB5_47 Depth=1
                                        ; =>  This Inner Loop Header: Depth=2
	s_waitcnt lgkmcnt(0)
	v_lshl_add_u64 v[6:7], v[4:5], 0, v[10:11]
	global_load_dwordx4 v[46:49], v[6:7], off nt
	v_sub_u32_e32 v0, v0, v38
	v_cmp_gt_i32_e64 s[24:25], 16, v0
	v_sub_u32_e32 v18, v18, v34
	v_lshl_add_u64 v[10:11], v[10:11], 0, v[42:43]
	s_or_b64 s[56:57], s[24:25], s[56:57]
	s_waitcnt vmcnt(0)
	global_store_dwordx4 v[6:7], v[46:49], off nt
	s_andn2_b64 exec, exec, s[56:57]
	s_cbranch_execnz .LBB5_136
; %bb.137:                              ;   in Loop: Header=BB5_47 Depth=1
	s_or_b64 exec, exec, s[56:57]
	v_accvgpr_read_b32 v49, a17
	v_accvgpr_read_b32 v47, a25
	;; [unrolled: 1-line block ×4, first 2 shown]
.LBB5_138:                              ;   in Loop: Header=BB5_47 Depth=1
	s_or_b64 exec, exec, s[54:55]
	v_and_b32_e32 v4, 14, v9
	v_cndmask_b32_e32 v9, v19, v4, vcc
	v_cmp_ne_u32_e64 s[24:25], 0, v9
	s_mov_b64 s[54:55], 0
	v_mov_b32_e32 v1, 0
                                        ; implicit-def: $vgpr0
                                        ; implicit-def: $vgpr10
	s_and_saveexec_b64 s[56:57], s[24:25]
	s_cbranch_execz .LBB5_140
; %bb.139:                              ;   in Loop: Header=BB5_47 Depth=1
	v_sub_u32_e32 v0, v19, v4
	v_cndmask_b32_e32 v0, 0, v0, vcc
	v_cmp_lt_i32_e32 vcc, 0, v18
	v_add3_u32 v1, v17, v14, v0
	s_mov_b64 s[54:55], exec
	v_cndmask_b32_e32 v0, 0, v34, vcc
	v_sub_u32_e32 v0, v0, v18
	v_lshl_add_u32 v0, v0, 6, v15
	v_ashrrev_i32_e32 v4, 31, v0
	v_lshrrev_b32_e32 v4, 26, v4
	v_add_u32_e32 v4, v0, v4
	v_ashrrev_i32_e32 v10, 6, v4
.LBB5_140:                              ;   in Loop: Header=BB5_47 Depth=1
	s_or_b64 exec, exec, s[56:57]
	s_and_b64 s[54:55], s[54:55], exec
.LBB5_141:                              ;   in Loop: Header=BB5_47 Depth=1
	s_or_b64 exec, exec, s[30:31]
	s_and_saveexec_b64 s[24:25], s[54:55]
	s_cbranch_execz .LBB5_150
.LBB5_142:                              ;   in Loop: Header=BB5_47 Depth=1
	v_ashrrev_i32_e32 v4, 31, v9
	v_lshrrev_b32_e32 v4, 23, v4
	v_add_u32_e32 v4, v9, v4
	v_ashrrev_i32_e32 v19, 9, v4
	v_sub_u32_e32 v17, v19, v10
	v_ashrrev_i32_e32 v4, 31, v0
	v_cmp_lt_i32_e32 vcc, 0, v17
	v_lshrrev_b32_e32 v18, 26, v4
	s_and_saveexec_b64 s[30:31], vcc
	s_cbranch_execz .LBB5_146
; %bb.143:                              ;   in Loop: Header=BB5_47 Depth=1
	s_trap 2
	ds_read_b64 v[4:5], v0
	v_add_u32_e32 v6, v0, v18
	v_and_b32_e32 v6, 0x7fffffc0, v6
	v_sub_u32_e32 v6, v0, v6
	v_lshlrev_b32_e32 v6, 1, v6
	v_lshlrev_b32_e32 v7, 9, v10
	v_add3_u32 v10, v6, v1, v7
	v_ashrrev_i32_e32 v11, 31, v10
	s_mov_b64 s[54:55], 0
	s_waitcnt lgkmcnt(0)
	v_mov_b64_e32 v[14:15], v[4:5]
.LBB5_144:                              ;   Parent Loop BB5_47 Depth=1
                                        ; =>  This Inner Loop Header: Depth=2
	v_lshl_add_u64 v[6:7], v[10:11], 0, v[14:15]
	flat_load_ushort v16, v[6:7] nt
	flat_load_ushort v26, v[6:7] offset:128 nt
	flat_load_ushort v27, v[6:7] offset:256 nt
	flat_load_ushort v28, v[6:7] offset:384 nt
	v_sub_u32_e32 v17, v17, v34
	v_cmp_gt_i32_e32 vcc, 1, v17
	v_lshl_add_u64 v[6:7], v[10:11], 0, v[4:5]
	v_lshl_add_u64 v[14:15], v[14:15], 0, v[40:41]
	;; [unrolled: 1-line block ×3, first 2 shown]
	s_or_b64 s[54:55], vcc, s[54:55]
	s_waitcnt vmcnt(0) lgkmcnt(0)
	flat_store_short v[6:7], v16 nt
	flat_store_short v[6:7], v26 offset:128 nt
	flat_store_short v[6:7], v27 offset:256 nt
	;; [unrolled: 1-line block ×3, first 2 shown]
	s_andn2_b64 exec, exec, s[54:55]
	s_cbranch_execnz .LBB5_144
; %bb.145:                              ;   in Loop: Header=BB5_47 Depth=1
	s_or_b64 exec, exec, s[54:55]
	v_accvgpr_read_b32 v28, a28
	v_accvgpr_read_b32 v26, a30
	;; [unrolled: 1-line block ×4, first 2 shown]
.LBB5_146:                              ;   in Loop: Header=BB5_47 Depth=1
	s_or_b64 exec, exec, s[30:31]
	v_lshlrev_b32_e32 v4, 9, v19
	v_cmp_ne_u32_e32 vcc, v9, v4
	s_and_b64 exec, exec, vcc
	s_cbranch_execz .LBB5_150
; %bb.147:                              ;   in Loop: Header=BB5_47 Depth=1
	v_add_u32_e32 v5, v0, v18
	v_and_b32_e32 v5, 0xffffffc0, v5
	v_sub_u32_e32 v0, v0, v5
	v_lshlrev_b32_e32 v5, 6, v17
	v_sub_u32_e32 v0, v0, v5
	v_ashrrev_i32_e32 v5, 31, v0
	v_lshrrev_b32_e32 v5, 26, v5
	v_add_u32_e32 v5, v0, v5
	v_and_b32_e32 v6, 0x7fffffc0, v5
	v_sub_u32_e32 v0, v0, v6
	v_lshlrev_b32_e32 v5, 1, v5
	v_and_b32_e32 v5, 0xffffff80, v5
	v_lshlrev_b32_e32 v0, 1, v0
	v_add3_u32 v10, v5, v0, v4
	v_sub_u32_e32 v0, v9, v10
	v_cmp_lt_i32_e32 vcc, 1, v0
	s_and_b64 exec, exec, vcc
	s_cbranch_execz .LBB5_150
; %bb.148:                              ;   in Loop: Header=BB5_47 Depth=1
	s_trap 2
	ds_read_b64 v[4:5], v0
	v_add_u32_e32 v10, v10, v1
	v_ashrrev_i32_e32 v11, 31, v10
	s_mov_b64 s[30:31], 0
.LBB5_149:                              ;   Parent Loop BB5_47 Depth=1
                                        ; =>  This Inner Loop Header: Depth=2
	s_waitcnt lgkmcnt(0)
	v_lshl_add_u64 v[6:7], v[4:5], 0, v[10:11]
	flat_load_ushort v1, v[6:7] nt
	v_sub_u32_e32 v0, v0, v24
	v_cmp_gt_i32_e32 vcc, 2, v0
	v_lshl_add_u64 v[10:11], v[10:11], 0, v[44:45]
	s_or_b64 s[30:31], vcc, s[30:31]
	s_waitcnt vmcnt(0) lgkmcnt(0)
	flat_store_short v[6:7], v1 nt
	s_andn2_b64 exec, exec, s[30:31]
	s_cbranch_execnz .LBB5_149
.LBB5_150:                              ;   in Loop: Header=BB5_47 Depth=1
	s_or_b64 exec, exec, s[24:25]
	v_cmp_lt_i32_e64 s[24:25], 0, v2
	s_and_saveexec_b64 s[30:31], s[6:7]
	s_cbranch_execz .LBB5_124
.LBB5_151:                              ;   in Loop: Header=BB5_47 Depth=1
	s_and_saveexec_b64 vcc, s[40:41]
	s_xor_b64 s[54:55], exec, vcc
	s_cbranch_execz .LBB5_166
; %bb.152:                              ;   in Loop: Header=BB5_47 Depth=1
	s_and_saveexec_b64 s[56:57], s[14:15]
	s_cbranch_execz .LBB5_165
; %bb.153:                              ;   in Loop: Header=BB5_47 Depth=1
	s_mov_b64 s[60:61], exec
	v_mbcnt_lo_u32_b32 v0, s60, 0
	v_mbcnt_hi_u32_b32 v0, s61, v0
	v_cmp_eq_u32_e32 vcc, 0, v0
	s_waitcnt lgkmcnt(0)
	s_and_saveexec_b64 s[58:59], vcc
	s_cbranch_execz .LBB5_155
; %bb.154:                              ;   in Loop: Header=BB5_47 Depth=1
	s_bcnt1_i32_b64 vcc_lo, s[60:61]
	v_mov_b32_e32 v2, vcc_lo
	ds_add_u64 v0, v[2:3]
	s_trap 2
.LBB5_155:                              ;   in Loop: Header=BB5_47 Depth=1
	s_or_b64 exec, exec, s[58:59]
	s_trap 2
	ds_read_b64 v[0:1], v0
	v_lshl_add_u64 v[12:13], v[12:13], 0, v[34:35]
	s_waitcnt lgkmcnt(0)
	v_cmp_lt_u64_e32 vcc, v[0:1], v[12:13]
	s_and_saveexec_b64 s[58:59], vcc
	s_cbranch_execz .LBB5_164
; %bb.156:                              ;   in Loop: Header=BB5_47 Depth=1
	s_mov_b32 s70, 0
	s_mov_b64 s[60:61], 0
                                        ; implicit-def: $sgpr62_sgpr63
                                        ; implicit-def: $sgpr64_sgpr65
	s_branch .LBB5_158
.LBB5_157:                              ;   in Loop: Header=BB5_158 Depth=2
	s_or_b64 exec, exec, s[68:69]
	s_and_b64 vcc, exec, vcc
	s_or_b64 s[60:61], vcc, s[60:61]
	s_andn2_b64 vcc, s[62:63], exec
	s_and_b64 s[62:63], s[64:65], exec
	s_or_b64 s[62:63], vcc, s[62:63]
	s_andn2_b64 exec, exec, s[60:61]
	s_cbranch_execz .LBB5_162
.LBB5_158:                              ;   Parent Loop BB5_47 Depth=1
                                        ; =>  This Inner Loop Header: Depth=2
	s_add_i32 s70, s70, 1
	s_cmpk_lg_i32 s70, 0x2710
	s_cselect_b64 s[66:67], -1, 0
	s_and_b64 vcc, exec, s[66:67]
                                        ; implicit-def: $sgpr68_sgpr69
	s_cbranch_vccnz .LBB5_160
; %bb.159:                              ;   in Loop: Header=BB5_158 Depth=2
	s_trap 2
	ds_read_b64 v[0:1], v0
	s_andn2_b64 s[66:67], s[66:67], exec
	s_mov_b32 s70, 0
	s_mov_b64 s[68:69], -1
	s_waitcnt vmcnt(0) lgkmcnt(0)
	flat_load_dword v0, v[0:1] sc0 sc1
	s_waitcnt vmcnt(0) lgkmcnt(0)
	buffer_inv sc0 sc1
	v_cmp_eq_u32_e32 vcc, 0, v0
	s_and_b64 vcc, vcc, exec
	s_or_b64 s[66:67], s[66:67], vcc
.LBB5_160:                              ;   in Loop: Header=BB5_158 Depth=2
	s_andn2_b64 s[64:65], s[64:65], exec
	s_and_b64 s[68:69], s[68:69], exec
	s_mov_b64 vcc, -1
	s_or_b64 s[64:65], s[64:65], s[68:69]
	s_and_saveexec_b64 s[68:69], s[66:67]
	s_cbranch_execz .LBB5_157
; %bb.161:                              ;   in Loop: Header=BB5_158 Depth=2
	s_sleep 1
	s_trap 2
	ds_read_b64 v[0:1], v0
	s_andn2_b64 s[64:65], s[64:65], exec
	s_waitcnt lgkmcnt(0)
	v_cmp_ge_u64_e32 vcc, v[0:1], v[12:13]
	s_orn2_b64 vcc, vcc, exec
	s_branch .LBB5_157
.LBB5_162:                              ;   in Loop: Header=BB5_47 Depth=1
	s_or_b64 exec, exec, s[60:61]
	s_and_saveexec_b64 vcc, s[62:63]
	s_xor_b64 vcc, exec, vcc
	s_cbranch_execz .LBB5_164
; %bb.163:                              ;   in Loop: Header=BB5_47 Depth=1
	ds_write_b32 v0, v25
	s_trap 2
.LBB5_164:                              ;   in Loop: Header=BB5_47 Depth=1
	s_or_b64 exec, exec, s[58:59]
	;;#ASMSTART
	s_wakeup
	;;#ASMEND
.LBB5_165:                              ;   in Loop: Header=BB5_47 Depth=1
	s_or_b64 exec, exec, s[56:57]
.LBB5_166:                              ;   in Loop: Header=BB5_47 Depth=1
	s_andn2_saveexec_b64 vcc, s[54:55]
	s_cbranch_execz .LBB5_168
; %bb.167:                              ;   in Loop: Header=BB5_47 Depth=1
	s_waitcnt lgkmcnt(0)
	s_barrier
.LBB5_168:                              ;   in Loop: Header=BB5_47 Depth=1
	s_or_b64 exec, exec, vcc
	s_or_b64 exec, exec, s[30:31]
                                        ; implicit-def: $vgpr0
	s_and_saveexec_b64 vcc, s[22:23]
	s_xor_b64 s[30:31], exec, vcc
	s_cbranch_execnz .LBB5_125
.LBB5_169:                              ;   in Loop: Header=BB5_47 Depth=1
	s_andn2_saveexec_b64 s[24:25], s[30:31]
	s_cbranch_execz .LBB5_128
.LBB5_170:                              ;   in Loop: Header=BB5_47 Depth=1
	s_and_saveexec_b64 vcc, s[40:41]
	s_xor_b64 s[30:31], exec, vcc
	s_cbranch_execz .LBB5_185
; %bb.171:                              ;   in Loop: Header=BB5_47 Depth=1
	s_and_saveexec_b64 s[54:55], s[14:15]
	s_cbranch_execz .LBB5_184
; %bb.172:                              ;   in Loop: Header=BB5_47 Depth=1
	s_mov_b64 s[58:59], exec
	v_mbcnt_lo_u32_b32 v0, s58, 0
	v_mbcnt_hi_u32_b32 v0, s59, v0
	v_cmp_eq_u32_e32 vcc, 0, v0
	;;#ASMSTART
	s_waitcnt lgkmcnt(0) vmcnt(0)
	;;#ASMEND
	s_and_saveexec_b64 s[56:57], vcc
	s_cbranch_execz .LBB5_174
; %bb.173:                              ;   in Loop: Header=BB5_47 Depth=1
	s_bcnt1_i32_b64 vcc_lo, s[58:59]
	v_mov_b32_e32 v2, vcc_lo
	ds_add_u64 v0, v[2:3]
	s_trap 2
.LBB5_174:                              ;   in Loop: Header=BB5_47 Depth=1
	s_or_b64 exec, exec, s[56:57]
	s_trap 2
	ds_read_b64 v[0:1], v0
	v_lshl_add_u64 v[12:13], v[12:13], 0, v[34:35]
	s_waitcnt lgkmcnt(0)
	v_cmp_lt_u64_e32 vcc, v[0:1], v[12:13]
	s_and_saveexec_b64 s[56:57], vcc
	s_cbranch_execz .LBB5_183
; %bb.175:                              ;   in Loop: Header=BB5_47 Depth=1
	s_mov_b32 s68, 0
	s_mov_b64 s[58:59], 0
                                        ; implicit-def: $sgpr60_sgpr61
                                        ; implicit-def: $sgpr62_sgpr63
	s_branch .LBB5_177
.LBB5_176:                              ;   in Loop: Header=BB5_177 Depth=2
	s_or_b64 exec, exec, s[66:67]
	s_and_b64 vcc, exec, vcc
	s_or_b64 s[58:59], vcc, s[58:59]
	s_andn2_b64 vcc, s[60:61], exec
	s_and_b64 s[60:61], s[62:63], exec
	s_or_b64 s[60:61], vcc, s[60:61]
	s_andn2_b64 exec, exec, s[58:59]
	s_cbranch_execz .LBB5_181
.LBB5_177:                              ;   Parent Loop BB5_47 Depth=1
                                        ; =>  This Inner Loop Header: Depth=2
	s_add_i32 s68, s68, 1
	s_cmpk_lg_i32 s68, 0x2710
	s_cselect_b64 s[64:65], -1, 0
	s_and_b64 vcc, exec, s[64:65]
                                        ; implicit-def: $sgpr66_sgpr67
	s_cbranch_vccnz .LBB5_179
; %bb.178:                              ;   in Loop: Header=BB5_177 Depth=2
	s_trap 2
	ds_read_b64 v[0:1], v0
	s_andn2_b64 s[64:65], s[64:65], exec
	s_mov_b32 s68, 0
	s_mov_b64 s[66:67], -1
	s_waitcnt vmcnt(0) lgkmcnt(0)
	flat_load_dword v0, v[0:1] sc0 sc1
	s_waitcnt vmcnt(0) lgkmcnt(0)
	buffer_inv sc0 sc1
	v_cmp_eq_u32_e32 vcc, 0, v0
	s_and_b64 vcc, vcc, exec
	s_or_b64 s[64:65], s[64:65], vcc
.LBB5_179:                              ;   in Loop: Header=BB5_177 Depth=2
	s_andn2_b64 s[62:63], s[62:63], exec
	s_and_b64 s[66:67], s[66:67], exec
	s_mov_b64 vcc, -1
	s_or_b64 s[62:63], s[62:63], s[66:67]
	s_and_saveexec_b64 s[66:67], s[64:65]
	s_cbranch_execz .LBB5_176
; %bb.180:                              ;   in Loop: Header=BB5_177 Depth=2
	s_sleep 1
	s_trap 2
	ds_read_b64 v[0:1], v0
	s_andn2_b64 s[62:63], s[62:63], exec
	s_waitcnt lgkmcnt(0)
	v_cmp_ge_u64_e32 vcc, v[0:1], v[12:13]
	s_orn2_b64 vcc, vcc, exec
	s_branch .LBB5_176
.LBB5_181:                              ;   in Loop: Header=BB5_47 Depth=1
	s_or_b64 exec, exec, s[58:59]
	s_and_saveexec_b64 vcc, s[60:61]
	s_xor_b64 vcc, exec, vcc
	s_cbranch_execz .LBB5_183
; %bb.182:                              ;   in Loop: Header=BB5_47 Depth=1
	ds_write_b32 v0, v25
	s_trap 2
.LBB5_183:                              ;   in Loop: Header=BB5_47 Depth=1
	s_or_b64 exec, exec, s[56:57]
	;;#ASMSTART
	s_wakeup
	;;#ASMEND
.LBB5_184:                              ;   in Loop: Header=BB5_47 Depth=1
	s_or_b64 exec, exec, s[54:55]
.LBB5_185:                              ;   in Loop: Header=BB5_47 Depth=1
	s_andn2_saveexec_b64 vcc, s[30:31]
	s_cbranch_execz .LBB5_187
; %bb.186:                              ;   in Loop: Header=BB5_47 Depth=1
	;;#ASMSTART
	s_waitcnt lgkmcnt(0) vmcnt(0)
	;;#ASMEND
	s_barrier
.LBB5_187:                              ;   in Loop: Header=BB5_47 Depth=1
	s_or_b64 exec, exec, vcc
	v_and_b32_e32 v0, 16, v62
	s_or_b64 exec, exec, s[24:25]
	v_cmp_ne_u32_e32 vcc, 0, v0
	s_and_saveexec_b64 s[24:25], vcc
	s_cbranch_execz .LBB5_191
.LBB5_188:                              ;   in Loop: Header=BB5_47 Depth=1
	s_and_saveexec_b64 vcc, s[12:13]
	s_cbranch_execz .LBB5_190
; %bb.189:                              ;   in Loop: Header=BB5_47 Depth=1
	flat_store_dword v[48:49], v25 sc0 sc1
.LBB5_190:                              ;   in Loop: Header=BB5_47 Depth=1
	s_or_b64 exec, exec, vcc
	v_lshl_add_u64 v[20:21], v[20:21], 0, 4
	flat_store_dwordx2 v[22:23], v[20:21] sc0 sc1
.LBB5_191:                              ;   in Loop: Header=BB5_47 Depth=1
	s_or_b64 exec, exec, s[24:25]
	v_mov_b32_e32 v0, v8
.LBB5_192:                              ;   in Loop: Header=BB5_47 Depth=1
	s_or_b64 exec, exec, s[28:29]
	s_and_saveexec_b64 s[28:29], s[26:27]
	s_cbranch_execz .LBB5_262
; %bb.193:                              ;   in Loop: Header=BB5_47 Depth=1
	v_and_b32_e32 v1, 8, v62
	v_cmp_ne_u32_e32 vcc, 0, v1
	s_mov_b64 s[26:27], -1
	s_and_saveexec_b64 s[24:25], vcc
	s_cbranch_execz .LBB5_205
; %bb.194:                              ;   in Loop: Header=BB5_47 Depth=1
	v_lshl_add_u64 v[4:5], v[32:33], 0, 8
	v_lshl_add_u64 v[10:11], v[20:21], 0, 4
	v_cmp_lt_u64_e32 vcc, v[4:5], v[10:11]
	v_mov_b32_e32 v1, 1
	s_and_saveexec_b64 s[26:27], vcc
	s_cbranch_execz .LBB5_204
; %bb.195:                              ;   in Loop: Header=BB5_47 Depth=1
	s_mov_b64 s[30:31], 0
	v_mov_b32_e32 v1, 0
                                        ; implicit-def: $sgpr54_sgpr55
	s_branch .LBB5_199
.LBB5_196:                              ;   in Loop: Header=BB5_199 Depth=2
	s_or_b64 exec, exec, s[62:63]
	v_mov_b32_e32 v2, 0
	s_orn2_b64 s[60:61], s[60:61], exec
.LBB5_197:                              ;   in Loop: Header=BB5_199 Depth=2
	s_or_b64 exec, exec, s[58:59]
	s_andn2_b64 vcc, s[54:55], exec
	s_and_b64 s[54:55], s[60:61], exec
	s_or_b64 s[54:55], vcc, s[54:55]
	v_mov_b32_e32 v1, v2
.LBB5_198:                              ;   in Loop: Header=BB5_199 Depth=2
	s_or_b64 exec, exec, s[56:57]
	s_waitcnt vmcnt(0) lgkmcnt(0)
	v_lshl_add_u64 v[4:5], v[32:33], 0, 8
	v_cmp_ge_u64_e32 vcc, v[4:5], v[10:11]
	s_xor_b64 s[56:57], s[54:55], -1
	s_or_b64 vcc, s[56:57], vcc
	s_and_b64 vcc, exec, vcc
	s_or_b64 s[30:31], vcc, s[30:31]
	s_andn2_b64 exec, exec, s[30:31]
	s_cbranch_execz .LBB5_203
.LBB5_199:                              ;   Parent Loop BB5_47 Depth=1
                                        ; =>  This Inner Loop Header: Depth=2
	s_sleep 1
	flat_load_dwordx2 v[32:33], v[22:23] sc0 sc1
	v_and_b32_e32 v2, 64, v62
	v_cmp_eq_u32_e32 vcc, 0, v2
	s_andn2_b64 s[54:55], s[54:55], exec
	s_and_saveexec_b64 s[56:57], vcc
	s_cbranch_execz .LBB5_198
; %bb.200:                              ;   in Loop: Header=BB5_199 Depth=2
	v_add_u32_e32 v2, 1, v1
	v_cmp_lt_i32_e32 vcc, s75, v1
	s_mov_b64 s[60:61], -1
	s_and_saveexec_b64 s[58:59], vcc
	s_cbranch_execz .LBB5_197
; %bb.201:                              ;   in Loop: Header=BB5_199 Depth=2
	s_trap 2
	ds_read_b64 v[4:5], v0
	s_waitcnt vmcnt(0) lgkmcnt(0)
	flat_load_dword v1, v[4:5] sc0 sc1
	s_waitcnt vmcnt(0) lgkmcnt(0)
	buffer_inv sc0 sc1
	v_cmp_ne_u32_e32 vcc, 0, v1
	s_and_saveexec_b64 s[62:63], vcc
	s_cbranch_execz .LBB5_196
; %bb.202:                              ;   in Loop: Header=BB5_199 Depth=2
	v_or_b32_e32 v62, 64, v62
	s_xor_b64 s[60:61], exec, -1
	ds_write_b32 v0, v1
	s_trap 2
	s_branch .LBB5_196
.LBB5_203:                              ;   in Loop: Header=BB5_47 Depth=1
	s_or_b64 exec, exec, s[30:31]
	v_and_b32_e32 v1, 8, v62
.LBB5_204:                              ;   in Loop: Header=BB5_47 Depth=1
	s_or_b64 exec, exec, s[26:27]
	v_cmp_eq_u32_e32 vcc, 0, v1
	s_orn2_b64 s[26:27], vcc, exec
	;;#ASMSTART
	s_wakeup
	;;#ASMEND
.LBB5_205:                              ;   in Loop: Header=BB5_47 Depth=1
	s_or_b64 exec, exec, s[24:25]
	v_sub_u32_e32 v0, v30, v0
	s_xor_b64 s[24:25], s[26:27], -1
	v_min_i32_e32 v8, v8, v0
	s_and_saveexec_b64 s[26:27], s[24:25]
	s_cbranch_execz .LBB5_220
; %bb.206:                              ;   in Loop: Header=BB5_47 Depth=1
	v_and_b32_e32 v0, 0x100, v62
	v_cmp_ne_u32_e32 vcc, 0, v0
	v_and_b32_e32 v0, 7, v20
	s_mov_b64 s[24:25], -1
                                        ; implicit-def: $vgpr4_vgpr5
	s_and_saveexec_b64 s[30:31], vcc
	s_cbranch_execz .LBB5_210
; %bb.207:                              ;   in Loop: Header=BB5_47 Depth=1
	v_mad_u64_u32 v[10:11], s[24:25], v0, 24, v[52:53]
	flat_load_dword v1, v[10:11]
	v_ashrrev_i32_e32 v9, 31, v8
	v_lshlrev_b64 v[4:5], 1, v[8:9]
	flat_store_dwordx2 v[10:11], v[4:5] offset:8
                                        ; implicit-def: $vgpr4_vgpr5
	s_waitcnt vmcnt(0) lgkmcnt(0)
	v_cmp_ne_u32_e32 vcc, 1, v1
	v_cmp_eq_u32_e64 s[24:25], 1, v1
	s_and_saveexec_b64 s[54:55], s[24:25]
	s_cbranch_execz .LBB5_209
; %bb.208:                              ;   in Loop: Header=BB5_47 Depth=1
	flat_load_dword v4, v[10:11] offset:4 sc0 sc1
	s_waitcnt vmcnt(0) lgkmcnt(0)
	v_ashrrev_i32_e32 v5, 31, v4
	v_lshrrev_b64 v[4:5], 1, v[4:5]
.LBB5_209:                              ;   in Loop: Header=BB5_47 Depth=1
	s_or_b64 exec, exec, s[54:55]
	s_orn2_b64 s[24:25], vcc, exec
.LBB5_210:                              ;   in Loop: Header=BB5_47 Depth=1
	s_or_b64 exec, exec, s[30:31]
	s_and_saveexec_b64 vcc, s[24:25]
; %bb.211:                              ;   in Loop: Header=BB5_47 Depth=1
	v_accvgpr_read_b32 v2, a32
	v_mad_i64_i32 v[4:5], s[24:25], v0, v2, 0
; %bb.212:                              ;   in Loop: Header=BB5_47 Depth=1
	s_or_b64 exec, exec, vcc
	v_lshl_add_u64 v[0:1], v[4:5], 1, v[60:61]
	ds_write_b64 v0, v[0:1] offset:784
	v_and_b32_e32 v0, 0x2000, v62
	v_cmp_ne_u32_e32 vcc, 0, v0
	s_and_saveexec_b64 s[24:25], vcc
	s_cbranch_execz .LBB5_214
; %bb.213:                              ;   in Loop: Header=BB5_47 Depth=1
	ds_read_b64 v[0:1], v0 offset:584
	s_waitcnt lgkmcnt(0)
	v_lshl_add_u64 v[0:1], v[0:1], 0, 1
	ds_write_b64 v0, v[0:1] offset:584
.LBB5_214:                              ;   in Loop: Header=BB5_47 Depth=1
	s_or_b64 exec, exec, s[24:25]
	v_lshl_add_u64 v[20:21], v[20:21], 0, 4
	s_or_b64 exec, exec, s[26:27]
	s_and_saveexec_b64 s[24:25], s[6:7]
	s_cbranch_execnz .LBB5_221
.LBB5_215:                              ;   in Loop: Header=BB5_47 Depth=1
	s_or_b64 exec, exec, s[24:25]
                                        ; implicit-def: $vgpr0
	s_and_saveexec_b64 s[24:25], s[22:23]
	s_xor_b64 s[24:25], exec, s[24:25]
	s_cbranch_execz .LBB5_239
.LBB5_216:                              ;   in Loop: Header=BB5_47 Depth=1
	s_trap 2
	ds_read_b32 v1, v0
	v_cmp_lt_i32_e32 vcc, 0, v8
	v_and_b32_e32 v2, 16, v62
	v_and_b32_e32 v0, 16, v62
	s_waitcnt lgkmcnt(0)
	v_readfirstlane_b32 s26, v1
	s_cmp_eq_u32 s26, 0
	s_cselect_b64 s[26:27], -1, 0
	s_and_b64 s[26:27], vcc, s[26:27]
	v_cmp_ne_u32_e32 vcc, 0, v2
	s_and_b64 vcc, vcc, s[26:27]
	s_and_saveexec_b64 s[26:27], vcc
	s_cbranch_execz .LBB5_218
; %bb.217:                              ;   in Loop: Header=BB5_47 Depth=1
	v_mov_b32_e32 v0, 1
	buffer_wbl2 sc1
	s_waitcnt vmcnt(0)
	buffer_inv sc1
.LBB5_218:                              ;   in Loop: Header=BB5_47 Depth=1
	s_or_b64 exec, exec, s[26:27]
	s_andn2_saveexec_b64 s[24:25], s[24:25]
	s_cbranch_execnz .LBB5_240
.LBB5_219:                              ;   in Loop: Header=BB5_47 Depth=1
	s_or_b64 exec, exec, s[24:25]
	v_cmp_ne_u32_e32 vcc, 0, v0
	s_and_saveexec_b64 s[24:25], vcc
	s_cbranch_execnz .LBB5_258
	s_branch .LBB5_261
.LBB5_220:                              ;   in Loop: Header=BB5_47 Depth=1
	s_or_b64 exec, exec, s[26:27]
	s_and_saveexec_b64 s[24:25], s[6:7]
	s_cbranch_execz .LBB5_215
.LBB5_221:                              ;   in Loop: Header=BB5_47 Depth=1
	s_and_saveexec_b64 s[26:27], s[40:41]
	s_xor_b64 s[26:27], exec, s[26:27]
	s_cbranch_execz .LBB5_236
; %bb.222:                              ;   in Loop: Header=BB5_47 Depth=1
	s_and_saveexec_b64 s[30:31], s[14:15]
	s_cbranch_execz .LBB5_235
; %bb.223:                              ;   in Loop: Header=BB5_47 Depth=1
	s_mov_b64 s[56:57], exec
	v_mbcnt_lo_u32_b32 v0, s56, 0
	v_mbcnt_hi_u32_b32 v0, s57, v0
	v_cmp_eq_u32_e32 vcc, 0, v0
	s_waitcnt lgkmcnt(0)
	s_and_saveexec_b64 s[54:55], vcc
	s_cbranch_execz .LBB5_225
; %bb.224:                              ;   in Loop: Header=BB5_47 Depth=1
	s_bcnt1_i32_b64 vcc_lo, s[56:57]
	v_mov_b32_e32 v2, vcc_lo
	ds_add_u64 v0, v[2:3]
	s_trap 2
.LBB5_225:                              ;   in Loop: Header=BB5_47 Depth=1
	s_or_b64 exec, exec, s[54:55]
	s_trap 2
	ds_read_b64 v[0:1], v0
	v_lshl_add_u64 v[12:13], v[12:13], 0, v[34:35]
	s_waitcnt lgkmcnt(0)
	v_cmp_lt_u64_e32 vcc, v[0:1], v[12:13]
	s_and_saveexec_b64 s[54:55], vcc
	s_cbranch_execz .LBB5_234
; %bb.226:                              ;   in Loop: Header=BB5_47 Depth=1
	s_mov_b32 s66, 0
	s_mov_b64 s[56:57], 0
                                        ; implicit-def: $sgpr58_sgpr59
                                        ; implicit-def: $sgpr60_sgpr61
	s_branch .LBB5_228
.LBB5_227:                              ;   in Loop: Header=BB5_228 Depth=2
	s_or_b64 exec, exec, s[64:65]
	s_and_b64 vcc, exec, vcc
	s_or_b64 s[56:57], vcc, s[56:57]
	s_andn2_b64 vcc, s[58:59], exec
	s_and_b64 s[58:59], s[60:61], exec
	s_or_b64 s[58:59], vcc, s[58:59]
	s_andn2_b64 exec, exec, s[56:57]
	s_cbranch_execz .LBB5_232
.LBB5_228:                              ;   Parent Loop BB5_47 Depth=1
                                        ; =>  This Inner Loop Header: Depth=2
	s_add_i32 s66, s66, 1
	s_cmpk_lg_i32 s66, 0x2710
	s_cselect_b64 s[62:63], -1, 0
	s_and_b64 vcc, exec, s[62:63]
                                        ; implicit-def: $sgpr64_sgpr65
	s_cbranch_vccnz .LBB5_230
; %bb.229:                              ;   in Loop: Header=BB5_228 Depth=2
	s_trap 2
	ds_read_b64 v[0:1], v0
	s_andn2_b64 s[62:63], s[62:63], exec
	s_mov_b32 s66, 0
	s_mov_b64 s[64:65], -1
	s_waitcnt vmcnt(0) lgkmcnt(0)
	flat_load_dword v0, v[0:1] sc0 sc1
	s_waitcnt vmcnt(0) lgkmcnt(0)
	buffer_inv sc0 sc1
	v_cmp_eq_u32_e32 vcc, 0, v0
	s_and_b64 vcc, vcc, exec
	s_or_b64 s[62:63], s[62:63], vcc
.LBB5_230:                              ;   in Loop: Header=BB5_228 Depth=2
	s_andn2_b64 s[60:61], s[60:61], exec
	s_and_b64 s[64:65], s[64:65], exec
	s_mov_b64 vcc, -1
	s_or_b64 s[60:61], s[60:61], s[64:65]
	s_and_saveexec_b64 s[64:65], s[62:63]
	s_cbranch_execz .LBB5_227
; %bb.231:                              ;   in Loop: Header=BB5_228 Depth=2
	s_sleep 1
	s_trap 2
	ds_read_b64 v[0:1], v0
	s_andn2_b64 s[60:61], s[60:61], exec
	s_waitcnt lgkmcnt(0)
	v_cmp_ge_u64_e32 vcc, v[0:1], v[12:13]
	s_orn2_b64 vcc, vcc, exec
	s_branch .LBB5_227
.LBB5_232:                              ;   in Loop: Header=BB5_47 Depth=1
	s_or_b64 exec, exec, s[56:57]
	s_and_saveexec_b64 vcc, s[58:59]
	s_xor_b64 vcc, exec, vcc
	s_cbranch_execz .LBB5_234
; %bb.233:                              ;   in Loop: Header=BB5_47 Depth=1
	ds_write_b32 v0, v25
	s_trap 2
.LBB5_234:                              ;   in Loop: Header=BB5_47 Depth=1
	s_or_b64 exec, exec, s[54:55]
	;;#ASMSTART
	s_wakeup
	;;#ASMEND
.LBB5_235:                              ;   in Loop: Header=BB5_47 Depth=1
	s_or_b64 exec, exec, s[30:31]
.LBB5_236:                              ;   in Loop: Header=BB5_47 Depth=1
	s_andn2_saveexec_b64 s[26:27], s[26:27]
	s_cbranch_execz .LBB5_238
; %bb.237:                              ;   in Loop: Header=BB5_47 Depth=1
	s_waitcnt lgkmcnt(0)
	s_barrier
.LBB5_238:                              ;   in Loop: Header=BB5_47 Depth=1
	s_or_b64 exec, exec, s[26:27]
	s_or_b64 exec, exec, s[24:25]
                                        ; implicit-def: $vgpr0
	s_and_saveexec_b64 s[24:25], s[22:23]
	s_xor_b64 s[24:25], exec, s[24:25]
	s_cbranch_execnz .LBB5_216
.LBB5_239:                              ;   in Loop: Header=BB5_47 Depth=1
	s_andn2_saveexec_b64 s[24:25], s[24:25]
	s_cbranch_execz .LBB5_219
.LBB5_240:                              ;   in Loop: Header=BB5_47 Depth=1
	s_and_saveexec_b64 s[26:27], s[40:41]
	s_xor_b64 s[26:27], exec, s[26:27]
	s_cbranch_execz .LBB5_255
; %bb.241:                              ;   in Loop: Header=BB5_47 Depth=1
	s_and_saveexec_b64 s[30:31], s[14:15]
	s_cbranch_execz .LBB5_254
; %bb.242:                              ;   in Loop: Header=BB5_47 Depth=1
	s_mov_b64 s[56:57], exec
	v_mbcnt_lo_u32_b32 v0, s56, 0
	v_mbcnt_hi_u32_b32 v0, s57, v0
	v_cmp_eq_u32_e32 vcc, 0, v0
	;;#ASMSTART
	s_waitcnt lgkmcnt(0) vmcnt(0)
	;;#ASMEND
	s_and_saveexec_b64 s[54:55], vcc
	s_cbranch_execz .LBB5_244
; %bb.243:                              ;   in Loop: Header=BB5_47 Depth=1
	s_bcnt1_i32_b64 vcc_lo, s[56:57]
	v_mov_b32_e32 v2, vcc_lo
	ds_add_u64 v0, v[2:3]
	s_trap 2
.LBB5_244:                              ;   in Loop: Header=BB5_47 Depth=1
	s_or_b64 exec, exec, s[54:55]
	s_trap 2
	ds_read_b64 v[0:1], v0
	v_lshl_add_u64 v[12:13], v[12:13], 0, v[34:35]
	s_waitcnt lgkmcnt(0)
	v_cmp_lt_u64_e32 vcc, v[0:1], v[12:13]
	s_and_saveexec_b64 s[54:55], vcc
	s_cbranch_execz .LBB5_253
; %bb.245:                              ;   in Loop: Header=BB5_47 Depth=1
	s_mov_b32 s66, 0
	s_mov_b64 s[56:57], 0
                                        ; implicit-def: $sgpr58_sgpr59
                                        ; implicit-def: $sgpr60_sgpr61
	s_branch .LBB5_247
.LBB5_246:                              ;   in Loop: Header=BB5_247 Depth=2
	s_or_b64 exec, exec, s[64:65]
	s_and_b64 vcc, exec, vcc
	s_or_b64 s[56:57], vcc, s[56:57]
	s_andn2_b64 vcc, s[58:59], exec
	s_and_b64 s[58:59], s[60:61], exec
	s_or_b64 s[58:59], vcc, s[58:59]
	s_andn2_b64 exec, exec, s[56:57]
	s_cbranch_execz .LBB5_251
.LBB5_247:                              ;   Parent Loop BB5_47 Depth=1
                                        ; =>  This Inner Loop Header: Depth=2
	s_add_i32 s66, s66, 1
	s_cmpk_lg_i32 s66, 0x2710
	s_cselect_b64 s[62:63], -1, 0
	s_and_b64 vcc, exec, s[62:63]
                                        ; implicit-def: $sgpr64_sgpr65
	s_cbranch_vccnz .LBB5_249
; %bb.248:                              ;   in Loop: Header=BB5_247 Depth=2
	s_trap 2
	ds_read_b64 v[0:1], v0
	s_andn2_b64 s[62:63], s[62:63], exec
	s_mov_b32 s66, 0
	s_mov_b64 s[64:65], -1
	s_waitcnt vmcnt(0) lgkmcnt(0)
	flat_load_dword v0, v[0:1] sc0 sc1
	s_waitcnt vmcnt(0) lgkmcnt(0)
	buffer_inv sc0 sc1
	v_cmp_eq_u32_e32 vcc, 0, v0
	s_and_b64 vcc, vcc, exec
	s_or_b64 s[62:63], s[62:63], vcc
.LBB5_249:                              ;   in Loop: Header=BB5_247 Depth=2
	s_andn2_b64 s[60:61], s[60:61], exec
	s_and_b64 s[64:65], s[64:65], exec
	s_mov_b64 vcc, -1
	s_or_b64 s[60:61], s[60:61], s[64:65]
	s_and_saveexec_b64 s[64:65], s[62:63]
	s_cbranch_execz .LBB5_246
; %bb.250:                              ;   in Loop: Header=BB5_247 Depth=2
	s_sleep 1
	s_trap 2
	ds_read_b64 v[0:1], v0
	s_andn2_b64 s[60:61], s[60:61], exec
	s_waitcnt lgkmcnt(0)
	v_cmp_ge_u64_e32 vcc, v[0:1], v[12:13]
	s_orn2_b64 vcc, vcc, exec
	s_branch .LBB5_246
.LBB5_251:                              ;   in Loop: Header=BB5_47 Depth=1
	s_or_b64 exec, exec, s[56:57]
	s_and_saveexec_b64 vcc, s[58:59]
	s_xor_b64 vcc, exec, vcc
	s_cbranch_execz .LBB5_253
; %bb.252:                              ;   in Loop: Header=BB5_47 Depth=1
	ds_write_b32 v0, v25
	s_trap 2
.LBB5_253:                              ;   in Loop: Header=BB5_47 Depth=1
	s_or_b64 exec, exec, s[54:55]
	;;#ASMSTART
	s_wakeup
	;;#ASMEND
.LBB5_254:                              ;   in Loop: Header=BB5_47 Depth=1
	s_or_b64 exec, exec, s[30:31]
.LBB5_255:                              ;   in Loop: Header=BB5_47 Depth=1
	s_andn2_saveexec_b64 s[26:27], s[26:27]
	s_cbranch_execz .LBB5_257
; %bb.256:                              ;   in Loop: Header=BB5_47 Depth=1
	;;#ASMSTART
	s_waitcnt lgkmcnt(0) vmcnt(0)
	;;#ASMEND
	s_barrier
.LBB5_257:                              ;   in Loop: Header=BB5_47 Depth=1
	s_or_b64 exec, exec, s[26:27]
	v_and_b32_e32 v0, 16, v62
	s_or_b64 exec, exec, s[24:25]
	v_cmp_ne_u32_e32 vcc, 0, v0
	s_and_saveexec_b64 s[24:25], vcc
	s_cbranch_execz .LBB5_261
.LBB5_258:                              ;   in Loop: Header=BB5_47 Depth=1
	s_and_saveexec_b64 s[26:27], s[12:13]
	s_cbranch_execz .LBB5_260
; %bb.259:                              ;   in Loop: Header=BB5_47 Depth=1
	flat_store_dword v[48:49], v25 sc0 sc1
.LBB5_260:                              ;   in Loop: Header=BB5_47 Depth=1
	s_or_b64 exec, exec, s[26:27]
	v_lshl_add_u64 v[20:21], v[20:21], 0, 4
	flat_store_dwordx2 v[22:23], v[20:21] sc0 sc1
.LBB5_261:                              ;   in Loop: Header=BB5_47 Depth=1
	s_or_b64 exec, exec, s[24:25]
.LBB5_262:                              ;   in Loop: Header=BB5_47 Depth=1
	s_or_b64 exec, exec, s[28:29]
	v_cndmask_b32_e64 v0, 0, 1, s[48:49]
	v_cmp_ne_u32_e64 s[24:25], 1, v0
	s_andn2_b64 vcc, exec, s[48:49]
	s_cbranch_vccnz .LBB5_478
; %bb.263:                              ;   in Loop: Header=BB5_47 Depth=1
	s_mov_b32 s84, 2
	s_branch .LBB5_266
.LBB5_264:                              ;   in Loop: Header=BB5_266 Depth=2
	s_or_b64 exec, exec, s[26:27]
.LBB5_265:                              ;   in Loop: Header=BB5_266 Depth=2
	s_or_b64 exec, exec, s[30:31]
	s_add_i32 s84, s84, 1
	s_cmp_eq_u32 s84, s72
	s_cbranch_scc1 .LBB5_478
.LBB5_266:                              ;   Parent Loop BB5_47 Depth=1
                                        ; =>  This Loop Header: Depth=2
                                        ;       Child Loop BB5_275 Depth 3
                                        ;       Child Loop BB5_301 Depth 3
	;; [unrolled: 1-line block ×12, first 2 shown]
	s_sub_i32 s26, s76, s84
	s_cmp_le_i32 s72, s26
	s_cselect_b32 s27, s72, 0
	s_sub_i32 s26, s26, s27
	s_ashr_i32 s27, s26, 31
	v_mul_lo_u32 v0, v56, s27
	v_mul_lo_u32 v1, v57, s26
	v_mad_u64_u32 v[4:5], s[26:27], v56, s26, 0
	v_add3_u32 v5, v5, v0, v1
	v_sub_co_u32_e32 v0, vcc, v50, v4
	s_nop 1
	v_subb_co_u32_e32 v1, vcc, v51, v5, vcc
	v_cmp_lt_i64_e32 vcc, v[56:57], v[0:1]
	s_nop 1
	v_cndmask_b32_e32 v0, v0, v56, vcc
	v_max_i32_e32 v16, 0, v0
	v_add_u32_e32 v1, 15, v16
	v_ashrrev_i32_e32 v2, 31, v1
	v_lshrrev_b32_e32 v2, 28, v2
	v_add_u32_e32 v1, v1, v2
	v_cmp_gt_i32_e32 vcc, 1, v0
	v_and_b32_e32 v1, -16, v1
	s_or_b64 s[28:29], s[2:3], vcc
	v_max_i32_e32 v8, s79, v1
	s_xor_b64 s[26:27], s[28:29], -1
	v_mov_b32_e32 v0, 0
	s_and_saveexec_b64 s[30:31], s[26:27]
	s_cbranch_execz .LBB5_407
; %bb.267:                              ;   in Loop: Header=BB5_266 Depth=2
	s_and_saveexec_b64 s[26:27], s[0:1]
	s_cbranch_execz .LBB5_269
; %bb.268:                              ;   in Loop: Header=BB5_266 Depth=2
	s_trap 2
	ds_read_b64 v[0:1], v0
	v_accvgpr_read_b32 v6, a38
	v_accvgpr_read_b32 v7, a39
	v_mov_b32_e32 v2, v3
	s_waitcnt lgkmcnt(0)
	v_lshl_add_u64 v[0:1], v[6:7], 1, v[0:1]
	v_lshl_add_u64 v[0:1], v[4:5], 1, v[0:1]
	ds_write_b64 v0, v[0:1]
	ds_write_b64 v0, v[2:3]
.LBB5_269:                              ;   in Loop: Header=BB5_266 Depth=2
	s_or_b64 exec, exec, s[26:27]
	v_and_b32_e32 v0, 12, v62
	v_cmp_ne_u32_e32 vcc, 0, v0
	s_mov_b64 s[54:55], -1
	s_and_saveexec_b64 s[26:27], vcc
	s_cbranch_execz .LBB5_281
; %bb.270:                              ;   in Loop: Header=BB5_266 Depth=2
	v_and_b32_e32 v2, 8, v62
	v_lshl_add_u64 v[0:1], v[32:33], 0, v[2:3]
	v_lshl_add_u64 v[10:11], v[20:21], 0, 4
	v_cmp_lt_u64_e32 vcc, v[0:1], v[10:11]
	v_mov_b32_e32 v0, 1
	s_and_saveexec_b64 s[54:55], vcc
	s_cbranch_execz .LBB5_280
; %bb.271:                              ;   in Loop: Header=BB5_266 Depth=2
	s_mov_b64 s[56:57], 0
	v_mov_b32_e32 v0, 0
                                        ; implicit-def: $sgpr58_sgpr59
	s_branch .LBB5_275
.LBB5_272:                              ;   in Loop: Header=BB5_275 Depth=3
	s_or_b64 exec, exec, s[66:67]
	v_mov_b32_e32 v1, 0
	s_orn2_b64 s[64:65], s[64:65], exec
.LBB5_273:                              ;   in Loop: Header=BB5_275 Depth=3
	s_or_b64 exec, exec, s[62:63]
	s_andn2_b64 vcc, s[58:59], exec
	s_and_b64 s[58:59], s[64:65], exec
	s_or_b64 s[58:59], vcc, s[58:59]
	v_mov_b32_e32 v0, v1
.LBB5_274:                              ;   in Loop: Header=BB5_275 Depth=3
	s_or_b64 exec, exec, s[60:61]
	s_waitcnt vmcnt(0) lgkmcnt(0)
	v_lshl_add_u64 v[4:5], v[32:33], 0, v[2:3]
	v_cmp_ge_u64_e32 vcc, v[4:5], v[10:11]
	s_xor_b64 s[60:61], s[58:59], -1
	s_or_b64 vcc, s[60:61], vcc
	s_and_b64 vcc, exec, vcc
	s_or_b64 s[56:57], vcc, s[56:57]
	s_andn2_b64 exec, exec, s[56:57]
	s_cbranch_execz .LBB5_279
.LBB5_275:                              ;   Parent Loop BB5_47 Depth=1
                                        ;     Parent Loop BB5_266 Depth=2
                                        ; =>    This Inner Loop Header: Depth=3
	s_sleep 1
	flat_load_dwordx2 v[32:33], v[22:23] sc0 sc1
	v_and_b32_e32 v1, 64, v62
	v_cmp_eq_u32_e32 vcc, 0, v1
	s_andn2_b64 s[58:59], s[58:59], exec
	s_and_saveexec_b64 s[60:61], vcc
	s_cbranch_execz .LBB5_274
; %bb.276:                              ;   in Loop: Header=BB5_275 Depth=3
	v_add_u32_e32 v1, 1, v0
	v_cmp_lt_i32_e32 vcc, s75, v0
	s_mov_b64 s[64:65], -1
	s_and_saveexec_b64 s[62:63], vcc
	s_cbranch_execz .LBB5_273
; %bb.277:                              ;   in Loop: Header=BB5_275 Depth=3
	s_trap 2
	ds_read_b64 v[0:1], v0
	s_waitcnt vmcnt(0) lgkmcnt(0)
	flat_load_dword v0, v[0:1] sc0 sc1
	s_waitcnt vmcnt(0) lgkmcnt(0)
	buffer_inv sc0 sc1
	v_cmp_ne_u32_e32 vcc, 0, v0
	s_and_saveexec_b64 s[66:67], vcc
	s_cbranch_execz .LBB5_272
; %bb.278:                              ;   in Loop: Header=BB5_275 Depth=3
	v_or_b32_e32 v62, 64, v62
	s_xor_b64 s[64:65], exec, -1
	ds_write_b32 v0, v0
	s_trap 2
	s_branch .LBB5_272
.LBB5_279:                              ;   in Loop: Header=BB5_266 Depth=2
	s_or_b64 exec, exec, s[56:57]
	v_and_b32_e32 v0, 12, v62
.LBB5_280:                              ;   in Loop: Header=BB5_266 Depth=2
	s_or_b64 exec, exec, s[54:55]
	v_cmp_eq_u32_e32 vcc, 0, v0
	s_orn2_b64 s[54:55], vcc, exec
	;;#ASMSTART
	s_wakeup
	;;#ASMEND
.LBB5_281:                              ;   in Loop: Header=BB5_266 Depth=2
	s_or_b64 exec, exec, s[26:27]
	s_xor_b64 s[26:27], s[54:55], -1
	v_min_i32_e32 v8, v8, v16
	s_and_saveexec_b64 s[54:55], s[26:27]
	s_cbranch_execz .LBB5_293
; %bb.282:                              ;   in Loop: Header=BB5_266 Depth=2
	v_and_b32_e32 v0, 0x108, v62
	v_cmp_ne_u32_e32 vcc, s83, v0
	v_and_b32_e32 v2, 7, v20
	s_and_saveexec_b64 s[26:27], vcc
	s_xor_b64 s[26:27], exec, s[26:27]
	s_andn2_saveexec_b64 s[26:27], s[26:27]
	s_cbranch_execz .LBB5_284
; %bb.283:                              ;   in Loop: Header=BB5_266 Depth=2
	v_ashrrev_i32_e32 v9, 31, v8
	v_mad_u64_u32 v[0:1], vcc, v2, 24, v[52:53]
	v_lshlrev_b64 v[4:5], 1, v[8:9]
	flat_store_dwordx2 v[0:1], v[4:5] offset:8
.LBB5_284:                              ;   in Loop: Header=BB5_266 Depth=2
	s_or_b64 exec, exec, s[26:27]
	v_and_b32_e32 v0, 0x100, v62
	v_cmp_ne_u32_e32 vcc, 0, v0
	s_mov_b64 s[26:27], -1
                                        ; implicit-def: $vgpr4_vgpr5
	s_and_saveexec_b64 s[56:57], vcc
	s_cbranch_execz .LBB5_288
; %bb.285:                              ;   in Loop: Header=BB5_266 Depth=2
	v_mad_u64_u32 v[10:11], s[26:27], v2, 24, v[52:53]
	v_mov_b32_e32 v0, v11
	v_mad_u64_u32 v[0:1], s[26:27], v3, 24, v[0:1]
	v_mov_b32_e32 v11, v0
	flat_load_dword v0, v[10:11]
                                        ; implicit-def: $vgpr4_vgpr5
	s_waitcnt vmcnt(0) lgkmcnt(0)
	v_cmp_ne_u32_e32 vcc, 1, v0
	v_cmp_eq_u32_e64 s[26:27], 1, v0
	s_and_saveexec_b64 s[58:59], s[26:27]
	s_cbranch_execz .LBB5_287
; %bb.286:                              ;   in Loop: Header=BB5_266 Depth=2
	flat_load_dword v0, v[10:11] offset:4 sc0 sc1
	s_waitcnt vmcnt(0) lgkmcnt(0)
	v_ashrrev_i32_e32 v1, 31, v0
	v_lshrrev_b64 v[4:5], 1, v[0:1]
.LBB5_287:                              ;   in Loop: Header=BB5_266 Depth=2
	s_or_b64 exec, exec, s[58:59]
	s_orn2_b64 s[26:27], vcc, exec
.LBB5_288:                              ;   in Loop: Header=BB5_266 Depth=2
	s_or_b64 exec, exec, s[56:57]
	s_and_saveexec_b64 vcc, s[26:27]
; %bb.289:                              ;   in Loop: Header=BB5_266 Depth=2
	v_accvgpr_read_b32 v4, a32
	v_mul_lo_u32 v0, v3, v4
	v_mul_lo_u32 v1, v2, v55
	v_mad_u64_u32 v[4:5], s[26:27], v2, v4, 0
	v_add3_u32 v5, v5, v1, v0
; %bb.290:                              ;   in Loop: Header=BB5_266 Depth=2
	s_or_b64 exec, exec, vcc
	v_lshl_add_u64 v[0:1], v[4:5], 1, v[60:61]
	s_trap 2
	ds_write_b64 v0, v[0:1]
	v_and_b32_e32 v0, 0x2000, v62
	v_cmp_ne_u32_e32 vcc, 0, v0
	s_and_saveexec_b64 s[26:27], vcc
	s_cbranch_execz .LBB5_292
; %bb.291:                              ;   in Loop: Header=BB5_266 Depth=2
	ds_read_b64 v[0:1], v0 offset:584
	s_waitcnt lgkmcnt(0)
	v_lshl_add_u64 v[0:1], v[0:1], 0, 1
	ds_write_b64 v0, v[0:1] offset:584
.LBB5_292:                              ;   in Loop: Header=BB5_266 Depth=2
	s_or_b64 exec, exec, s[26:27]
	v_lshl_add_u64 v[20:21], v[20:21], 0, 4
.LBB5_293:                              ;   in Loop: Header=BB5_266 Depth=2
	s_or_b64 exec, exec, s[54:55]
	s_and_saveexec_b64 s[26:27], s[6:7]
	s_cbranch_execz .LBB5_312
; %bb.294:                              ;   in Loop: Header=BB5_266 Depth=2
	s_and_saveexec_b64 vcc, s[40:41]
	s_xor_b64 s[54:55], exec, vcc
	s_cbranch_execz .LBB5_309
; %bb.295:                              ;   in Loop: Header=BB5_266 Depth=2
	s_and_saveexec_b64 s[56:57], s[14:15]
	s_cbranch_execz .LBB5_308
; %bb.296:                              ;   in Loop: Header=BB5_266 Depth=2
	s_mov_b64 s[60:61], exec
	v_mbcnt_lo_u32_b32 v0, s60, 0
	v_mbcnt_hi_u32_b32 v0, s61, v0
	v_cmp_eq_u32_e32 vcc, 0, v0
	s_waitcnt lgkmcnt(0)
	s_and_saveexec_b64 s[58:59], vcc
	s_cbranch_execz .LBB5_298
; %bb.297:                              ;   in Loop: Header=BB5_266 Depth=2
	s_bcnt1_i32_b64 vcc_lo, s[60:61]
	v_mov_b32_e32 v2, vcc_lo
	ds_add_u64 v0, v[2:3]
	s_trap 2
.LBB5_298:                              ;   in Loop: Header=BB5_266 Depth=2
	s_or_b64 exec, exec, s[58:59]
	s_trap 2
	ds_read_b64 v[0:1], v0
	v_lshl_add_u64 v[12:13], v[12:13], 0, v[34:35]
	s_waitcnt lgkmcnt(0)
	v_cmp_lt_u64_e32 vcc, v[0:1], v[12:13]
	s_and_saveexec_b64 s[58:59], vcc
	s_cbranch_execz .LBB5_307
; %bb.299:                              ;   in Loop: Header=BB5_266 Depth=2
	s_mov_b32 s70, 0
	s_mov_b64 s[60:61], 0
                                        ; implicit-def: $sgpr62_sgpr63
                                        ; implicit-def: $sgpr64_sgpr65
	s_branch .LBB5_301
.LBB5_300:                              ;   in Loop: Header=BB5_301 Depth=3
	s_or_b64 exec, exec, s[68:69]
	s_and_b64 vcc, exec, vcc
	s_or_b64 s[60:61], vcc, s[60:61]
	s_andn2_b64 vcc, s[62:63], exec
	s_and_b64 s[62:63], s[64:65], exec
	s_or_b64 s[62:63], vcc, s[62:63]
	s_andn2_b64 exec, exec, s[60:61]
	s_cbranch_execz .LBB5_305
.LBB5_301:                              ;   Parent Loop BB5_47 Depth=1
                                        ;     Parent Loop BB5_266 Depth=2
                                        ; =>    This Inner Loop Header: Depth=3
	s_add_i32 s70, s70, 1
	s_cmpk_lg_i32 s70, 0x2710
	s_cselect_b64 s[66:67], -1, 0
	s_and_b64 vcc, exec, s[66:67]
                                        ; implicit-def: $sgpr68_sgpr69
	s_cbranch_vccnz .LBB5_303
; %bb.302:                              ;   in Loop: Header=BB5_301 Depth=3
	s_trap 2
	ds_read_b64 v[0:1], v0
	s_andn2_b64 s[66:67], s[66:67], exec
	s_mov_b32 s70, 0
	s_mov_b64 s[68:69], -1
	s_waitcnt vmcnt(0) lgkmcnt(0)
	flat_load_dword v0, v[0:1] sc0 sc1
	s_waitcnt vmcnt(0) lgkmcnt(0)
	buffer_inv sc0 sc1
	v_cmp_eq_u32_e32 vcc, 0, v0
	s_and_b64 vcc, vcc, exec
	s_or_b64 s[66:67], s[66:67], vcc
.LBB5_303:                              ;   in Loop: Header=BB5_301 Depth=3
	s_andn2_b64 s[64:65], s[64:65], exec
	s_and_b64 s[68:69], s[68:69], exec
	s_mov_b64 vcc, -1
	s_or_b64 s[64:65], s[64:65], s[68:69]
	s_and_saveexec_b64 s[68:69], s[66:67]
	s_cbranch_execz .LBB5_300
; %bb.304:                              ;   in Loop: Header=BB5_301 Depth=3
	s_sleep 1
	s_trap 2
	ds_read_b64 v[0:1], v0
	s_andn2_b64 s[64:65], s[64:65], exec
	s_waitcnt lgkmcnt(0)
	v_cmp_ge_u64_e32 vcc, v[0:1], v[12:13]
	s_orn2_b64 vcc, vcc, exec
	s_branch .LBB5_300
.LBB5_305:                              ;   in Loop: Header=BB5_266 Depth=2
	s_or_b64 exec, exec, s[60:61]
	s_and_saveexec_b64 vcc, s[62:63]
	s_xor_b64 vcc, exec, vcc
	s_cbranch_execz .LBB5_307
; %bb.306:                              ;   in Loop: Header=BB5_266 Depth=2
	ds_write_b32 v0, v25
	s_trap 2
.LBB5_307:                              ;   in Loop: Header=BB5_266 Depth=2
	s_or_b64 exec, exec, s[58:59]
	;;#ASMSTART
	s_wakeup
	;;#ASMEND
.LBB5_308:                              ;   in Loop: Header=BB5_266 Depth=2
	s_or_b64 exec, exec, s[56:57]
.LBB5_309:                              ;   in Loop: Header=BB5_266 Depth=2
	s_andn2_saveexec_b64 vcc, s[54:55]
	s_cbranch_execz .LBB5_311
; %bb.310:                              ;   in Loop: Header=BB5_266 Depth=2
	s_waitcnt lgkmcnt(0)
	s_barrier
.LBB5_311:                              ;   in Loop: Header=BB5_266 Depth=2
	s_or_b64 exec, exec, vcc
.LBB5_312:                              ;   in Loop: Header=BB5_266 Depth=2
	s_or_b64 exec, exec, s[26:27]
	s_trap 2
	ds_read_b32 v0, v0
	v_and_b32_e32 v1, 0x4000, v62
	v_cmp_ne_u32_e32 vcc, 0, v1
	s_xor_b64 s[26:27], s[4:5], -1
	s_and_b64 vcc, s[26:27], vcc
	s_and_saveexec_b64 s[26:27], vcc
	s_cbranch_execz .LBB5_331
; %bb.313:                              ;   in Loop: Header=BB5_266 Depth=2
	s_and_saveexec_b64 vcc, s[40:41]
	s_xor_b64 s[54:55], exec, vcc
	s_cbranch_execz .LBB5_328
; %bb.314:                              ;   in Loop: Header=BB5_266 Depth=2
	s_and_saveexec_b64 s[56:57], s[14:15]
	s_cbranch_execz .LBB5_327
; %bb.315:                              ;   in Loop: Header=BB5_266 Depth=2
	s_mov_b64 s[60:61], exec
	v_mbcnt_lo_u32_b32 v1, s60, 0
	v_mbcnt_hi_u32_b32 v1, s61, v1
	v_cmp_eq_u32_e32 vcc, 0, v1
	s_waitcnt lgkmcnt(0)
	s_and_saveexec_b64 s[58:59], vcc
	s_cbranch_execz .LBB5_317
; %bb.316:                              ;   in Loop: Header=BB5_266 Depth=2
	s_bcnt1_i32_b64 vcc_lo, s[60:61]
	v_mov_b32_e32 v2, vcc_lo
	ds_add_u64 v0, v[2:3]
	s_trap 2
.LBB5_317:                              ;   in Loop: Header=BB5_266 Depth=2
	s_or_b64 exec, exec, s[58:59]
	s_trap 2
	ds_read_b64 v[4:5], v0
	v_lshl_add_u64 v[12:13], v[12:13], 0, v[34:35]
	s_waitcnt lgkmcnt(0)
	v_cmp_lt_u64_e32 vcc, v[4:5], v[12:13]
	s_and_saveexec_b64 s[58:59], vcc
	s_cbranch_execz .LBB5_326
; %bb.318:                              ;   in Loop: Header=BB5_266 Depth=2
	s_mov_b32 s70, 0
	s_mov_b64 s[60:61], 0
                                        ; implicit-def: $sgpr62_sgpr63
                                        ; implicit-def: $sgpr64_sgpr65
	s_branch .LBB5_320
.LBB5_319:                              ;   in Loop: Header=BB5_320 Depth=3
	s_or_b64 exec, exec, s[68:69]
	s_and_b64 vcc, exec, vcc
	s_or_b64 s[60:61], vcc, s[60:61]
	s_andn2_b64 vcc, s[62:63], exec
	s_and_b64 s[62:63], s[64:65], exec
	s_or_b64 s[62:63], vcc, s[62:63]
	s_andn2_b64 exec, exec, s[60:61]
	s_cbranch_execz .LBB5_324
.LBB5_320:                              ;   Parent Loop BB5_47 Depth=1
                                        ;     Parent Loop BB5_266 Depth=2
                                        ; =>    This Inner Loop Header: Depth=3
	s_add_i32 s70, s70, 1
	s_cmpk_lg_i32 s70, 0x2710
	s_cselect_b64 s[66:67], -1, 0
	s_and_b64 vcc, exec, s[66:67]
                                        ; implicit-def: $sgpr68_sgpr69
	s_cbranch_vccnz .LBB5_322
; %bb.321:                              ;   in Loop: Header=BB5_320 Depth=3
	s_trap 2
	ds_read_b64 v[4:5], v0
	s_andn2_b64 s[66:67], s[66:67], exec
	s_mov_b32 s70, 0
	s_mov_b64 s[68:69], -1
	s_waitcnt vmcnt(0) lgkmcnt(0)
	flat_load_dword v1, v[4:5] sc0 sc1
	s_waitcnt vmcnt(0) lgkmcnt(0)
	buffer_inv sc0 sc1
	v_cmp_eq_u32_e32 vcc, 0, v1
	s_and_b64 vcc, vcc, exec
	s_or_b64 s[66:67], s[66:67], vcc
.LBB5_322:                              ;   in Loop: Header=BB5_320 Depth=3
	s_andn2_b64 s[64:65], s[64:65], exec
	s_and_b64 s[68:69], s[68:69], exec
	s_mov_b64 vcc, -1
	s_or_b64 s[64:65], s[64:65], s[68:69]
	s_and_saveexec_b64 s[68:69], s[66:67]
	s_cbranch_execz .LBB5_319
; %bb.323:                              ;   in Loop: Header=BB5_320 Depth=3
	s_sleep 1
	s_trap 2
	ds_read_b64 v[4:5], v0
	s_andn2_b64 s[64:65], s[64:65], exec
	s_waitcnt lgkmcnt(0)
	v_cmp_ge_u64_e32 vcc, v[4:5], v[12:13]
	s_orn2_b64 vcc, vcc, exec
	s_branch .LBB5_319
.LBB5_324:                              ;   in Loop: Header=BB5_266 Depth=2
	s_or_b64 exec, exec, s[60:61]
	s_and_saveexec_b64 vcc, s[62:63]
	s_xor_b64 vcc, exec, vcc
	s_cbranch_execz .LBB5_326
; %bb.325:                              ;   in Loop: Header=BB5_266 Depth=2
	ds_write_b32 v0, v25
	s_trap 2
.LBB5_326:                              ;   in Loop: Header=BB5_266 Depth=2
	s_or_b64 exec, exec, s[58:59]
	;;#ASMSTART
	s_wakeup
	;;#ASMEND
.LBB5_327:                              ;   in Loop: Header=BB5_266 Depth=2
	s_or_b64 exec, exec, s[56:57]
.LBB5_328:                              ;   in Loop: Header=BB5_266 Depth=2
	s_andn2_saveexec_b64 vcc, s[54:55]
	s_cbranch_execz .LBB5_330
; %bb.329:                              ;   in Loop: Header=BB5_266 Depth=2
	s_waitcnt lgkmcnt(0)
	s_barrier
.LBB5_330:                              ;   in Loop: Header=BB5_266 Depth=2
	s_or_b64 exec, exec, vcc
.LBB5_331:                              ;   in Loop: Header=BB5_266 Depth=2
	s_or_b64 exec, exec, s[26:27]
	s_trap 2
	s_waitcnt lgkmcnt(0)
	ds_read_b64 v[4:5], v0
	s_waitcnt lgkmcnt(0)
	v_readfirstlane_b32 s26, v4
	v_readfirstlane_b32 s27, v5
	s_cmp_eq_u64 s[26:27], 0
	s_cselect_b64 s[26:27], -1, 0
	s_or_b64 vcc, s[26:27], s[26:27]
	s_mov_b64 s[26:27], 0
	s_and_b64 vcc, exec, vcc
	s_cbranch_vccnz .LBB5_338
; %bb.332:                              ;   in Loop: Header=BB5_266 Depth=2
	s_mov_b64 s[26:27], -1
	s_and_saveexec_b64 s[54:55], s[20:21]
	s_cbranch_execz .LBB5_334
; %bb.333:                              ;   in Loop: Header=BB5_266 Depth=2
	ds_read_b32 v1, v0 offset:720
	s_waitcnt lgkmcnt(0)
	v_and_b32_e32 v1, 15, v1
	v_cmp_eq_u32_e32 vcc, 0, v1
	s_orn2_b64 s[26:27], vcc, exec
.LBB5_334:                              ;   in Loop: Header=BB5_266 Depth=2
	s_or_b64 exec, exec, s[54:55]
	s_and_saveexec_b64 s[54:55], s[18:19]
	s_cbranch_execz .LBB5_336
; %bb.335:                              ;   in Loop: Header=BB5_266 Depth=2
	ds_read_b32 v1, v0 offset:784
	s_waitcnt lgkmcnt(0)
	v_and_b32_e32 v1, 15, v1
	v_cmp_eq_u32_e32 vcc, 0, v1
	s_and_b64 vcc, s[26:27], vcc
	s_andn2_b64 s[26:27], s[26:27], exec
	s_and_b64 vcc, vcc, exec
	s_or_b64 s[26:27], s[26:27], vcc
.LBB5_336:                              ;   in Loop: Header=BB5_266 Depth=2
	s_or_b64 exec, exec, s[54:55]
	v_cmp_eq_u32_e32 vcc, 0, v0
	s_xor_b64 s[26:27], s[26:27], -1
	v_cndmask_b32_e64 v0, 0, 1, s[26:27]
	v_cndmask_b32_e32 v2, 0, v8, vcc
	v_mov_b32_e32 v17, 0
	v_lshlrev_b32_e32 v9, 1, v2
	s_mov_b64 s[56:57], -1
	;;#ASMSTART
	;;#ASMEND
	s_nop 0
	v_cmp_ne_u32_e32 vcc, 0, v0
	s_cbranch_vccz .LBB5_343
; %bb.337:                              ;   in Loop: Header=BB5_266 Depth=2
	v_mov_b32_e32 v0, v59
	v_mov_b32_e32 v4, v58
	s_and_saveexec_b64 s[26:27], s[56:57]
	s_cbranch_execnz .LBB5_356
	s_branch .LBB5_364
.LBB5_338:                              ;   in Loop: Header=BB5_266 Depth=2
	s_and_saveexec_b64 s[54:55], s[6:7]
	s_cbranch_execnz .LBB5_365
.LBB5_339:                              ;   in Loop: Header=BB5_266 Depth=2
	s_or_b64 exec, exec, s[54:55]
                                        ; implicit-def: $vgpr0
	s_and_saveexec_b64 vcc, s[22:23]
	s_xor_b64 s[54:55], exec, vcc
	s_cbranch_execz .LBB5_383
.LBB5_340:                              ;   in Loop: Header=BB5_266 Depth=2
	v_and_b32_e32 v1, 16, v62
	v_cmp_ne_u32_e32 vcc, 0, v1
	v_and_b32_e32 v0, 16, v62
	s_and_b64 vcc, vcc, s[26:27]
	s_and_saveexec_b64 s[26:27], vcc
	s_cbranch_execz .LBB5_342
; %bb.341:                              ;   in Loop: Header=BB5_266 Depth=2
	v_mov_b32_e32 v0, 1
	buffer_wbl2 sc1
	s_waitcnt vmcnt(0) lgkmcnt(0)
	buffer_inv sc1
.LBB5_342:                              ;   in Loop: Header=BB5_266 Depth=2
	s_or_b64 exec, exec, s[26:27]
	s_andn2_saveexec_b64 s[26:27], s[54:55]
	s_cbranch_execz .LBB5_402
	s_branch .LBB5_384
.LBB5_343:                              ;   in Loop: Header=BB5_266 Depth=2
	v_accvgpr_read_b32 v0, a20
	v_accvgpr_read_b32 v1, a21
	v_ashrrev_i32_e32 v1, 31, v9
	v_lshrrev_b32_e32 v1, 22, v1
	v_add_u32_e32 v1, v9, v1
	v_ashrrev_i32_e32 v4, 10, v1
	v_and_b32_e32 v1, 0xfffffc00, v1
	v_sub_u32_e32 v30, v9, v1
	v_cmp_lt_i32_e32 vcc, 15, v30
	v_accvgpr_read_b32 v5, a35
	v_sub_u32_e32 v0, v9, v0
	v_addc_co_u32_e64 v19, s[26:27], v4, v5, vcc
	v_cmp_lt_i32_e64 s[26:27], 15, v0
	s_and_saveexec_b64 s[54:55], s[26:27]
	s_cbranch_execz .LBB5_347
; %bb.344:                              ;   in Loop: Header=BB5_266 Depth=2
	s_trap 2
	ds_read_b128 v[4:7], v0
	ds_read_b64 v[14:15], v0
	v_accvgpr_read_b32 v27, a21
	v_accvgpr_read_b32 v26, a20
	s_mov_b64 s[56:57], 0
	s_waitcnt lgkmcnt(0)
	v_lshl_add_u64 v[4:5], v[4:5], 0, v[26:27]
	v_lshl_add_u64 v[10:11], v[6:7], 0, v[26:27]
	;; [unrolled: 1-line block ×3, first 2 shown]
.LBB5_345:                              ;   Parent Loop BB5_47 Depth=1
                                        ;     Parent Loop BB5_266 Depth=2
                                        ; =>    This Inner Loop Header: Depth=3
	global_load_dwordx4 v[26:29], v[4:5], off nt
	global_load_dwordx4 v[52:55], v[10:11], off nt
	v_sub_u32_e32 v0, v0, v38
	v_cmp_gt_i32_e64 s[26:27], 16, v0
	v_lshl_add_u64 v[4:5], v[4:5], 0, v[42:43]
	v_lshl_add_u64 v[10:11], v[10:11], 0, v[42:43]
	v_sub_u32_e32 v19, v19, v34
	s_or_b64 s[56:57], s[26:27], s[56:57]
	s_waitcnt vmcnt(0)
	v_mul_f16_e32 v6, v26, v52
	v_mul_f16_sdwa v7, v26, v52 dst_sel:WORD_1 dst_unused:UNUSED_PAD src0_sel:WORD_1 src1_sel:WORD_1
	v_mul_f16_e32 v17, v27, v53
	v_mul_f16_sdwa v18, v27, v53 dst_sel:WORD_1 dst_unused:UNUSED_PAD src0_sel:WORD_1 src1_sel:WORD_1
	;; [unrolled: 2-line block ×4, first 2 shown]
	v_or_b32_e32 v27, v18, v17
	v_or_b32_e32 v26, v7, v6
	v_or_b32_e32 v29, v29, v36
	v_or_b32_e32 v28, v28, v31
	global_store_dwordx4 v[14:15], v[26:29], off nt
	v_lshl_add_u64 v[14:15], v[14:15], 0, v[42:43]
	s_andn2_b64 exec, exec, s[56:57]
	s_cbranch_execnz .LBB5_345
; %bb.346:                              ;   in Loop: Header=BB5_266 Depth=2
	s_or_b64 exec, exec, s[56:57]
	v_accvgpr_read_b32 v53, a13
	v_accvgpr_read_b32 v28, a28
	;; [unrolled: 1-line block ×8, first 2 shown]
	v_mov_b32_e32 v25, 1
.LBB5_347:                              ;   in Loop: Header=BB5_266 Depth=2
	s_or_b64 exec, exec, s[54:55]
	v_and_b32_e32 v5, 14, v9
	v_cndmask_b32_e32 v18, v30, v5, vcc
	v_cmp_ne_u32_e64 s[26:27], 0, v18
	s_mov_b64 s[56:57], 0
	v_mov_b32_e32 v17, 0
                                        ; implicit-def: $vgpr9
                                        ; implicit-def: $vgpr0
                                        ; implicit-def: $vgpr4
	s_and_saveexec_b64 s[54:55], s[26:27]
	s_cbranch_execz .LBB5_355
; %bb.348:                              ;   in Loop: Header=BB5_266 Depth=2
	v_sub_u32_e32 v0, v30, v5
	v_cndmask_b32_e32 v0, 0, v0, vcc
	v_cmp_lt_i32_e32 vcc, 0, v19
	v_add_u32_e32 v1, v0, v1
	v_accvgpr_read_b32 v4, a34
	v_cndmask_b32_e32 v0, 0, v34, vcc
	v_sub_u32_e32 v0, v0, v19
	v_lshl_add_u32 v0, v0, 6, v4
	v_ashrrev_i32_e32 v4, 31, v0
	v_lshrrev_b32_e32 v4, 26, v4
	v_ashrrev_i32_e32 v6, 31, v18
	v_add_u32_e32 v4, v0, v4
	v_lshrrev_b32_e32 v6, 22, v6
	v_ashrrev_i32_e32 v5, 6, v4
	v_and_b32_e32 v4, 0xffffffc0, v4
	v_add_u32_e32 v6, v18, v6
	v_sub_u32_e32 v19, v0, v4
	v_and_b32_e32 v30, 0xfffffc00, v6
	v_lshlrev_b32_e32 v0, 4, v19
	v_sub_u32_e32 v36, v18, v30
	v_lshl_add_u32 v4, v5, 10, v0
	v_ashrrev_i32_e32 v7, 10, v6
	v_cmp_lt_i32_e32 vcc, 15, v36
	v_sub_u32_e32 v0, v18, v4
	s_nop 0
	v_addc_co_u32_e64 v6, s[26:27], 0, v7, vcc
	v_sub_u32_e32 v31, v6, v5
	v_cmp_lt_i32_e64 s[26:27], 15, v0
	s_and_saveexec_b64 s[56:57], s[26:27]
	s_cbranch_execz .LBB5_352
; %bb.349:                              ;   in Loop: Header=BB5_266 Depth=2
	s_trap 2
	ds_read_b128 v[26:29], v0
	ds_read_b64 v[6:7], v0
	v_add_u32_e32 v14, v4, v1
	v_ashrrev_i32_e32 v15, 31, v14
	s_mov_b64 s[58:59], 0
	s_waitcnt lgkmcnt(0)
	v_lshl_add_u64 v[4:5], v[26:27], 0, v[14:15]
	v_lshl_add_u64 v[10:11], v[28:29], 0, v[14:15]
	;; [unrolled: 1-line block ×3, first 2 shown]
.LBB5_350:                              ;   Parent Loop BB5_47 Depth=1
                                        ;     Parent Loop BB5_266 Depth=2
                                        ; =>    This Inner Loop Header: Depth=3
	global_load_dwordx4 v[26:29], v[4:5], off nt
	global_load_dwordx4 v[52:55], v[10:11], off nt
	v_sub_u32_e32 v0, v0, v38
	v_cmp_gt_i32_e64 s[26:27], 16, v0
	v_lshl_add_u64 v[4:5], v[4:5], 0, v[42:43]
	v_lshl_add_u64 v[10:11], v[10:11], 0, v[42:43]
	v_sub_u32_e32 v31, v31, v34
	s_or_b64 s[58:59], s[26:27], s[58:59]
	s_waitcnt vmcnt(0)
	v_mul_f16_e32 v6, v26, v52
	v_mul_f16_sdwa v7, v26, v52 dst_sel:WORD_1 dst_unused:UNUSED_PAD src0_sel:WORD_1 src1_sel:WORD_1
	v_mul_f16_e32 v9, v27, v53
	v_mul_f16_sdwa v17, v27, v53 dst_sel:WORD_1 dst_unused:UNUSED_PAD src0_sel:WORD_1 src1_sel:WORD_1
	;; [unrolled: 2-line block ×4, first 2 shown]
	v_or_b32_e32 v27, v17, v9
	v_or_b32_e32 v26, v7, v6
	;; [unrolled: 1-line block ×4, first 2 shown]
	global_store_dwordx4 v[14:15], v[26:29], off nt
	v_lshl_add_u64 v[14:15], v[14:15], 0, v[42:43]
	s_andn2_b64 exec, exec, s[58:59]
	s_cbranch_execnz .LBB5_350
; %bb.351:                              ;   in Loop: Header=BB5_266 Depth=2
	s_or_b64 exec, exec, s[58:59]
	v_accvgpr_read_b32 v53, a13
	v_accvgpr_read_b32 v28, a28
	v_accvgpr_read_b32 v26, a30
	v_accvgpr_read_b32 v52, a12
	v_accvgpr_read_b32 v55, a19
	v_accvgpr_read_b32 v29, a29
	v_accvgpr_read_b32 v27, a31
	v_accvgpr_read_b32 v24, a33
	v_mov_b32_e32 v25, 1
.LBB5_352:                              ;   in Loop: Header=BB5_266 Depth=2
	s_or_b64 exec, exec, s[56:57]
	v_and_b32_e32 v5, 14, v18
	v_cndmask_b32_e32 v9, v36, v5, vcc
	v_cmp_ne_u32_e64 s[26:27], 0, v9
	s_mov_b64 s[56:57], 0
	v_mov_b32_e32 v17, 0
                                        ; implicit-def: $vgpr0
                                        ; implicit-def: $vgpr4
	s_and_saveexec_b64 s[58:59], s[26:27]
	s_cbranch_execz .LBB5_354
; %bb.353:                              ;   in Loop: Header=BB5_266 Depth=2
	v_sub_u32_e32 v0, v36, v5
	v_cndmask_b32_e32 v0, 0, v0, vcc
	v_cmp_lt_i32_e32 vcc, 0, v31
	v_add3_u32 v17, v30, v1, v0
	s_mov_b64 s[56:57], exec
	v_cndmask_b32_e32 v0, 0, v34, vcc
	v_sub_u32_e32 v0, v0, v31
	v_lshl_add_u32 v0, v0, 6, v19
	v_ashrrev_i32_e32 v1, 31, v0
	v_lshrrev_b32_e32 v1, 26, v1
	v_add_u32_e32 v1, v0, v1
	v_ashrrev_i32_e32 v4, 6, v1
.LBB5_354:                              ;   in Loop: Header=BB5_266 Depth=2
	s_or_b64 exec, exec, s[58:59]
	s_and_b64 s[56:57], s[56:57], exec
.LBB5_355:                              ;   in Loop: Header=BB5_266 Depth=2
	s_or_b64 exec, exec, s[54:55]
	s_and_saveexec_b64 s[26:27], s[56:57]
	s_cbranch_execz .LBB5_364
.LBB5_356:                              ;   in Loop: Header=BB5_266 Depth=2
	v_ashrrev_i32_e32 v1, 31, v9
	v_lshrrev_b32_e32 v1, 23, v1
	v_add_u32_e32 v1, v9, v1
	v_ashrrev_i32_e32 v19, 9, v1
	v_sub_u32_e32 v1, v19, v4
	v_ashrrev_i32_e32 v5, 31, v0
	v_cmp_lt_i32_e32 vcc, 0, v1
	v_lshrrev_b32_e32 v18, 26, v5
	s_and_saveexec_b64 s[54:55], vcc
	s_cbranch_execz .LBB5_360
; %bb.357:                              ;   in Loop: Header=BB5_266 Depth=2
	v_add_u32_e32 v5, v0, v18
	s_trap 2
	v_and_b32_e32 v5, 0x7fffffc0, v5
	ds_read_b128 v[26:29], v0
	ds_read_b64 v[6:7], v0
	v_sub_u32_e32 v5, v0, v5
	v_lshlrev_b32_e32 v5, 1, v5
	v_lshlrev_b32_e32 v4, 9, v4
	v_add3_u32 v14, v5, v17, v4
	v_ashrrev_i32_e32 v15, 31, v14
	s_waitcnt lgkmcnt(0)
	v_lshl_add_u64 v[4:5], v[26:27], 0, v[14:15]
	v_lshl_add_u64 v[10:11], v[28:29], 0, v[14:15]
	;; [unrolled: 1-line block ×3, first 2 shown]
	s_mov_b64 s[56:57], 0
.LBB5_358:                              ;   Parent Loop BB5_47 Depth=1
                                        ;     Parent Loop BB5_266 Depth=2
                                        ; =>    This Inner Loop Header: Depth=3
	flat_load_ushort v6, v[4:5] nt
	flat_load_ushort v7, v[4:5] offset:128 nt
	flat_load_ushort v26, v[4:5] offset:256 nt
	;; [unrolled: 1-line block ×3, first 2 shown]
	flat_load_ushort v28, v[10:11] nt
	flat_load_ushort v29, v[10:11] offset:128 nt
	flat_load_ushort v30, v[10:11] offset:256 nt
	;; [unrolled: 1-line block ×3, first 2 shown]
	v_sub_u32_e32 v1, v1, v34
	v_cmp_gt_i32_e32 vcc, 1, v1
	v_lshl_add_u64 v[4:5], v[4:5], 0, v[40:41]
	v_lshl_add_u64 v[10:11], v[10:11], 0, v[40:41]
	s_or_b64 s[56:57], vcc, s[56:57]
	s_waitcnt vmcnt(0) lgkmcnt(0)
	v_mul_f16_e32 v6, v6, v28
	v_mul_f16_e32 v7, v7, v29
	;; [unrolled: 1-line block ×4, first 2 shown]
	flat_store_short v[14:15], v6 nt
	flat_store_short v[14:15], v7 offset:128 nt
	flat_store_short v[14:15], v26 offset:256 nt
	;; [unrolled: 1-line block ×3, first 2 shown]
	v_lshl_add_u64 v[14:15], v[14:15], 0, v[40:41]
	s_andn2_b64 exec, exec, s[56:57]
	s_cbranch_execnz .LBB5_358
; %bb.359:                              ;   in Loop: Header=BB5_266 Depth=2
	s_or_b64 exec, exec, s[56:57]
	v_accvgpr_read_b32 v28, a28
	v_accvgpr_read_b32 v26, a30
	;; [unrolled: 1-line block ×4, first 2 shown]
.LBB5_360:                              ;   in Loop: Header=BB5_266 Depth=2
	s_or_b64 exec, exec, s[54:55]
	v_lshlrev_b32_e32 v4, 9, v19
	v_cmp_ne_u32_e32 vcc, v9, v4
	s_and_b64 exec, exec, vcc
	s_cbranch_execz .LBB5_364
; %bb.361:                              ;   in Loop: Header=BB5_266 Depth=2
	v_add_u32_e32 v5, v0, v18
	v_and_b32_e32 v5, 0xffffffc0, v5
	v_sub_u32_e32 v0, v0, v5
	v_lshlrev_b32_e32 v1, 6, v1
	v_sub_u32_e32 v0, v0, v1
	v_ashrrev_i32_e32 v1, 31, v0
	v_lshrrev_b32_e32 v1, 26, v1
	v_add_u32_e32 v1, v0, v1
	v_and_b32_e32 v5, 0x7fffffc0, v1
	v_sub_u32_e32 v0, v0, v5
	v_lshlrev_b32_e32 v1, 1, v1
	v_and_b32_e32 v1, 0xffffff80, v1
	v_lshlrev_b32_e32 v0, 1, v0
	v_add3_u32 v1, v1, v0, v4
	v_sub_u32_e32 v0, v9, v1
	v_cmp_lt_i32_e32 vcc, 1, v0
	s_and_b64 exec, exec, vcc
	s_cbranch_execz .LBB5_364
; %bb.362:                              ;   in Loop: Header=BB5_266 Depth=2
	s_trap 2
	ds_read_b128 v[4:7], v0
	ds_read_b64 v[14:15], v0
	v_add_u32_e32 v18, v1, v17
	v_ashrrev_i32_e32 v19, 31, v18
	s_mov_b64 s[54:55], 0
	s_waitcnt lgkmcnt(0)
	v_lshl_add_u64 v[4:5], v[4:5], 0, v[18:19]
	v_lshl_add_u64 v[10:11], v[6:7], 0, v[18:19]
	;; [unrolled: 1-line block ×3, first 2 shown]
.LBB5_363:                              ;   Parent Loop BB5_47 Depth=1
                                        ;     Parent Loop BB5_266 Depth=2
                                        ; =>    This Inner Loop Header: Depth=3
	flat_load_ushort v1, v[4:5] nt
	flat_load_ushort v6, v[10:11] nt
	v_sub_u32_e32 v0, v0, v24
	v_cmp_gt_i32_e32 vcc, 2, v0
	v_lshl_add_u64 v[4:5], v[4:5], 0, v[44:45]
	v_lshl_add_u64 v[10:11], v[10:11], 0, v[44:45]
	s_or_b64 s[54:55], vcc, s[54:55]
	s_waitcnt vmcnt(0) lgkmcnt(0)
	v_mul_f16_e32 v1, v1, v6
	flat_store_short v[14:15], v1 nt
	v_lshl_add_u64 v[14:15], v[14:15], 0, v[44:45]
	s_andn2_b64 exec, exec, s[54:55]
	s_cbranch_execnz .LBB5_363
.LBB5_364:                              ;   in Loop: Header=BB5_266 Depth=2
	s_or_b64 exec, exec, s[26:27]
	v_cmp_lt_i32_e64 s[26:27], 0, v2
	s_and_saveexec_b64 s[54:55], s[6:7]
	s_cbranch_execz .LBB5_339
.LBB5_365:                              ;   in Loop: Header=BB5_266 Depth=2
	s_and_saveexec_b64 vcc, s[40:41]
	s_xor_b64 s[56:57], exec, vcc
	s_cbranch_execz .LBB5_380
; %bb.366:                              ;   in Loop: Header=BB5_266 Depth=2
	s_and_saveexec_b64 s[58:59], s[14:15]
	s_cbranch_execz .LBB5_379
; %bb.367:                              ;   in Loop: Header=BB5_266 Depth=2
	s_mov_b64 s[62:63], exec
	v_mbcnt_lo_u32_b32 v0, s62, 0
	v_mbcnt_hi_u32_b32 v0, s63, v0
	v_cmp_eq_u32_e32 vcc, 0, v0
	s_waitcnt lgkmcnt(0)
	s_and_saveexec_b64 s[60:61], vcc
	s_cbranch_execz .LBB5_369
; %bb.368:                              ;   in Loop: Header=BB5_266 Depth=2
	s_bcnt1_i32_b64 vcc_lo, s[62:63]
	v_mov_b32_e32 v2, vcc_lo
	ds_add_u64 v0, v[2:3]
	s_trap 2
.LBB5_369:                              ;   in Loop: Header=BB5_266 Depth=2
	s_or_b64 exec, exec, s[60:61]
	s_trap 2
	ds_read_b64 v[0:1], v0
	v_lshl_add_u64 v[12:13], v[12:13], 0, v[34:35]
	s_waitcnt lgkmcnt(0)
	v_cmp_lt_u64_e32 vcc, v[0:1], v[12:13]
	s_and_saveexec_b64 s[60:61], vcc
	s_cbranch_execz .LBB5_378
; %bb.370:                              ;   in Loop: Header=BB5_266 Depth=2
	s_mov_b32 s85, 0
	s_mov_b64 s[62:63], 0
                                        ; implicit-def: $sgpr64_sgpr65
                                        ; implicit-def: $sgpr66_sgpr67
	s_branch .LBB5_372
.LBB5_371:                              ;   in Loop: Header=BB5_372 Depth=3
	s_or_b64 exec, exec, s[70:71]
	s_and_b64 vcc, exec, vcc
	s_or_b64 s[62:63], vcc, s[62:63]
	s_andn2_b64 vcc, s[64:65], exec
	s_and_b64 s[64:65], s[66:67], exec
	s_or_b64 s[64:65], vcc, s[64:65]
	s_andn2_b64 exec, exec, s[62:63]
	s_cbranch_execz .LBB5_376
.LBB5_372:                              ;   Parent Loop BB5_47 Depth=1
                                        ;     Parent Loop BB5_266 Depth=2
                                        ; =>    This Inner Loop Header: Depth=3
	s_add_i32 s85, s85, 1
	s_cmpk_lg_i32 s85, 0x2710
	s_cselect_b64 s[68:69], -1, 0
	s_and_b64 vcc, exec, s[68:69]
                                        ; implicit-def: $sgpr70_sgpr71
	s_cbranch_vccnz .LBB5_374
; %bb.373:                              ;   in Loop: Header=BB5_372 Depth=3
	s_trap 2
	ds_read_b64 v[0:1], v0
	s_andn2_b64 s[68:69], s[68:69], exec
	s_mov_b32 s85, 0
	s_mov_b64 s[70:71], -1
	s_waitcnt vmcnt(0) lgkmcnt(0)
	flat_load_dword v0, v[0:1] sc0 sc1
	s_waitcnt vmcnt(0) lgkmcnt(0)
	buffer_inv sc0 sc1
	v_cmp_eq_u32_e32 vcc, 0, v0
	s_and_b64 vcc, vcc, exec
	s_or_b64 s[68:69], s[68:69], vcc
.LBB5_374:                              ;   in Loop: Header=BB5_372 Depth=3
	s_andn2_b64 s[66:67], s[66:67], exec
	s_and_b64 s[70:71], s[70:71], exec
	s_mov_b64 vcc, -1
	s_or_b64 s[66:67], s[66:67], s[70:71]
	s_and_saveexec_b64 s[70:71], s[68:69]
	s_cbranch_execz .LBB5_371
; %bb.375:                              ;   in Loop: Header=BB5_372 Depth=3
	s_sleep 1
	s_trap 2
	ds_read_b64 v[0:1], v0
	s_andn2_b64 s[66:67], s[66:67], exec
	s_waitcnt lgkmcnt(0)
	v_cmp_ge_u64_e32 vcc, v[0:1], v[12:13]
	s_orn2_b64 vcc, vcc, exec
	s_branch .LBB5_371
.LBB5_376:                              ;   in Loop: Header=BB5_266 Depth=2
	s_or_b64 exec, exec, s[62:63]
	s_and_saveexec_b64 vcc, s[64:65]
	s_xor_b64 vcc, exec, vcc
	s_cbranch_execz .LBB5_378
; %bb.377:                              ;   in Loop: Header=BB5_266 Depth=2
	ds_write_b32 v0, v25
	s_trap 2
.LBB5_378:                              ;   in Loop: Header=BB5_266 Depth=2
	s_or_b64 exec, exec, s[60:61]
	;;#ASMSTART
	s_wakeup
	;;#ASMEND
.LBB5_379:                              ;   in Loop: Header=BB5_266 Depth=2
	s_or_b64 exec, exec, s[58:59]
.LBB5_380:                              ;   in Loop: Header=BB5_266 Depth=2
	s_andn2_saveexec_b64 vcc, s[56:57]
	s_cbranch_execz .LBB5_382
; %bb.381:                              ;   in Loop: Header=BB5_266 Depth=2
	s_waitcnt lgkmcnt(0)
	s_barrier
.LBB5_382:                              ;   in Loop: Header=BB5_266 Depth=2
	s_or_b64 exec, exec, vcc
	s_or_b64 exec, exec, s[54:55]
                                        ; implicit-def: $vgpr0
	s_and_saveexec_b64 vcc, s[22:23]
	s_xor_b64 s[54:55], exec, vcc
	s_cbranch_execnz .LBB5_340
.LBB5_383:                              ;   in Loop: Header=BB5_266 Depth=2
	s_andn2_saveexec_b64 s[26:27], s[54:55]
	s_cbranch_execz .LBB5_402
.LBB5_384:                              ;   in Loop: Header=BB5_266 Depth=2
	s_and_saveexec_b64 vcc, s[40:41]
	s_xor_b64 s[54:55], exec, vcc
	s_cbranch_execz .LBB5_399
; %bb.385:                              ;   in Loop: Header=BB5_266 Depth=2
	s_and_saveexec_b64 s[56:57], s[14:15]
	s_cbranch_execz .LBB5_398
; %bb.386:                              ;   in Loop: Header=BB5_266 Depth=2
	s_mov_b64 s[60:61], exec
	v_mbcnt_lo_u32_b32 v0, s60, 0
	v_mbcnt_hi_u32_b32 v0, s61, v0
	v_cmp_eq_u32_e32 vcc, 0, v0
	;;#ASMSTART
	s_waitcnt lgkmcnt(0) vmcnt(0)
	;;#ASMEND
	s_and_saveexec_b64 s[58:59], vcc
	s_cbranch_execz .LBB5_388
; %bb.387:                              ;   in Loop: Header=BB5_266 Depth=2
	s_bcnt1_i32_b64 vcc_lo, s[60:61]
	v_mov_b32_e32 v2, vcc_lo
	ds_add_u64 v0, v[2:3]
	s_trap 2
.LBB5_388:                              ;   in Loop: Header=BB5_266 Depth=2
	s_or_b64 exec, exec, s[58:59]
	s_trap 2
	ds_read_b64 v[0:1], v0
	v_lshl_add_u64 v[12:13], v[12:13], 0, v[34:35]
	s_waitcnt lgkmcnt(0)
	v_cmp_lt_u64_e32 vcc, v[0:1], v[12:13]
	s_and_saveexec_b64 s[58:59], vcc
	s_cbranch_execz .LBB5_397
; %bb.389:                              ;   in Loop: Header=BB5_266 Depth=2
	s_mov_b32 s70, 0
	s_mov_b64 s[60:61], 0
                                        ; implicit-def: $sgpr62_sgpr63
                                        ; implicit-def: $sgpr64_sgpr65
	s_branch .LBB5_391
.LBB5_390:                              ;   in Loop: Header=BB5_391 Depth=3
	s_or_b64 exec, exec, s[68:69]
	s_and_b64 vcc, exec, vcc
	s_or_b64 s[60:61], vcc, s[60:61]
	s_andn2_b64 vcc, s[62:63], exec
	s_and_b64 s[62:63], s[64:65], exec
	s_or_b64 s[62:63], vcc, s[62:63]
	s_andn2_b64 exec, exec, s[60:61]
	s_cbranch_execz .LBB5_395
.LBB5_391:                              ;   Parent Loop BB5_47 Depth=1
                                        ;     Parent Loop BB5_266 Depth=2
                                        ; =>    This Inner Loop Header: Depth=3
	s_add_i32 s70, s70, 1
	s_cmpk_lg_i32 s70, 0x2710
	s_cselect_b64 s[66:67], -1, 0
	s_and_b64 vcc, exec, s[66:67]
                                        ; implicit-def: $sgpr68_sgpr69
	s_cbranch_vccnz .LBB5_393
; %bb.392:                              ;   in Loop: Header=BB5_391 Depth=3
	s_trap 2
	ds_read_b64 v[0:1], v0
	s_andn2_b64 s[66:67], s[66:67], exec
	s_mov_b32 s70, 0
	s_mov_b64 s[68:69], -1
	s_waitcnt vmcnt(0) lgkmcnt(0)
	flat_load_dword v0, v[0:1] sc0 sc1
	s_waitcnt vmcnt(0) lgkmcnt(0)
	buffer_inv sc0 sc1
	v_cmp_eq_u32_e32 vcc, 0, v0
	s_and_b64 vcc, vcc, exec
	s_or_b64 s[66:67], s[66:67], vcc
.LBB5_393:                              ;   in Loop: Header=BB5_391 Depth=3
	s_andn2_b64 s[64:65], s[64:65], exec
	s_and_b64 s[68:69], s[68:69], exec
	s_mov_b64 vcc, -1
	s_or_b64 s[64:65], s[64:65], s[68:69]
	s_and_saveexec_b64 s[68:69], s[66:67]
	s_cbranch_execz .LBB5_390
; %bb.394:                              ;   in Loop: Header=BB5_391 Depth=3
	s_sleep 1
	s_trap 2
	ds_read_b64 v[0:1], v0
	s_andn2_b64 s[64:65], s[64:65], exec
	s_waitcnt lgkmcnt(0)
	v_cmp_ge_u64_e32 vcc, v[0:1], v[12:13]
	s_orn2_b64 vcc, vcc, exec
	s_branch .LBB5_390
.LBB5_395:                              ;   in Loop: Header=BB5_266 Depth=2
	s_or_b64 exec, exec, s[60:61]
	s_and_saveexec_b64 vcc, s[62:63]
	s_xor_b64 vcc, exec, vcc
	s_cbranch_execz .LBB5_397
; %bb.396:                              ;   in Loop: Header=BB5_266 Depth=2
	ds_write_b32 v0, v25
	s_trap 2
.LBB5_397:                              ;   in Loop: Header=BB5_266 Depth=2
	s_or_b64 exec, exec, s[58:59]
	;;#ASMSTART
	s_wakeup
	;;#ASMEND
.LBB5_398:                              ;   in Loop: Header=BB5_266 Depth=2
	s_or_b64 exec, exec, s[56:57]
.LBB5_399:                              ;   in Loop: Header=BB5_266 Depth=2
	s_andn2_saveexec_b64 vcc, s[54:55]
	s_cbranch_execz .LBB5_401
; %bb.400:                              ;   in Loop: Header=BB5_266 Depth=2
	;;#ASMSTART
	s_waitcnt lgkmcnt(0) vmcnt(0)
	;;#ASMEND
	s_barrier
.LBB5_401:                              ;   in Loop: Header=BB5_266 Depth=2
	s_or_b64 exec, exec, vcc
	v_and_b32_e32 v0, 16, v62
.LBB5_402:                              ;   in Loop: Header=BB5_266 Depth=2
	s_or_b64 exec, exec, s[26:27]
	v_cmp_ne_u32_e32 vcc, 0, v0
	s_xor_b64 s[26:27], s[10:11], -1
	s_and_b64 vcc, vcc, s[26:27]
	s_and_saveexec_b64 s[26:27], vcc
	s_cbranch_execz .LBB5_404
; %bb.403:                              ;   in Loop: Header=BB5_266 Depth=2
	flat_store_dword v[48:49], v25 sc0 sc1
.LBB5_404:                              ;   in Loop: Header=BB5_266 Depth=2
	s_or_b64 exec, exec, s[26:27]
	v_and_b32_e32 v0, 48, v62
	v_cmp_ne_u32_e32 vcc, 0, v0
	s_and_saveexec_b64 s[26:27], vcc
	s_cbranch_execz .LBB5_406
; %bb.405:                              ;   in Loop: Header=BB5_266 Depth=2
	v_lshl_add_u64 v[20:21], v[20:21], 0, 4
	flat_store_dwordx2 v[22:23], v[20:21] sc0 sc1
.LBB5_406:                              ;   in Loop: Header=BB5_266 Depth=2
	s_or_b64 exec, exec, s[26:27]
	v_mov_b32_e32 v0, v8
.LBB5_407:                              ;   in Loop: Header=BB5_266 Depth=2
	s_or_b64 exec, exec, s[30:31]
	s_and_saveexec_b64 s[30:31], s[28:29]
	s_cbranch_execz .LBB5_265
; %bb.408:                              ;   in Loop: Header=BB5_266 Depth=2
	v_and_b32_e32 v1, 12, v62
	v_cmp_ne_u32_e32 vcc, 0, v1
	s_mov_b64 s[28:29], -1
	s_and_saveexec_b64 s[26:27], vcc
	s_cbranch_execz .LBB5_420
; %bb.409:                              ;   in Loop: Header=BB5_266 Depth=2
	v_and_b32_e32 v2, 8, v62
	v_lshl_add_u64 v[4:5], v[32:33], 0, v[2:3]
	v_lshl_add_u64 v[10:11], v[20:21], 0, 4
	v_cmp_lt_u64_e32 vcc, v[4:5], v[10:11]
	v_mov_b32_e32 v1, 1
	s_and_saveexec_b64 s[28:29], vcc
	s_cbranch_execz .LBB5_419
; %bb.410:                              ;   in Loop: Header=BB5_266 Depth=2
	s_mov_b64 s[54:55], 0
	v_mov_b32_e32 v1, 0
                                        ; implicit-def: $sgpr56_sgpr57
	s_branch .LBB5_414
.LBB5_411:                              ;   in Loop: Header=BB5_414 Depth=3
	s_or_b64 exec, exec, s[64:65]
	v_mov_b32_e32 v4, 0
	s_orn2_b64 s[62:63], s[62:63], exec
.LBB5_412:                              ;   in Loop: Header=BB5_414 Depth=3
	s_or_b64 exec, exec, s[60:61]
	s_andn2_b64 vcc, s[56:57], exec
	s_and_b64 s[56:57], s[62:63], exec
	s_or_b64 s[56:57], vcc, s[56:57]
	v_mov_b32_e32 v1, v4
.LBB5_413:                              ;   in Loop: Header=BB5_414 Depth=3
	s_or_b64 exec, exec, s[58:59]
	s_waitcnt vmcnt(0) lgkmcnt(0)
	v_lshl_add_u64 v[4:5], v[32:33], 0, v[2:3]
	v_cmp_ge_u64_e32 vcc, v[4:5], v[10:11]
	s_xor_b64 s[58:59], s[56:57], -1
	s_or_b64 vcc, s[58:59], vcc
	s_and_b64 vcc, exec, vcc
	s_or_b64 s[54:55], vcc, s[54:55]
	s_andn2_b64 exec, exec, s[54:55]
	s_cbranch_execz .LBB5_418
.LBB5_414:                              ;   Parent Loop BB5_47 Depth=1
                                        ;     Parent Loop BB5_266 Depth=2
                                        ; =>    This Inner Loop Header: Depth=3
	s_sleep 1
	flat_load_dwordx2 v[32:33], v[22:23] sc0 sc1
	v_and_b32_e32 v4, 64, v62
	v_cmp_eq_u32_e32 vcc, 0, v4
	s_andn2_b64 s[56:57], s[56:57], exec
	s_and_saveexec_b64 s[58:59], vcc
	s_cbranch_execz .LBB5_413
; %bb.415:                              ;   in Loop: Header=BB5_414 Depth=3
	v_add_u32_e32 v4, 1, v1
	v_cmp_lt_i32_e32 vcc, s75, v1
	s_mov_b64 s[62:63], -1
	s_and_saveexec_b64 s[60:61], vcc
	s_cbranch_execz .LBB5_412
; %bb.416:                              ;   in Loop: Header=BB5_414 Depth=3
	s_trap 2
	ds_read_b64 v[4:5], v0
	s_waitcnt vmcnt(0) lgkmcnt(0)
	flat_load_dword v1, v[4:5] sc0 sc1
	s_waitcnt vmcnt(0) lgkmcnt(0)
	buffer_inv sc0 sc1
	v_cmp_ne_u32_e32 vcc, 0, v1
	s_and_saveexec_b64 s[64:65], vcc
	s_cbranch_execz .LBB5_411
; %bb.417:                              ;   in Loop: Header=BB5_414 Depth=3
	v_or_b32_e32 v62, 64, v62
	s_xor_b64 s[62:63], exec, -1
	ds_write_b32 v0, v1
	s_trap 2
	s_branch .LBB5_411
.LBB5_418:                              ;   in Loop: Header=BB5_266 Depth=2
	s_or_b64 exec, exec, s[54:55]
	v_and_b32_e32 v1, 12, v62
.LBB5_419:                              ;   in Loop: Header=BB5_266 Depth=2
	s_or_b64 exec, exec, s[28:29]
	v_cmp_eq_u32_e32 vcc, 0, v1
	s_orn2_b64 s[28:29], vcc, exec
	;;#ASMSTART
	s_wakeup
	;;#ASMEND
.LBB5_420:                              ;   in Loop: Header=BB5_266 Depth=2
	s_or_b64 exec, exec, s[26:27]
	v_sub_u32_e32 v0, v16, v0
	s_xor_b64 s[26:27], s[28:29], -1
	v_min_i32_e32 v8, v8, v0
	s_and_saveexec_b64 s[28:29], s[26:27]
	s_cbranch_execz .LBB5_444
; %bb.421:                              ;   in Loop: Header=BB5_266 Depth=2
	v_and_b32_e32 v0, 0x108, v62
	v_cmp_ne_u32_e32 vcc, s83, v0
	v_and_b32_e32 v2, 7, v20
	s_and_saveexec_b64 s[26:27], vcc
	s_xor_b64 s[26:27], exec, s[26:27]
	s_andn2_saveexec_b64 s[26:27], s[26:27]
	s_cbranch_execz .LBB5_423
; %bb.422:                              ;   in Loop: Header=BB5_266 Depth=2
	v_ashrrev_i32_e32 v9, 31, v8
	v_mad_u64_u32 v[0:1], vcc, v2, 24, v[52:53]
	v_lshlrev_b64 v[4:5], 1, v[8:9]
	flat_store_dwordx2 v[0:1], v[4:5] offset:8
.LBB5_423:                              ;   in Loop: Header=BB5_266 Depth=2
	s_or_b64 exec, exec, s[26:27]
	v_and_b32_e32 v0, 0x100, v62
	v_cmp_ne_u32_e32 vcc, 0, v0
	s_mov_b64 s[26:27], -1
                                        ; implicit-def: $vgpr4_vgpr5
	s_and_saveexec_b64 s[54:55], vcc
	s_cbranch_execz .LBB5_427
; %bb.424:                              ;   in Loop: Header=BB5_266 Depth=2
	v_mad_u64_u32 v[10:11], s[26:27], v2, 24, v[52:53]
	v_mov_b32_e32 v0, v11
	v_mad_u64_u32 v[0:1], s[26:27], v3, 24, v[0:1]
	v_mov_b32_e32 v11, v0
	flat_load_dword v0, v[10:11]
                                        ; implicit-def: $vgpr4_vgpr5
	s_waitcnt vmcnt(0) lgkmcnt(0)
	v_cmp_ne_u32_e32 vcc, 1, v0
	v_cmp_eq_u32_e64 s[26:27], 1, v0
	s_and_saveexec_b64 s[56:57], s[26:27]
	s_cbranch_execz .LBB5_426
; %bb.425:                              ;   in Loop: Header=BB5_266 Depth=2
	flat_load_dword v0, v[10:11] offset:4 sc0 sc1
	s_waitcnt vmcnt(0) lgkmcnt(0)
	v_ashrrev_i32_e32 v1, 31, v0
	v_lshrrev_b64 v[4:5], 1, v[0:1]
.LBB5_426:                              ;   in Loop: Header=BB5_266 Depth=2
	s_or_b64 exec, exec, s[56:57]
	s_orn2_b64 s[26:27], vcc, exec
.LBB5_427:                              ;   in Loop: Header=BB5_266 Depth=2
	s_or_b64 exec, exec, s[54:55]
	s_and_saveexec_b64 vcc, s[26:27]
; %bb.428:                              ;   in Loop: Header=BB5_266 Depth=2
	v_accvgpr_read_b32 v4, a32
	v_mul_lo_u32 v0, v3, v4
	v_mul_lo_u32 v1, v2, v55
	v_mad_u64_u32 v[4:5], s[26:27], v2, v4, 0
	v_add3_u32 v5, v5, v1, v0
; %bb.429:                              ;   in Loop: Header=BB5_266 Depth=2
	s_or_b64 exec, exec, vcc
	v_lshl_add_u64 v[0:1], v[4:5], 1, v[60:61]
	s_trap 2
	ds_write_b64 v0, v[0:1]
	v_and_b32_e32 v0, 0x2000, v62
	v_cmp_ne_u32_e32 vcc, 0, v0
	s_and_saveexec_b64 s[26:27], vcc
	s_cbranch_execz .LBB5_431
; %bb.430:                              ;   in Loop: Header=BB5_266 Depth=2
	ds_read_b64 v[0:1], v0 offset:584
	s_waitcnt lgkmcnt(0)
	v_lshl_add_u64 v[0:1], v[0:1], 0, 1
	ds_write_b64 v0, v[0:1] offset:584
.LBB5_431:                              ;   in Loop: Header=BB5_266 Depth=2
	s_or_b64 exec, exec, s[26:27]
	v_lshl_add_u64 v[20:21], v[20:21], 0, 4
	s_or_b64 exec, exec, s[28:29]
	s_and_saveexec_b64 s[26:27], s[6:7]
	s_cbranch_execnz .LBB5_445
.LBB5_432:                              ;   in Loop: Header=BB5_266 Depth=2
	s_or_b64 exec, exec, s[26:27]
                                        ; implicit-def: $vgpr0
	s_and_saveexec_b64 s[26:27], s[50:51]
	s_xor_b64 s[26:27], exec, s[26:27]
	s_cbranch_execz .LBB5_470
.LBB5_433:                              ;   in Loop: Header=BB5_266 Depth=2
	s_and_saveexec_b64 s[28:29], s[40:41]
	s_xor_b64 s[28:29], exec, s[28:29]
	s_cbranch_execz .LBB5_460
; %bb.434:                              ;   in Loop: Header=BB5_266 Depth=2
	s_and_saveexec_b64 s[54:55], s[14:15]
	s_cbranch_execz .LBB5_459
; %bb.435:                              ;   in Loop: Header=BB5_266 Depth=2
	s_mov_b64 s[58:59], exec
	v_mbcnt_lo_u32_b32 v0, s58, 0
	v_mbcnt_hi_u32_b32 v0, s59, v0
	v_cmp_eq_u32_e32 vcc, 0, v0
	;;#ASMSTART
	s_waitcnt lgkmcnt(0) vmcnt(0)
	;;#ASMEND
	s_and_saveexec_b64 s[56:57], vcc
	s_cbranch_execz .LBB5_437
; %bb.436:                              ;   in Loop: Header=BB5_266 Depth=2
	s_bcnt1_i32_b64 vcc_lo, s[58:59]
	v_mov_b32_e32 v2, vcc_lo
	ds_add_u64 v0, v[2:3]
	s_trap 2
.LBB5_437:                              ;   in Loop: Header=BB5_266 Depth=2
	s_or_b64 exec, exec, s[56:57]
	s_trap 2
	ds_read_b64 v[0:1], v0
	v_lshl_add_u64 v[12:13], v[12:13], 0, v[34:35]
	s_waitcnt lgkmcnt(0)
	v_cmp_lt_u64_e32 vcc, v[0:1], v[12:13]
	s_and_saveexec_b64 s[56:57], vcc
	s_cbranch_execz .LBB5_458
; %bb.438:                              ;   in Loop: Header=BB5_266 Depth=2
	s_mov_b32 s68, 0
	s_mov_b64 s[58:59], 0
                                        ; implicit-def: $sgpr60_sgpr61
                                        ; implicit-def: $sgpr62_sgpr63
	s_branch .LBB5_440
.LBB5_439:                              ;   in Loop: Header=BB5_440 Depth=3
	s_or_b64 exec, exec, s[66:67]
	s_and_b64 vcc, exec, vcc
	s_or_b64 s[58:59], vcc, s[58:59]
	s_andn2_b64 vcc, s[60:61], exec
	s_and_b64 s[60:61], s[62:63], exec
	s_or_b64 s[60:61], vcc, s[60:61]
	s_andn2_b64 exec, exec, s[58:59]
	s_cbranch_execz .LBB5_456
.LBB5_440:                              ;   Parent Loop BB5_47 Depth=1
                                        ;     Parent Loop BB5_266 Depth=2
                                        ; =>    This Inner Loop Header: Depth=3
	s_add_i32 s68, s68, 1
	s_cmpk_lg_i32 s68, 0x2710
	s_cselect_b64 s[64:65], -1, 0
	s_and_b64 vcc, exec, s[64:65]
                                        ; implicit-def: $sgpr66_sgpr67
	s_cbranch_vccnz .LBB5_442
; %bb.441:                              ;   in Loop: Header=BB5_440 Depth=3
	s_trap 2
	ds_read_b64 v[0:1], v0
	s_andn2_b64 s[64:65], s[64:65], exec
	s_mov_b32 s68, 0
	s_mov_b64 s[66:67], -1
	s_waitcnt vmcnt(0) lgkmcnt(0)
	flat_load_dword v0, v[0:1] sc0 sc1
	s_waitcnt vmcnt(0) lgkmcnt(0)
	buffer_inv sc0 sc1
	v_cmp_eq_u32_e32 vcc, 0, v0
	s_and_b64 vcc, vcc, exec
	s_or_b64 s[64:65], s[64:65], vcc
.LBB5_442:                              ;   in Loop: Header=BB5_440 Depth=3
	s_andn2_b64 s[62:63], s[62:63], exec
	s_and_b64 s[66:67], s[66:67], exec
	s_mov_b64 vcc, -1
	s_or_b64 s[62:63], s[62:63], s[66:67]
	s_and_saveexec_b64 s[66:67], s[64:65]
	s_cbranch_execz .LBB5_439
; %bb.443:                              ;   in Loop: Header=BB5_440 Depth=3
	s_sleep 1
	s_trap 2
	ds_read_b64 v[0:1], v0
	s_andn2_b64 s[62:63], s[62:63], exec
	s_waitcnt lgkmcnt(0)
	v_cmp_ge_u64_e32 vcc, v[0:1], v[12:13]
	s_orn2_b64 vcc, vcc, exec
	s_branch .LBB5_439
.LBB5_444:                              ;   in Loop: Header=BB5_266 Depth=2
	s_or_b64 exec, exec, s[28:29]
	s_and_saveexec_b64 s[26:27], s[6:7]
	s_cbranch_execz .LBB5_432
.LBB5_445:                              ;   in Loop: Header=BB5_266 Depth=2
	s_and_saveexec_b64 s[28:29], s[40:41]
	s_xor_b64 s[28:29], exec, s[28:29]
	s_cbranch_execz .LBB5_467
; %bb.446:                              ;   in Loop: Header=BB5_266 Depth=2
	s_and_saveexec_b64 s[54:55], s[14:15]
	s_cbranch_execz .LBB5_466
; %bb.447:                              ;   in Loop: Header=BB5_266 Depth=2
	s_mov_b64 s[58:59], exec
	v_mbcnt_lo_u32_b32 v0, s58, 0
	v_mbcnt_hi_u32_b32 v0, s59, v0
	v_cmp_eq_u32_e32 vcc, 0, v0
	s_waitcnt lgkmcnt(0)
	s_and_saveexec_b64 s[56:57], vcc
	s_cbranch_execz .LBB5_449
; %bb.448:                              ;   in Loop: Header=BB5_266 Depth=2
	s_bcnt1_i32_b64 vcc_lo, s[58:59]
	v_mov_b32_e32 v2, vcc_lo
	ds_add_u64 v0, v[2:3]
	s_trap 2
.LBB5_449:                              ;   in Loop: Header=BB5_266 Depth=2
	s_or_b64 exec, exec, s[56:57]
	s_trap 2
	ds_read_b64 v[0:1], v0
	v_lshl_add_u64 v[12:13], v[12:13], 0, v[34:35]
	s_waitcnt lgkmcnt(0)
	v_cmp_lt_u64_e32 vcc, v[0:1], v[12:13]
	s_and_saveexec_b64 s[56:57], vcc
	s_cbranch_execz .LBB5_465
; %bb.450:                              ;   in Loop: Header=BB5_266 Depth=2
	s_mov_b32 s68, 0
	s_mov_b64 s[58:59], 0
                                        ; implicit-def: $sgpr60_sgpr61
                                        ; implicit-def: $sgpr62_sgpr63
	s_branch .LBB5_452
.LBB5_451:                              ;   in Loop: Header=BB5_452 Depth=3
	s_or_b64 exec, exec, s[66:67]
	s_and_b64 vcc, exec, vcc
	s_or_b64 s[58:59], vcc, s[58:59]
	s_andn2_b64 vcc, s[60:61], exec
	s_and_b64 s[60:61], s[62:63], exec
	s_or_b64 s[60:61], vcc, s[60:61]
	s_andn2_b64 exec, exec, s[58:59]
	s_cbranch_execz .LBB5_463
.LBB5_452:                              ;   Parent Loop BB5_47 Depth=1
                                        ;     Parent Loop BB5_266 Depth=2
                                        ; =>    This Inner Loop Header: Depth=3
	s_add_i32 s68, s68, 1
	s_cmpk_lg_i32 s68, 0x2710
	s_cselect_b64 s[64:65], -1, 0
	s_and_b64 vcc, exec, s[64:65]
                                        ; implicit-def: $sgpr66_sgpr67
	s_cbranch_vccnz .LBB5_454
; %bb.453:                              ;   in Loop: Header=BB5_452 Depth=3
	s_trap 2
	ds_read_b64 v[0:1], v0
	s_andn2_b64 s[64:65], s[64:65], exec
	s_mov_b32 s68, 0
	s_mov_b64 s[66:67], -1
	s_waitcnt vmcnt(0) lgkmcnt(0)
	flat_load_dword v0, v[0:1] sc0 sc1
	s_waitcnt vmcnt(0) lgkmcnt(0)
	buffer_inv sc0 sc1
	v_cmp_eq_u32_e32 vcc, 0, v0
	s_and_b64 vcc, vcc, exec
	s_or_b64 s[64:65], s[64:65], vcc
.LBB5_454:                              ;   in Loop: Header=BB5_452 Depth=3
	s_andn2_b64 s[62:63], s[62:63], exec
	s_and_b64 s[66:67], s[66:67], exec
	s_mov_b64 vcc, -1
	s_or_b64 s[62:63], s[62:63], s[66:67]
	s_and_saveexec_b64 s[66:67], s[64:65]
	s_cbranch_execz .LBB5_451
; %bb.455:                              ;   in Loop: Header=BB5_452 Depth=3
	s_sleep 1
	s_trap 2
	ds_read_b64 v[0:1], v0
	s_andn2_b64 s[62:63], s[62:63], exec
	s_waitcnt lgkmcnt(0)
	v_cmp_ge_u64_e32 vcc, v[0:1], v[12:13]
	s_orn2_b64 vcc, vcc, exec
	s_branch .LBB5_451
.LBB5_456:                              ;   in Loop: Header=BB5_266 Depth=2
	s_or_b64 exec, exec, s[58:59]
	s_and_saveexec_b64 vcc, s[60:61]
	s_xor_b64 vcc, exec, vcc
	s_cbranch_execz .LBB5_458
; %bb.457:                              ;   in Loop: Header=BB5_266 Depth=2
	ds_write_b32 v0, v25
	s_trap 2
.LBB5_458:                              ;   in Loop: Header=BB5_266 Depth=2
	s_or_b64 exec, exec, s[56:57]
	;;#ASMSTART
	s_wakeup
	;;#ASMEND
.LBB5_459:                              ;   in Loop: Header=BB5_266 Depth=2
	s_or_b64 exec, exec, s[54:55]
.LBB5_460:                              ;   in Loop: Header=BB5_266 Depth=2
	s_andn2_saveexec_b64 s[28:29], s[28:29]
	s_cbranch_execz .LBB5_462
; %bb.461:                              ;   in Loop: Header=BB5_266 Depth=2
	;;#ASMSTART
	s_waitcnt lgkmcnt(0) vmcnt(0)
	;;#ASMEND
	s_barrier
.LBB5_462:                              ;   in Loop: Header=BB5_266 Depth=2
	s_or_b64 exec, exec, s[28:29]
	v_and_b32_e32 v0, 16, v62
                                        ; implicit-def: $vgpr8
	s_andn2_saveexec_b64 s[26:27], s[26:27]
	s_cbranch_execz .LBB5_474
	s_branch .LBB5_471
.LBB5_463:                              ;   in Loop: Header=BB5_266 Depth=2
	s_or_b64 exec, exec, s[58:59]
	s_and_saveexec_b64 vcc, s[60:61]
	s_xor_b64 vcc, exec, vcc
	s_cbranch_execz .LBB5_465
; %bb.464:                              ;   in Loop: Header=BB5_266 Depth=2
	ds_write_b32 v0, v25
	s_trap 2
.LBB5_465:                              ;   in Loop: Header=BB5_266 Depth=2
	s_or_b64 exec, exec, s[56:57]
	;;#ASMSTART
	s_wakeup
	;;#ASMEND
.LBB5_466:                              ;   in Loop: Header=BB5_266 Depth=2
	s_or_b64 exec, exec, s[54:55]
.LBB5_467:                              ;   in Loop: Header=BB5_266 Depth=2
	s_andn2_saveexec_b64 s[28:29], s[28:29]
	s_cbranch_execz .LBB5_469
; %bb.468:                              ;   in Loop: Header=BB5_266 Depth=2
	s_waitcnt lgkmcnt(0)
	s_barrier
.LBB5_469:                              ;   in Loop: Header=BB5_266 Depth=2
	s_or_b64 exec, exec, s[28:29]
	s_or_b64 exec, exec, s[26:27]
                                        ; implicit-def: $vgpr0
	s_and_saveexec_b64 s[26:27], s[50:51]
	s_xor_b64 s[26:27], exec, s[26:27]
	s_cbranch_execnz .LBB5_433
.LBB5_470:                              ;   in Loop: Header=BB5_266 Depth=2
	s_andn2_saveexec_b64 s[26:27], s[26:27]
	s_cbranch_execz .LBB5_474
.LBB5_471:                              ;   in Loop: Header=BB5_266 Depth=2
	s_trap 2
	ds_read_b32 v1, v0
	v_cmp_lt_i32_e32 vcc, 0, v8
	v_and_b32_e32 v2, 16, v62
	v_and_b32_e32 v0, 16, v62
	s_waitcnt lgkmcnt(0)
	v_readfirstlane_b32 s28, v1
	s_cmp_eq_u32 s28, 0
	s_cselect_b64 s[28:29], -1, 0
	s_and_b64 s[28:29], vcc, s[28:29]
	v_cmp_ne_u32_e32 vcc, 0, v2
	s_and_b64 vcc, vcc, s[28:29]
	s_and_saveexec_b64 s[28:29], vcc
	s_cbranch_execz .LBB5_473
; %bb.472:                              ;   in Loop: Header=BB5_266 Depth=2
	v_mov_b32_e32 v0, 1
	buffer_wbl2 sc1
	s_waitcnt vmcnt(0)
	buffer_inv sc1
.LBB5_473:                              ;   in Loop: Header=BB5_266 Depth=2
	s_or_b64 exec, exec, s[28:29]
.LBB5_474:                              ;   in Loop: Header=BB5_266 Depth=2
	s_or_b64 exec, exec, s[26:27]
	v_cmp_ne_u32_e32 vcc, 0, v0
	s_xor_b64 s[26:27], s[10:11], -1
	s_and_b64 s[28:29], vcc, s[26:27]
	s_and_saveexec_b64 s[26:27], s[28:29]
	s_cbranch_execz .LBB5_476
; %bb.475:                              ;   in Loop: Header=BB5_266 Depth=2
	flat_store_dword v[48:49], v25 sc0 sc1
.LBB5_476:                              ;   in Loop: Header=BB5_266 Depth=2
	s_or_b64 exec, exec, s[26:27]
	v_and_b32_e32 v0, 48, v62
	v_cmp_ne_u32_e32 vcc, 0, v0
	s_and_saveexec_b64 s[26:27], vcc
	s_cbranch_execz .LBB5_264
; %bb.477:                              ;   in Loop: Header=BB5_266 Depth=2
	v_lshl_add_u64 v[20:21], v[20:21], 0, 4
	flat_store_dwordx2 v[22:23], v[20:21] sc0 sc1
	s_branch .LBB5_264
.LBB5_478:                              ;   in Loop: Header=BB5_47 Depth=1
	v_mul_lo_u32 v0, v57, s72
	v_mul_lo_u32 v1, v56, s73
	v_mad_u64_u32 v[4:5], s[26:27], v56, s72, 0
	v_add3_u32 v5, v5, v1, v0
	v_sub_co_u32_e32 v0, vcc, v50, v4
	s_nop 1
	v_subb_co_u32_e32 v1, vcc, v51, v5, vcc
	v_cmp_lt_i64_e32 vcc, v[56:57], v[0:1]
	s_nop 1
	v_cndmask_b32_e32 v0, v0, v56, vcc
	v_max_i32_e32 v54, 0, v0
	v_add_u32_e32 v1, 15, v54
	v_ashrrev_i32_e32 v2, 31, v1
	v_lshrrev_b32_e32 v2, 28, v2
	v_add_u32_e32 v1, v1, v2
	v_cmp_gt_i32_e32 vcc, 1, v0
	v_and_b32_e32 v1, -16, v1
	s_or_b64 s[54:55], s[2:3], vcc
	v_max_i32_e32 v8, s79, v1
	s_xor_b64 s[26:27], s[54:55], -1
	v_mov_b32_e32 v0, 0
	s_and_saveexec_b64 s[56:57], s[26:27]
	s_cbranch_execz .LBB5_484
; %bb.479:                              ;   in Loop: Header=BB5_47 Depth=1
	s_and_saveexec_b64 s[26:27], s[0:1]
	s_cbranch_execz .LBB5_481
; %bb.480:                              ;   in Loop: Header=BB5_47 Depth=1
	s_trap 2
	ds_read2_b64 v[14:17], v0 offset1:1
	v_accvgpr_read_b32 v0, a38
	v_accvgpr_read_b32 v1, a39
	v_lshl_add_u64 v[0:1], v[4:5], 0, v[0:1]
	ds_read_b64 v[4:5], v0
	v_lshlrev_b64 v[0:1], 1, v[0:1]
	s_waitcnt lgkmcnt(0)
	v_lshl_add_u64 v[6:7], v[14:15], 0, v[0:1]
	ds_write_b64 v0, v[6:7]
	v_lshl_add_u64 v[6:7], v[16:17], 0, v[0:1]
	ds_write_b64 v0, v[6:7]
	v_lshl_add_u64 v[0:1], v[4:5], 0, v[0:1]
	v_cmp_ne_u64_e32 vcc, 0, v[4:5]
	s_nop 1
	v_cndmask_b32_e32 v1, 0, v1, vcc
	v_cndmask_b32_e32 v0, 0, v0, vcc
	ds_write_b64 v0, v[0:1]
.LBB5_481:                              ;   in Loop: Header=BB5_47 Depth=1
	s_or_b64 exec, exec, s[26:27]
	v_and_b32_e32 v0, 12, v62
	v_cmp_ne_u32_e32 vcc, 0, v0
	s_mov_b64 s[28:29], -1
	s_and_saveexec_b64 s[26:27], vcc
	s_cbranch_execz .LBB5_504
; %bb.482:                              ;   in Loop: Header=BB5_47 Depth=1
	v_and_b32_e32 v2, 8, v62
	v_lshl_add_u64 v[0:1], v[32:33], 0, v[2:3]
	v_lshl_add_u64 v[10:11], v[20:21], 0, 4
	v_cmp_lt_u64_e32 vcc, v[0:1], v[10:11]
	v_mov_b32_e32 v0, 1
	s_and_saveexec_b64 s[28:29], vcc
	s_cbranch_execz .LBB5_503
; %bb.483:                              ;   in Loop: Header=BB5_47 Depth=1
	s_mov_b64 s[30:31], 0
	v_mov_b32_e32 v0, 0
                                        ; implicit-def: $sgpr58_sgpr59
	s_branch .LBB5_491
.LBB5_484:                              ;   in Loop: Header=BB5_47 Depth=1
	s_or_b64 exec, exec, s[56:57]
	s_and_saveexec_b64 s[28:29], s[54:55]
	s_cbranch_execz .LBB5_728
.LBB5_485:                              ;   in Loop: Header=BB5_47 Depth=1
	v_and_b32_e32 v1, 12, v62
	v_cmp_ne_u32_e32 vcc, 0, v1
	s_mov_b64 s[30:31], -1
	s_and_saveexec_b64 s[26:27], vcc
	s_cbranch_execz .LBB5_530
; %bb.486:                              ;   in Loop: Header=BB5_47 Depth=1
	v_and_b32_e32 v2, 8, v62
	v_lshl_add_u64 v[4:5], v[32:33], 0, v[2:3]
	v_lshl_add_u64 v[10:11], v[20:21], 0, 4
	v_cmp_lt_u64_e32 vcc, v[4:5], v[10:11]
	v_mov_b32_e32 v1, 1
	s_and_saveexec_b64 s[30:31], vcc
	s_cbranch_execz .LBB5_529
; %bb.487:                              ;   in Loop: Header=BB5_47 Depth=1
	s_mov_b64 s[54:55], 0
	v_mov_b32_e32 v1, 0
                                        ; implicit-def: $sgpr56_sgpr57
	s_branch .LBB5_498
.LBB5_488:                              ;   in Loop: Header=BB5_491 Depth=2
	s_or_b64 exec, exec, s[66:67]
	v_mov_b32_e32 v1, 0
	s_orn2_b64 s[64:65], s[64:65], exec
.LBB5_489:                              ;   in Loop: Header=BB5_491 Depth=2
	s_or_b64 exec, exec, s[62:63]
	s_andn2_b64 vcc, s[58:59], exec
	s_and_b64 s[58:59], s[64:65], exec
	s_or_b64 s[58:59], vcc, s[58:59]
	v_mov_b32_e32 v0, v1
.LBB5_490:                              ;   in Loop: Header=BB5_491 Depth=2
	s_or_b64 exec, exec, s[60:61]
	s_waitcnt vmcnt(0) lgkmcnt(0)
	v_lshl_add_u64 v[4:5], v[32:33], 0, v[2:3]
	v_cmp_ge_u64_e32 vcc, v[4:5], v[10:11]
	s_xor_b64 s[60:61], s[58:59], -1
	s_or_b64 vcc, s[60:61], vcc
	s_and_b64 vcc, exec, vcc
	s_or_b64 s[30:31], vcc, s[30:31]
	s_andn2_b64 exec, exec, s[30:31]
	s_cbranch_execz .LBB5_502
.LBB5_491:                              ;   Parent Loop BB5_47 Depth=1
                                        ; =>  This Inner Loop Header: Depth=2
	s_sleep 1
	flat_load_dwordx2 v[32:33], v[22:23] sc0 sc1
	v_and_b32_e32 v1, 64, v62
	v_cmp_eq_u32_e32 vcc, 0, v1
	s_andn2_b64 s[58:59], s[58:59], exec
	s_and_saveexec_b64 s[60:61], vcc
	s_cbranch_execz .LBB5_490
; %bb.492:                              ;   in Loop: Header=BB5_491 Depth=2
	v_add_u32_e32 v1, 1, v0
	v_cmp_lt_i32_e32 vcc, s75, v0
	s_mov_b64 s[64:65], -1
	s_and_saveexec_b64 s[62:63], vcc
	s_cbranch_execz .LBB5_489
; %bb.493:                              ;   in Loop: Header=BB5_491 Depth=2
	s_trap 2
	ds_read_b64 v[0:1], v0
	s_waitcnt vmcnt(0) lgkmcnt(0)
	flat_load_dword v0, v[0:1] sc0 sc1
	s_waitcnt vmcnt(0) lgkmcnt(0)
	buffer_inv sc0 sc1
	v_cmp_ne_u32_e32 vcc, 0, v0
	s_and_saveexec_b64 s[66:67], vcc
	s_cbranch_execz .LBB5_488
; %bb.494:                              ;   in Loop: Header=BB5_491 Depth=2
	v_or_b32_e32 v62, 64, v62
	s_xor_b64 s[64:65], exec, -1
	ds_write_b32 v0, v0
	s_trap 2
	s_branch .LBB5_488
.LBB5_495:                              ;   in Loop: Header=BB5_498 Depth=2
	s_or_b64 exec, exec, s[64:65]
	v_mov_b32_e32 v4, 0
	s_orn2_b64 s[62:63], s[62:63], exec
.LBB5_496:                              ;   in Loop: Header=BB5_498 Depth=2
	s_or_b64 exec, exec, s[60:61]
	s_andn2_b64 vcc, s[56:57], exec
	s_and_b64 s[56:57], s[62:63], exec
	s_or_b64 s[56:57], vcc, s[56:57]
	v_mov_b32_e32 v1, v4
.LBB5_497:                              ;   in Loop: Header=BB5_498 Depth=2
	s_or_b64 exec, exec, s[58:59]
	s_waitcnt vmcnt(0) lgkmcnt(0)
	v_lshl_add_u64 v[4:5], v[32:33], 0, v[2:3]
	v_cmp_ge_u64_e32 vcc, v[4:5], v[10:11]
	s_xor_b64 s[58:59], s[56:57], -1
	s_or_b64 vcc, s[58:59], vcc
	s_and_b64 vcc, exec, vcc
	s_or_b64 s[54:55], vcc, s[54:55]
	s_andn2_b64 exec, exec, s[54:55]
	s_cbranch_execz .LBB5_528
.LBB5_498:                              ;   Parent Loop BB5_47 Depth=1
                                        ; =>  This Inner Loop Header: Depth=2
	s_sleep 1
	flat_load_dwordx2 v[32:33], v[22:23] sc0 sc1
	v_and_b32_e32 v4, 64, v62
	v_cmp_eq_u32_e32 vcc, 0, v4
	s_andn2_b64 s[56:57], s[56:57], exec
	s_and_saveexec_b64 s[58:59], vcc
	s_cbranch_execz .LBB5_497
; %bb.499:                              ;   in Loop: Header=BB5_498 Depth=2
	v_add_u32_e32 v4, 1, v1
	v_cmp_lt_i32_e32 vcc, s75, v1
	s_mov_b64 s[62:63], -1
	s_and_saveexec_b64 s[60:61], vcc
	s_cbranch_execz .LBB5_496
; %bb.500:                              ;   in Loop: Header=BB5_498 Depth=2
	s_trap 2
	ds_read_b64 v[4:5], v0
	s_waitcnt vmcnt(0) lgkmcnt(0)
	flat_load_dword v1, v[4:5] sc0 sc1
	s_waitcnt vmcnt(0) lgkmcnt(0)
	buffer_inv sc0 sc1
	v_cmp_ne_u32_e32 vcc, 0, v1
	s_and_saveexec_b64 s[64:65], vcc
	s_cbranch_execz .LBB5_495
; %bb.501:                              ;   in Loop: Header=BB5_498 Depth=2
	v_or_b32_e32 v62, 64, v62
	s_xor_b64 s[62:63], exec, -1
	ds_write_b32 v0, v1
	s_trap 2
	s_branch .LBB5_495
.LBB5_502:                              ;   in Loop: Header=BB5_47 Depth=1
	s_or_b64 exec, exec, s[30:31]
	v_and_b32_e32 v0, 12, v62
.LBB5_503:                              ;   in Loop: Header=BB5_47 Depth=1
	s_or_b64 exec, exec, s[28:29]
	v_cmp_eq_u32_e32 vcc, 0, v0
	s_orn2_b64 s[28:29], vcc, exec
	;;#ASMSTART
	s_wakeup
	;;#ASMEND
.LBB5_504:                              ;   in Loop: Header=BB5_47 Depth=1
	s_or_b64 exec, exec, s[26:27]
	s_xor_b64 s[26:27], s[28:29], -1
	v_min_i32_e32 v8, v8, v54
	s_and_saveexec_b64 s[28:29], s[26:27]
	s_cbranch_execz .LBB5_516
; %bb.505:                              ;   in Loop: Header=BB5_47 Depth=1
	v_and_b32_e32 v0, 0x108, v62
	v_cmp_ne_u32_e32 vcc, s83, v0
	v_and_b32_e32 v2, 7, v20
	s_and_saveexec_b64 s[26:27], vcc
	s_xor_b64 s[26:27], exec, s[26:27]
	s_andn2_saveexec_b64 s[26:27], s[26:27]
	s_cbranch_execz .LBB5_507
; %bb.506:                              ;   in Loop: Header=BB5_47 Depth=1
	v_ashrrev_i32_e32 v9, 31, v8
	v_mad_u64_u32 v[0:1], vcc, v2, 24, v[52:53]
	v_lshlrev_b64 v[4:5], 1, v[8:9]
	flat_store_dwordx2 v[0:1], v[4:5] offset:8
.LBB5_507:                              ;   in Loop: Header=BB5_47 Depth=1
	s_or_b64 exec, exec, s[26:27]
	v_and_b32_e32 v0, 0x100, v62
	v_cmp_ne_u32_e32 vcc, 0, v0
	s_mov_b64 s[26:27], -1
                                        ; implicit-def: $vgpr4_vgpr5
	s_and_saveexec_b64 s[30:31], vcc
	s_cbranch_execz .LBB5_511
; %bb.508:                              ;   in Loop: Header=BB5_47 Depth=1
	v_mad_u64_u32 v[10:11], s[26:27], v2, 24, v[52:53]
	v_mov_b32_e32 v0, v11
	v_mad_u64_u32 v[0:1], s[26:27], v3, 24, v[0:1]
	v_mov_b32_e32 v11, v0
	flat_load_dword v0, v[10:11]
                                        ; implicit-def: $vgpr4_vgpr5
	s_waitcnt vmcnt(0) lgkmcnt(0)
	v_cmp_ne_u32_e32 vcc, 1, v0
	v_cmp_eq_u32_e64 s[26:27], 1, v0
	s_and_saveexec_b64 s[58:59], s[26:27]
	s_cbranch_execz .LBB5_510
; %bb.509:                              ;   in Loop: Header=BB5_47 Depth=1
	flat_load_dword v0, v[10:11] offset:4 sc0 sc1
	s_waitcnt vmcnt(0) lgkmcnt(0)
	v_ashrrev_i32_e32 v1, 31, v0
	v_lshrrev_b64 v[4:5], 1, v[0:1]
.LBB5_510:                              ;   in Loop: Header=BB5_47 Depth=1
	s_or_b64 exec, exec, s[58:59]
	s_orn2_b64 s[26:27], vcc, exec
.LBB5_511:                              ;   in Loop: Header=BB5_47 Depth=1
	s_or_b64 exec, exec, s[30:31]
	s_and_saveexec_b64 vcc, s[26:27]
; %bb.512:                              ;   in Loop: Header=BB5_47 Depth=1
	v_accvgpr_read_b32 v4, a32
	v_mul_lo_u32 v0, v3, v4
	v_mul_lo_u32 v1, v2, v55
	v_mad_u64_u32 v[4:5], s[26:27], v2, v4, 0
	v_add3_u32 v5, v5, v1, v0
; %bb.513:                              ;   in Loop: Header=BB5_47 Depth=1
	s_or_b64 exec, exec, vcc
	v_lshl_add_u64 v[0:1], v[4:5], 1, v[60:61]
	s_trap 2
	ds_write_b64 v0, v[0:1]
	v_and_b32_e32 v0, 0x2000, v62
	v_cmp_ne_u32_e32 vcc, 0, v0
	s_and_saveexec_b64 s[26:27], vcc
	s_cbranch_execz .LBB5_515
; %bb.514:                              ;   in Loop: Header=BB5_47 Depth=1
	ds_read_b64 v[0:1], v0 offset:584
	s_waitcnt lgkmcnt(0)
	v_lshl_add_u64 v[0:1], v[0:1], 0, 1
	ds_write_b64 v0, v[0:1] offset:584
.LBB5_515:                              ;   in Loop: Header=BB5_47 Depth=1
	s_or_b64 exec, exec, s[26:27]
	v_lshl_add_u64 v[20:21], v[20:21], 0, 4
.LBB5_516:                              ;   in Loop: Header=BB5_47 Depth=1
	s_or_b64 exec, exec, s[28:29]
	s_and_saveexec_b64 s[26:27], s[6:7]
	s_cbranch_execz .LBB5_565
; %bb.517:                              ;   in Loop: Header=BB5_47 Depth=1
	s_and_saveexec_b64 s[28:29], s[40:41]
	s_xor_b64 s[28:29], exec, s[28:29]
	s_cbranch_execz .LBB5_562
; %bb.518:                              ;   in Loop: Header=BB5_47 Depth=1
	s_and_saveexec_b64 s[30:31], s[14:15]
	s_cbranch_execz .LBB5_561
; %bb.519:                              ;   in Loop: Header=BB5_47 Depth=1
	s_mov_b64 s[60:61], exec
	v_mbcnt_lo_u32_b32 v0, s60, 0
	v_mbcnt_hi_u32_b32 v0, s61, v0
	v_cmp_eq_u32_e32 vcc, 0, v0
	s_waitcnt lgkmcnt(0)
	s_and_saveexec_b64 s[58:59], vcc
	s_cbranch_execz .LBB5_521
; %bb.520:                              ;   in Loop: Header=BB5_47 Depth=1
	s_bcnt1_i32_b64 vcc_lo, s[60:61]
	v_mov_b32_e32 v2, vcc_lo
	ds_add_u64 v0, v[2:3]
	s_trap 2
.LBB5_521:                              ;   in Loop: Header=BB5_47 Depth=1
	s_or_b64 exec, exec, s[58:59]
	s_trap 2
	ds_read_b64 v[0:1], v0
	v_lshl_add_u64 v[12:13], v[12:13], 0, v[34:35]
	s_waitcnt lgkmcnt(0)
	v_cmp_lt_u64_e32 vcc, v[0:1], v[12:13]
	s_and_saveexec_b64 s[58:59], vcc
	s_cbranch_execz .LBB5_560
; %bb.522:                              ;   in Loop: Header=BB5_47 Depth=1
	s_mov_b32 s70, 0
	s_mov_b64 s[60:61], 0
                                        ; implicit-def: $sgpr62_sgpr63
                                        ; implicit-def: $sgpr64_sgpr65
	s_branch .LBB5_524
.LBB5_523:                              ;   in Loop: Header=BB5_524 Depth=2
	s_or_b64 exec, exec, s[68:69]
	s_and_b64 vcc, exec, vcc
	s_or_b64 s[60:61], vcc, s[60:61]
	s_andn2_b64 vcc, s[62:63], exec
	s_and_b64 s[62:63], s[64:65], exec
	s_or_b64 s[62:63], vcc, s[62:63]
	s_andn2_b64 exec, exec, s[60:61]
	s_cbranch_execz .LBB5_558
.LBB5_524:                              ;   Parent Loop BB5_47 Depth=1
                                        ; =>  This Inner Loop Header: Depth=2
	s_add_i32 s70, s70, 1
	s_cmpk_lg_i32 s70, 0x2710
	s_cselect_b64 s[66:67], -1, 0
	s_and_b64 vcc, exec, s[66:67]
                                        ; implicit-def: $sgpr68_sgpr69
	s_cbranch_vccnz .LBB5_526
; %bb.525:                              ;   in Loop: Header=BB5_524 Depth=2
	s_trap 2
	ds_read_b64 v[0:1], v0
	s_andn2_b64 s[66:67], s[66:67], exec
	s_mov_b32 s70, 0
	s_mov_b64 s[68:69], -1
	s_waitcnt vmcnt(0) lgkmcnt(0)
	flat_load_dword v0, v[0:1] sc0 sc1
	s_waitcnt vmcnt(0) lgkmcnt(0)
	buffer_inv sc0 sc1
	v_cmp_eq_u32_e32 vcc, 0, v0
	s_and_b64 vcc, vcc, exec
	s_or_b64 s[66:67], s[66:67], vcc
.LBB5_526:                              ;   in Loop: Header=BB5_524 Depth=2
	s_andn2_b64 s[64:65], s[64:65], exec
	s_and_b64 s[68:69], s[68:69], exec
	s_mov_b64 vcc, -1
	s_or_b64 s[64:65], s[64:65], s[68:69]
	s_and_saveexec_b64 s[68:69], s[66:67]
	s_cbranch_execz .LBB5_523
; %bb.527:                              ;   in Loop: Header=BB5_524 Depth=2
	s_sleep 1
	s_trap 2
	ds_read_b64 v[0:1], v0
	s_andn2_b64 s[64:65], s[64:65], exec
	s_waitcnt lgkmcnt(0)
	v_cmp_ge_u64_e32 vcc, v[0:1], v[12:13]
	s_orn2_b64 vcc, vcc, exec
	s_branch .LBB5_523
.LBB5_528:                              ;   in Loop: Header=BB5_47 Depth=1
	s_or_b64 exec, exec, s[54:55]
	v_and_b32_e32 v1, 12, v62
.LBB5_529:                              ;   in Loop: Header=BB5_47 Depth=1
	s_or_b64 exec, exec, s[30:31]
	v_cmp_eq_u32_e32 vcc, 0, v1
	s_orn2_b64 s[30:31], vcc, exec
	;;#ASMSTART
	s_wakeup
	;;#ASMEND
.LBB5_530:                              ;   in Loop: Header=BB5_47 Depth=1
	s_or_b64 exec, exec, s[26:27]
	v_sub_u32_e32 v0, v54, v0
	s_xor_b64 s[26:27], s[30:31], -1
	v_min_i32_e32 v8, v8, v0
	s_and_saveexec_b64 s[30:31], s[26:27]
	s_cbranch_execz .LBB5_546
; %bb.531:                              ;   in Loop: Header=BB5_47 Depth=1
	v_and_b32_e32 v0, 0x108, v62
	v_cmp_ne_u32_e32 vcc, s83, v0
	v_and_b32_e32 v2, 7, v20
	s_and_saveexec_b64 s[26:27], vcc
	s_xor_b64 s[26:27], exec, s[26:27]
	s_andn2_saveexec_b64 s[26:27], s[26:27]
	s_cbranch_execz .LBB5_533
; %bb.532:                              ;   in Loop: Header=BB5_47 Depth=1
	v_ashrrev_i32_e32 v9, 31, v8
	v_mad_u64_u32 v[0:1], vcc, v2, 24, v[52:53]
	v_lshlrev_b64 v[4:5], 1, v[8:9]
	flat_store_dwordx2 v[0:1], v[4:5] offset:8
.LBB5_533:                              ;   in Loop: Header=BB5_47 Depth=1
	s_or_b64 exec, exec, s[26:27]
	v_and_b32_e32 v0, 0x100, v62
	v_cmp_ne_u32_e32 vcc, 0, v0
	s_mov_b64 s[26:27], -1
                                        ; implicit-def: $vgpr4_vgpr5
	s_and_saveexec_b64 s[54:55], vcc
	s_cbranch_execz .LBB5_537
; %bb.534:                              ;   in Loop: Header=BB5_47 Depth=1
	v_mad_u64_u32 v[10:11], s[26:27], v2, 24, v[52:53]
	v_mov_b32_e32 v0, v11
	v_mad_u64_u32 v[0:1], s[26:27], v3, 24, v[0:1]
	v_mov_b32_e32 v11, v0
	flat_load_dword v0, v[10:11]
                                        ; implicit-def: $vgpr4_vgpr5
	s_waitcnt vmcnt(0) lgkmcnt(0)
	v_cmp_ne_u32_e32 vcc, 1, v0
	v_cmp_eq_u32_e64 s[26:27], 1, v0
	s_and_saveexec_b64 s[56:57], s[26:27]
	s_cbranch_execz .LBB5_536
; %bb.535:                              ;   in Loop: Header=BB5_47 Depth=1
	flat_load_dword v0, v[10:11] offset:4 sc0 sc1
	s_waitcnt vmcnt(0) lgkmcnt(0)
	v_ashrrev_i32_e32 v1, 31, v0
	v_lshrrev_b64 v[4:5], 1, v[0:1]
.LBB5_536:                              ;   in Loop: Header=BB5_47 Depth=1
	s_or_b64 exec, exec, s[56:57]
	s_orn2_b64 s[26:27], vcc, exec
.LBB5_537:                              ;   in Loop: Header=BB5_47 Depth=1
	s_or_b64 exec, exec, s[54:55]
	s_and_saveexec_b64 vcc, s[26:27]
; %bb.538:                              ;   in Loop: Header=BB5_47 Depth=1
	v_accvgpr_read_b32 v4, a32
	v_mul_lo_u32 v0, v3, v4
	v_mul_lo_u32 v1, v2, v55
	v_mad_u64_u32 v[4:5], s[26:27], v2, v4, 0
	v_add3_u32 v5, v5, v1, v0
; %bb.539:                              ;   in Loop: Header=BB5_47 Depth=1
	s_or_b64 exec, exec, vcc
	v_lshl_add_u64 v[0:1], v[4:5], 1, v[60:61]
	s_trap 2
	ds_write_b64 v0, v[0:1]
	v_and_b32_e32 v0, 0x2000, v62
	v_cmp_ne_u32_e32 vcc, 0, v0
	s_and_saveexec_b64 s[26:27], vcc
	s_cbranch_execz .LBB5_541
; %bb.540:                              ;   in Loop: Header=BB5_47 Depth=1
	ds_read_b64 v[0:1], v0 offset:584
	s_waitcnt lgkmcnt(0)
	v_lshl_add_u64 v[0:1], v[0:1], 0, 1
	ds_write_b64 v0, v[0:1] offset:584
.LBB5_541:                              ;   in Loop: Header=BB5_47 Depth=1
	s_or_b64 exec, exec, s[26:27]
	v_lshl_add_u64 v[20:21], v[20:21], 0, 4
	s_or_b64 exec, exec, s[30:31]
	s_and_saveexec_b64 s[26:27], s[6:7]
	s_cbranch_execnz .LBB5_547
.LBB5_542:                              ;   in Loop: Header=BB5_47 Depth=1
	s_or_b64 exec, exec, s[26:27]
                                        ; implicit-def: $vgpr0
	s_and_saveexec_b64 s[26:27], s[22:23]
	s_xor_b64 s[26:27], exec, s[26:27]
	s_cbranch_execz .LBB5_584
.LBB5_543:                              ;   in Loop: Header=BB5_47 Depth=1
	s_trap 2
	ds_read_b32 v1, v0
	v_cmp_lt_i32_e32 vcc, 0, v8
	v_and_b32_e32 v2, 16, v62
	v_and_b32_e32 v0, 16, v62
	s_waitcnt lgkmcnt(0)
	v_readfirstlane_b32 s30, v1
	s_cmp_eq_u32 s30, 0
	s_cselect_b64 s[30:31], -1, 0
	s_and_b64 s[30:31], vcc, s[30:31]
	v_cmp_ne_u32_e32 vcc, 0, v2
	s_and_b64 s[30:31], vcc, s[30:31]
	s_and_saveexec_b64 vcc, s[30:31]
	s_cbranch_execz .LBB5_545
; %bb.544:                              ;   in Loop: Header=BB5_47 Depth=1
	v_mov_b32_e32 v0, 1
	buffer_wbl2 sc1
	s_waitcnt vmcnt(0)
	buffer_inv sc1
.LBB5_545:                              ;   in Loop: Header=BB5_47 Depth=1
	s_or_b64 exec, exec, vcc
	s_andn2_saveexec_b64 s[26:27], s[26:27]
	s_cbranch_execz .LBB5_692
	s_branch .LBB5_585
.LBB5_546:                              ;   in Loop: Header=BB5_47 Depth=1
	s_or_b64 exec, exec, s[30:31]
	s_and_saveexec_b64 s[26:27], s[6:7]
	s_cbranch_execz .LBB5_542
.LBB5_547:                              ;   in Loop: Header=BB5_47 Depth=1
	s_and_saveexec_b64 vcc, s[40:41]
	s_xor_b64 s[30:31], exec, vcc
	s_cbranch_execz .LBB5_581
; %bb.548:                              ;   in Loop: Header=BB5_47 Depth=1
	s_and_saveexec_b64 s[54:55], s[14:15]
	s_cbranch_execz .LBB5_580
; %bb.549:                              ;   in Loop: Header=BB5_47 Depth=1
	s_mov_b64 s[58:59], exec
	v_mbcnt_lo_u32_b32 v0, s58, 0
	v_mbcnt_hi_u32_b32 v0, s59, v0
	v_cmp_eq_u32_e32 vcc, 0, v0
	s_waitcnt lgkmcnt(0)
	s_and_saveexec_b64 s[56:57], vcc
	s_cbranch_execz .LBB5_551
; %bb.550:                              ;   in Loop: Header=BB5_47 Depth=1
	s_bcnt1_i32_b64 vcc_lo, s[58:59]
	v_mov_b32_e32 v2, vcc_lo
	ds_add_u64 v0, v[2:3]
	s_trap 2
.LBB5_551:                              ;   in Loop: Header=BB5_47 Depth=1
	s_or_b64 exec, exec, s[56:57]
	s_trap 2
	ds_read_b64 v[0:1], v0
	v_lshl_add_u64 v[12:13], v[12:13], 0, v[34:35]
	s_waitcnt lgkmcnt(0)
	v_cmp_lt_u64_e32 vcc, v[0:1], v[12:13]
	s_and_saveexec_b64 s[56:57], vcc
	s_cbranch_execz .LBB5_579
; %bb.552:                              ;   in Loop: Header=BB5_47 Depth=1
	s_mov_b32 s68, 0
	s_mov_b64 s[58:59], 0
                                        ; implicit-def: $sgpr60_sgpr61
                                        ; implicit-def: $sgpr62_sgpr63
	s_branch .LBB5_554
.LBB5_553:                              ;   in Loop: Header=BB5_554 Depth=2
	s_or_b64 exec, exec, s[66:67]
	s_and_b64 vcc, exec, vcc
	s_or_b64 s[58:59], vcc, s[58:59]
	s_andn2_b64 vcc, s[60:61], exec
	s_and_b64 s[60:61], s[62:63], exec
	s_or_b64 s[60:61], vcc, s[60:61]
	s_andn2_b64 exec, exec, s[58:59]
	s_cbranch_execz .LBB5_577
.LBB5_554:                              ;   Parent Loop BB5_47 Depth=1
                                        ; =>  This Inner Loop Header: Depth=2
	s_add_i32 s68, s68, 1
	s_cmpk_lg_i32 s68, 0x2710
	s_cselect_b64 s[64:65], -1, 0
	s_and_b64 vcc, exec, s[64:65]
                                        ; implicit-def: $sgpr66_sgpr67
	s_cbranch_vccnz .LBB5_556
; %bb.555:                              ;   in Loop: Header=BB5_554 Depth=2
	s_trap 2
	ds_read_b64 v[0:1], v0
	s_andn2_b64 s[64:65], s[64:65], exec
	s_mov_b32 s68, 0
	s_mov_b64 s[66:67], -1
	s_waitcnt vmcnt(0) lgkmcnt(0)
	flat_load_dword v0, v[0:1] sc0 sc1
	s_waitcnt vmcnt(0) lgkmcnt(0)
	buffer_inv sc0 sc1
	v_cmp_eq_u32_e32 vcc, 0, v0
	s_and_b64 vcc, vcc, exec
	s_or_b64 s[64:65], s[64:65], vcc
.LBB5_556:                              ;   in Loop: Header=BB5_554 Depth=2
	s_andn2_b64 s[62:63], s[62:63], exec
	s_and_b64 s[66:67], s[66:67], exec
	s_mov_b64 vcc, -1
	s_or_b64 s[62:63], s[62:63], s[66:67]
	s_and_saveexec_b64 s[66:67], s[64:65]
	s_cbranch_execz .LBB5_553
; %bb.557:                              ;   in Loop: Header=BB5_554 Depth=2
	s_sleep 1
	s_trap 2
	ds_read_b64 v[0:1], v0
	s_andn2_b64 s[62:63], s[62:63], exec
	s_waitcnt lgkmcnt(0)
	v_cmp_ge_u64_e32 vcc, v[0:1], v[12:13]
	s_orn2_b64 vcc, vcc, exec
	s_branch .LBB5_553
.LBB5_558:                              ;   in Loop: Header=BB5_47 Depth=1
	s_or_b64 exec, exec, s[60:61]
	s_and_saveexec_b64 vcc, s[62:63]
	s_xor_b64 vcc, exec, vcc
	s_cbranch_execz .LBB5_560
; %bb.559:                              ;   in Loop: Header=BB5_47 Depth=1
	ds_write_b32 v0, v25
	s_trap 2
.LBB5_560:                              ;   in Loop: Header=BB5_47 Depth=1
	s_or_b64 exec, exec, s[58:59]
	;;#ASMSTART
	s_wakeup
	;;#ASMEND
.LBB5_561:                              ;   in Loop: Header=BB5_47 Depth=1
	s_or_b64 exec, exec, s[30:31]
.LBB5_562:                              ;   in Loop: Header=BB5_47 Depth=1
	s_andn2_saveexec_b64 s[28:29], s[28:29]
	s_cbranch_execz .LBB5_564
; %bb.563:                              ;   in Loop: Header=BB5_47 Depth=1
	s_waitcnt lgkmcnt(0)
	s_barrier
.LBB5_564:                              ;   in Loop: Header=BB5_47 Depth=1
	s_or_b64 exec, exec, s[28:29]
.LBB5_565:                              ;   in Loop: Header=BB5_47 Depth=1
	s_or_b64 exec, exec, s[26:27]
	s_trap 2
	ds_read_b32 v0, v0
	v_and_b32_e32 v1, 0x4000, v62
	v_cmp_ne_u32_e32 vcc, 0, v1
	s_xor_b64 s[26:27], s[4:5], -1
	s_and_b64 s[28:29], s[26:27], vcc
	s_and_saveexec_b64 s[26:27], s[28:29]
	s_cbranch_execz .LBB5_603
; %bb.566:                              ;   in Loop: Header=BB5_47 Depth=1
	s_and_saveexec_b64 s[28:29], s[40:41]
	s_xor_b64 s[28:29], exec, s[28:29]
	s_cbranch_execz .LBB5_600
; %bb.567:                              ;   in Loop: Header=BB5_47 Depth=1
	s_and_saveexec_b64 s[30:31], s[14:15]
	s_cbranch_execz .LBB5_599
; %bb.568:                              ;   in Loop: Header=BB5_47 Depth=1
	s_mov_b64 s[60:61], exec
	v_mbcnt_lo_u32_b32 v1, s60, 0
	v_mbcnt_hi_u32_b32 v1, s61, v1
	v_cmp_eq_u32_e32 vcc, 0, v1
	s_waitcnt lgkmcnt(0)
	s_and_saveexec_b64 s[58:59], vcc
	s_cbranch_execz .LBB5_570
; %bb.569:                              ;   in Loop: Header=BB5_47 Depth=1
	s_bcnt1_i32_b64 vcc_lo, s[60:61]
	v_mov_b32_e32 v2, vcc_lo
	ds_add_u64 v0, v[2:3]
	s_trap 2
.LBB5_570:                              ;   in Loop: Header=BB5_47 Depth=1
	s_or_b64 exec, exec, s[58:59]
	s_trap 2
	ds_read_b64 v[4:5], v0
	v_lshl_add_u64 v[12:13], v[12:13], 0, v[34:35]
	s_waitcnt lgkmcnt(0)
	v_cmp_lt_u64_e32 vcc, v[4:5], v[12:13]
	s_and_saveexec_b64 s[58:59], vcc
	s_cbranch_execz .LBB5_598
; %bb.571:                              ;   in Loop: Header=BB5_47 Depth=1
	s_mov_b32 s70, 0
	s_mov_b64 s[60:61], 0
                                        ; implicit-def: $sgpr62_sgpr63
                                        ; implicit-def: $sgpr64_sgpr65
	s_branch .LBB5_573
.LBB5_572:                              ;   in Loop: Header=BB5_573 Depth=2
	s_or_b64 exec, exec, s[68:69]
	s_and_b64 vcc, exec, vcc
	s_or_b64 s[60:61], vcc, s[60:61]
	s_andn2_b64 vcc, s[62:63], exec
	s_and_b64 s[62:63], s[64:65], exec
	s_or_b64 s[62:63], vcc, s[62:63]
	s_andn2_b64 exec, exec, s[60:61]
	s_cbranch_execz .LBB5_596
.LBB5_573:                              ;   Parent Loop BB5_47 Depth=1
                                        ; =>  This Inner Loop Header: Depth=2
	s_add_i32 s70, s70, 1
	s_cmpk_lg_i32 s70, 0x2710
	s_cselect_b64 s[66:67], -1, 0
	s_and_b64 vcc, exec, s[66:67]
                                        ; implicit-def: $sgpr68_sgpr69
	s_cbranch_vccnz .LBB5_575
; %bb.574:                              ;   in Loop: Header=BB5_573 Depth=2
	s_trap 2
	ds_read_b64 v[4:5], v0
	s_andn2_b64 s[66:67], s[66:67], exec
	s_mov_b32 s70, 0
	s_mov_b64 s[68:69], -1
	s_waitcnt vmcnt(0) lgkmcnt(0)
	flat_load_dword v1, v[4:5] sc0 sc1
	s_waitcnt vmcnt(0) lgkmcnt(0)
	buffer_inv sc0 sc1
	v_cmp_eq_u32_e32 vcc, 0, v1
	s_and_b64 vcc, vcc, exec
	s_or_b64 s[66:67], s[66:67], vcc
.LBB5_575:                              ;   in Loop: Header=BB5_573 Depth=2
	s_andn2_b64 s[64:65], s[64:65], exec
	s_and_b64 s[68:69], s[68:69], exec
	s_mov_b64 vcc, -1
	s_or_b64 s[64:65], s[64:65], s[68:69]
	s_and_saveexec_b64 s[68:69], s[66:67]
	s_cbranch_execz .LBB5_572
; %bb.576:                              ;   in Loop: Header=BB5_573 Depth=2
	s_sleep 1
	s_trap 2
	ds_read_b64 v[4:5], v0
	s_andn2_b64 s[64:65], s[64:65], exec
	s_waitcnt lgkmcnt(0)
	v_cmp_ge_u64_e32 vcc, v[4:5], v[12:13]
	s_orn2_b64 vcc, vcc, exec
	s_branch .LBB5_572
.LBB5_577:                              ;   in Loop: Header=BB5_47 Depth=1
	s_or_b64 exec, exec, s[58:59]
	s_and_saveexec_b64 vcc, s[60:61]
	s_xor_b64 vcc, exec, vcc
	s_cbranch_execz .LBB5_579
; %bb.578:                              ;   in Loop: Header=BB5_47 Depth=1
	ds_write_b32 v0, v25
	s_trap 2
.LBB5_579:                              ;   in Loop: Header=BB5_47 Depth=1
	s_or_b64 exec, exec, s[56:57]
	;;#ASMSTART
	s_wakeup
	;;#ASMEND
.LBB5_580:                              ;   in Loop: Header=BB5_47 Depth=1
	s_or_b64 exec, exec, s[54:55]
.LBB5_581:                              ;   in Loop: Header=BB5_47 Depth=1
	s_andn2_saveexec_b64 vcc, s[30:31]
	s_cbranch_execz .LBB5_583
; %bb.582:                              ;   in Loop: Header=BB5_47 Depth=1
	s_waitcnt lgkmcnt(0)
	s_barrier
.LBB5_583:                              ;   in Loop: Header=BB5_47 Depth=1
	s_or_b64 exec, exec, vcc
	s_or_b64 exec, exec, s[26:27]
                                        ; implicit-def: $vgpr0
	s_and_saveexec_b64 s[26:27], s[22:23]
	s_xor_b64 s[26:27], exec, s[26:27]
	s_cbranch_execnz .LBB5_543
.LBB5_584:                              ;   in Loop: Header=BB5_47 Depth=1
	s_andn2_saveexec_b64 s[26:27], s[26:27]
	s_cbranch_execz .LBB5_692
.LBB5_585:                              ;   in Loop: Header=BB5_47 Depth=1
	s_and_saveexec_b64 vcc, s[40:41]
	s_xor_b64 s[30:31], exec, vcc
	s_cbranch_execz .LBB5_689
; %bb.586:                              ;   in Loop: Header=BB5_47 Depth=1
	s_and_saveexec_b64 s[54:55], s[14:15]
	s_cbranch_execz .LBB5_688
; %bb.587:                              ;   in Loop: Header=BB5_47 Depth=1
	s_mov_b64 s[58:59], exec
	v_mbcnt_lo_u32_b32 v0, s58, 0
	v_mbcnt_hi_u32_b32 v0, s59, v0
	v_cmp_eq_u32_e32 vcc, 0, v0
	;;#ASMSTART
	s_waitcnt lgkmcnt(0) vmcnt(0)
	;;#ASMEND
	s_and_saveexec_b64 s[56:57], vcc
	s_cbranch_execz .LBB5_589
; %bb.588:                              ;   in Loop: Header=BB5_47 Depth=1
	s_bcnt1_i32_b64 vcc_lo, s[58:59]
	v_mov_b32_e32 v2, vcc_lo
	ds_add_u64 v0, v[2:3]
	s_trap 2
.LBB5_589:                              ;   in Loop: Header=BB5_47 Depth=1
	s_or_b64 exec, exec, s[56:57]
	s_trap 2
	ds_read_b64 v[0:1], v0
	v_lshl_add_u64 v[12:13], v[12:13], 0, v[34:35]
	s_waitcnt lgkmcnt(0)
	v_cmp_lt_u64_e32 vcc, v[0:1], v[12:13]
	s_and_saveexec_b64 s[56:57], vcc
	s_cbranch_execz .LBB5_687
; %bb.590:                              ;   in Loop: Header=BB5_47 Depth=1
	s_mov_b32 s68, 0
	s_mov_b64 s[58:59], 0
                                        ; implicit-def: $sgpr60_sgpr61
                                        ; implicit-def: $sgpr62_sgpr63
	s_branch .LBB5_592
.LBB5_591:                              ;   in Loop: Header=BB5_592 Depth=2
	s_or_b64 exec, exec, s[66:67]
	s_and_b64 vcc, exec, vcc
	s_or_b64 s[58:59], vcc, s[58:59]
	s_andn2_b64 vcc, s[60:61], exec
	s_and_b64 s[60:61], s[62:63], exec
	s_or_b64 s[60:61], vcc, s[60:61]
	s_andn2_b64 exec, exec, s[58:59]
	s_cbranch_execz .LBB5_685
.LBB5_592:                              ;   Parent Loop BB5_47 Depth=1
                                        ; =>  This Inner Loop Header: Depth=2
	s_add_i32 s68, s68, 1
	s_cmpk_lg_i32 s68, 0x2710
	s_cselect_b64 s[64:65], -1, 0
	s_and_b64 vcc, exec, s[64:65]
                                        ; implicit-def: $sgpr66_sgpr67
	s_cbranch_vccnz .LBB5_594
; %bb.593:                              ;   in Loop: Header=BB5_592 Depth=2
	s_trap 2
	ds_read_b64 v[0:1], v0
	s_andn2_b64 s[64:65], s[64:65], exec
	s_mov_b32 s68, 0
	s_mov_b64 s[66:67], -1
	s_waitcnt vmcnt(0) lgkmcnt(0)
	flat_load_dword v0, v[0:1] sc0 sc1
	s_waitcnt vmcnt(0) lgkmcnt(0)
	buffer_inv sc0 sc1
	v_cmp_eq_u32_e32 vcc, 0, v0
	s_and_b64 vcc, vcc, exec
	s_or_b64 s[64:65], s[64:65], vcc
.LBB5_594:                              ;   in Loop: Header=BB5_592 Depth=2
	s_andn2_b64 s[62:63], s[62:63], exec
	s_and_b64 s[66:67], s[66:67], exec
	s_mov_b64 vcc, -1
	s_or_b64 s[62:63], s[62:63], s[66:67]
	s_and_saveexec_b64 s[66:67], s[64:65]
	s_cbranch_execz .LBB5_591
; %bb.595:                              ;   in Loop: Header=BB5_592 Depth=2
	s_sleep 1
	s_trap 2
	ds_read_b64 v[0:1], v0
	s_andn2_b64 s[62:63], s[62:63], exec
	s_waitcnt lgkmcnt(0)
	v_cmp_ge_u64_e32 vcc, v[0:1], v[12:13]
	s_orn2_b64 vcc, vcc, exec
	s_branch .LBB5_591
.LBB5_596:                              ;   in Loop: Header=BB5_47 Depth=1
	s_or_b64 exec, exec, s[60:61]
	s_and_saveexec_b64 vcc, s[62:63]
	s_xor_b64 vcc, exec, vcc
	s_cbranch_execz .LBB5_598
; %bb.597:                              ;   in Loop: Header=BB5_47 Depth=1
	ds_write_b32 v0, v25
	s_trap 2
.LBB5_598:                              ;   in Loop: Header=BB5_47 Depth=1
	s_or_b64 exec, exec, s[58:59]
	;;#ASMSTART
	s_wakeup
	;;#ASMEND
.LBB5_599:                              ;   in Loop: Header=BB5_47 Depth=1
	s_or_b64 exec, exec, s[30:31]
.LBB5_600:                              ;   in Loop: Header=BB5_47 Depth=1
	s_andn2_saveexec_b64 s[28:29], s[28:29]
	s_cbranch_execz .LBB5_602
; %bb.601:                              ;   in Loop: Header=BB5_47 Depth=1
	s_waitcnt lgkmcnt(0)
	s_barrier
.LBB5_602:                              ;   in Loop: Header=BB5_47 Depth=1
	s_or_b64 exec, exec, s[28:29]
.LBB5_603:                              ;   in Loop: Header=BB5_47 Depth=1
	s_or_b64 exec, exec, s[26:27]
	s_trap 2
	s_waitcnt lgkmcnt(0)
	ds_read_b64 v[4:5], v0
	s_waitcnt lgkmcnt(0)
	v_readfirstlane_b32 s26, v4
	v_readfirstlane_b32 s27, v5
	s_cmp_eq_u64 s[26:27], 0
	s_cselect_b64 s[26:27], -1, 0
	s_or_b64 s[28:29], s[26:27], s[26:27]
	s_mov_b64 s[26:27], 0
	s_and_b64 vcc, exec, s[28:29]
	s_cbranch_vccnz .LBB5_611
; %bb.604:                              ;   in Loop: Header=BB5_47 Depth=1
	s_trap 2
	ds_read_b64 v[4:5], v0
	v_cmp_eq_u32_e64 s[26:27], 0, v0
	s_waitcnt lgkmcnt(0)
	v_cmp_ne_u64_e32 vcc, 0, v[4:5]
	v_cndmask_b32_e64 v37, 0, v8, s[26:27]
	s_cbranch_vccz .LBB5_616
; %bb.605:                              ;   in Loop: Header=BB5_47 Depth=1
	s_trap 2
	ds_read_b64 v[30:31], v0
	s_mov_b64 s[26:27], -1
	s_and_saveexec_b64 s[28:29], s[20:21]
	s_cbranch_execz .LBB5_607
; %bb.606:                              ;   in Loop: Header=BB5_47 Depth=1
	ds_read_b32 v0, v0 offset:720
	s_waitcnt lgkmcnt(0)
	v_and_b32_e32 v0, 15, v0
	v_cmp_eq_u32_e32 vcc, 0, v0
	s_orn2_b64 s[26:27], vcc, exec
.LBB5_607:                              ;   in Loop: Header=BB5_47 Depth=1
	s_or_b64 exec, exec, s[28:29]
	s_and_saveexec_b64 s[28:29], s[20:21]
	s_cbranch_execz .LBB5_609
; %bb.608:                              ;   in Loop: Header=BB5_47 Depth=1
	ds_read_b32 v0, v0 offset:784
	s_waitcnt lgkmcnt(0)
	v_and_b32_e32 v0, 15, v0
	v_cmp_eq_u32_e32 vcc, 0, v0
	s_and_b64 vcc, s[26:27], vcc
	s_andn2_b64 s[26:27], s[26:27], exec
	s_and_b64 vcc, vcc, exec
	s_or_b64 s[26:27], s[26:27], vcc
.LBB5_609:                              ;   in Loop: Header=BB5_47 Depth=1
	s_or_b64 exec, exec, s[28:29]
	s_xor_b64 s[26:27], s[26:27], -1
	v_cndmask_b32_e64 v0, 0, 1, s[26:27]
	v_lshlrev_b32_e32 v10, 1, v37
	s_mov_b64 s[28:29], -1
	;;#ASMSTART
	;;#ASMEND
	v_mov_b32_e32 v2, 0
	v_cmp_ne_u32_e32 vcc, 0, v0
	s_cbranch_vccz .LBB5_617
; %bb.610:                              ;   in Loop: Header=BB5_47 Depth=1
	v_mov_b32_e32 v0, v59
	v_mov_b32_e32 v9, v58
	s_and_saveexec_b64 s[30:31], s[28:29]
	s_cbranch_execnz .LBB5_634
	s_branch .LBB5_644
.LBB5_611:                              ;   in Loop: Header=BB5_47 Depth=1
	s_and_saveexec_b64 s[28:29], s[6:7]
	s_cbranch_execnz .LBB5_674
.LBB5_612:                              ;   in Loop: Header=BB5_47 Depth=1
	s_or_b64 exec, exec, s[28:29]
                                        ; implicit-def: $vgpr0
	s_and_saveexec_b64 s[28:29], s[22:23]
	s_xor_b64 s[28:29], exec, s[28:29]
	s_cbranch_execz .LBB5_704
.LBB5_613:                              ;   in Loop: Header=BB5_47 Depth=1
	v_and_b32_e32 v1, 16, v62
	v_cmp_ne_u32_e32 vcc, 0, v1
	v_and_b32_e32 v0, 16, v62
	s_and_b64 vcc, vcc, s[26:27]
	s_and_saveexec_b64 s[26:27], vcc
	s_cbranch_execz .LBB5_615
; %bb.614:                              ;   in Loop: Header=BB5_47 Depth=1
	v_mov_b32_e32 v0, 1
	buffer_wbl2 sc1
	s_waitcnt vmcnt(0) lgkmcnt(0)
	buffer_inv sc1
.LBB5_615:                              ;   in Loop: Header=BB5_47 Depth=1
	s_or_b64 exec, exec, s[26:27]
	s_andn2_saveexec_b64 s[26:27], s[28:29]
	s_cbranch_execz .LBB5_723
	s_branch .LBB5_705
.LBB5_616:                              ;   in Loop: Header=BB5_47 Depth=1
	s_cbranch_execnz .LBB5_645
	s_branch .LBB5_673
.LBB5_617:                              ;   in Loop: Header=BB5_47 Depth=1
	v_accvgpr_read_b32 v0, a20
	v_accvgpr_read_b32 v1, a21
	v_ashrrev_i32_e32 v1, 31, v10
	v_lshrrev_b32_e32 v1, 22, v1
	v_add_u32_e32 v1, v10, v1
	v_and_b32_e32 v4, 0xfffffc00, v1
	v_sub_u32_e32 v5, v10, v4
	v_ashrrev_i32_e32 v2, 10, v1
	v_cmp_lt_i32_e64 s[26:27], 15, v5
	v_accvgpr_read_b32 v1, a35
	v_sub_u32_e32 v0, v10, v0
	v_addc_co_u32_e64 v11, vcc, v2, v1, s[26:27]
	v_cmp_lt_i32_e32 vcc, 15, v0
	s_and_saveexec_b64 s[58:59], vcc
	s_cbranch_execz .LBB5_623
; %bb.618:                              ;   in Loop: Header=BB5_47 Depth=1
	v_accvgpr_write_b32 a45, v5
	v_accvgpr_write_b32 a44, v4
	s_trap 2
	ds_read_b128 v[4:7], v0
	v_accvgpr_read_b32 v14, a20
	v_accvgpr_read_b32 v15, a21
	s_waitcnt lgkmcnt(0)
	v_accvgpr_write_b32 a43, v31
	v_accvgpr_write_b32 a42, v30
	v_lshl_add_u64 v[16:17], v[30:31], 0, v[14:15]
	v_lshl_add_u64 v[30:31], v[4:5], 0, v[14:15]
	;; [unrolled: 1-line block ×3, first 2 shown]
	v_accvgpr_write_b32 a41, v37
	v_accvgpr_write_b32 a40, v54
	s_mov_b64 s[60:61], 0
	v_mov_b64_e32 v[18:19], v[30:31]
	v_mov_b64_e32 v[14:15], v[46:47]
.LBB5_619:                              ;   Parent Loop BB5_47 Depth=1
                                        ; =>  This Loop Header: Depth=2
                                        ;       Child Loop BB5_620 Depth 3
	global_load_dwordx4 v[4:7], v[18:19], off nt
	global_load_dwordx4 v[52:55], v[14:15], off nt
	;; [unrolled: 1-line block ×3, first 2 shown]
	s_mov_b64 s[62:63], -1
	s_mov_b64 s[64:65], 0
	s_waitcnt vmcnt(0)
	v_mul_f16_e32 v1, v4, v52
	v_mul_f16_sdwa v2, v4, v52 dst_sel:DWORD dst_unused:UNUSED_PAD src0_sel:WORD_1 src1_sel:WORD_1
	v_mul_f16_e32 v4, v5, v53
	v_mul_f16_sdwa v5, v5, v53 dst_sel:DWORD dst_unused:UNUSED_PAD src0_sel:WORD_1 src1_sel:WORD_1
	;; [unrolled: 2-line block ×4, first 2 shown]
	v_lshlrev_b32_e32 v37, 16, v5
	v_lshlrev_b32_e32 v39, 16, v2
	;; [unrolled: 1-line block ×4, first 2 shown]
	v_mul_f16_e32 v52, v1, v26
	v_mul_f16_sdwa v26, v2, v26 dst_sel:WORD_1 dst_unused:UNUSED_PAD src0_sel:DWORD src1_sel:WORD_1
	v_mul_f16_e32 v53, v4, v27
	v_mul_f16_sdwa v5, v5, v27 dst_sel:WORD_1 dst_unused:UNUSED_PAD src0_sel:DWORD src1_sel:WORD_1
	;; [unrolled: 2-line block ×4, first 2 shown]
	v_or_b32_e32 v29, v37, v4
	v_or3_b32 v2, v39, v1, 0
	v_or_b32_e32 v1, v48, v36
	v_or3_b32 v48, v49, v9, 0
	v_or_b32_e32 v9, v5, v53
	v_or_b32_e32 v4, v26, v52
	v_or_b32_e32 v5, v7, v28
	v_or_b32_e32 v36, v6, v27
	v_or3_b32 v37, 0, 0, v29
	v_or3_b32 v49, 0, 0, v1
.LBB5_620:                              ;   Parent Loop BB5_47 Depth=1
                                        ;     Parent Loop BB5_619 Depth=2
                                        ; =>    This Inner Loop Header: Depth=3
	v_cndmask_b32_e64 v1, 0, 1, s[62:63]
	v_cndmask_b32_e64 v27, v37, v9, s[62:63]
	v_readfirstlane_b32 s28, v1
	s_cmp_lg_u32 s28, 1
	s_cselect_b64 vcc, -1, 0
	s_cmp_eq_u32 s64, 1
	s_cselect_b64 s[28:29], -1, 0
	v_cndmask_b32_e64 v26, v2, v4, s[62:63]
	v_cndmask_b32_e64 v29, v49, v5, s[62:63]
	;; [unrolled: 1-line block ×3, first 2 shown]
	v_cndmask_b32_e32 v7, v31, v47, vcc
	v_cndmask_b32_e32 v6, v30, v46, vcc
	v_cndmask_b32_e64 v53, v31, v47, s[28:29]
	s_cmp_eq_u32 s64, 0
	v_cndmask_b32_e64 v52, v30, v46, s[28:29]
	global_store_dwordx4 v[6:7], v[26:29], off nt
	v_lshl_add_u64 v[6:7], v[52:53], 0, s[42:43]
	s_cselect_b64 s[30:31], -1, 0
	s_mov_b64 s[62:63], 0
	s_mov_b64 s[64:65], 1
	s_and_b64 vcc, exec, vcc
	v_cndmask_b32_e64 v47, v47, v7, s[28:29]
	v_cndmask_b32_e64 v46, v46, v6, s[28:29]
	;; [unrolled: 1-line block ×4, first 2 shown]
	s_cbranch_vccz .LBB5_620
; %bb.621:                              ;   in Loop: Header=BB5_619 Depth=2
	v_accvgpr_read_b32 v4, a26
	v_sub_u32_e32 v0, v0, v38
	v_accvgpr_read_b32 v5, a27
	v_cmp_gt_i32_e32 vcc, 16, v0
	v_lshl_add_u64 v[18:19], v[18:19], 0, v[42:43]
	v_lshl_add_u64 v[14:15], v[14:15], 0, v[42:43]
	;; [unrolled: 1-line block ×5, first 2 shown]
	s_or_b64 s[60:61], vcc, s[60:61]
	v_sub_u32_e32 v11, v11, v34
	s_andn2_b64 exec, exec, s[60:61]
	s_cbranch_execnz .LBB5_619
; %bb.622:                              ;   in Loop: Header=BB5_47 Depth=1
	s_or_b64 exec, exec, s[60:61]
	v_accvgpr_read_b32 v53, a13
	v_accvgpr_read_b32 v49, a17
	;; [unrolled: 1-line block ×13, first 2 shown]
	v_mov_b32_e32 v25, 1
	v_accvgpr_read_b32 v54, a40
	v_accvgpr_read_b32 v37, a41
	;; [unrolled: 1-line block ×5, first 2 shown]
.LBB5_623:                              ;   in Loop: Header=BB5_47 Depth=1
	s_or_b64 exec, exec, s[58:59]
	v_and_b32_e32 v1, 14, v10
	v_cndmask_b32_e64 v39, v5, v1, s[26:27]
	v_cmp_ne_u32_e32 vcc, 0, v39
	s_mov_b64 s[28:29], 0
	v_mov_b32_e32 v2, 0
                                        ; implicit-def: $vgpr10
                                        ; implicit-def: $vgpr0
                                        ; implicit-def: $vgpr9
	s_and_saveexec_b64 s[58:59], vcc
	s_cbranch_execz .LBB5_633
; %bb.624:                              ;   in Loop: Header=BB5_47 Depth=1
	v_sub_u32_e32 v0, v5, v1
	v_cndmask_b32_e64 v0, 0, v0, s[26:27]
	v_cmp_lt_i32_e32 vcc, 0, v11
	v_add_u32_e32 v14, v0, v4
	v_accvgpr_read_b32 v1, a34
	v_cndmask_b32_e32 v0, 0, v34, vcc
	v_sub_u32_e32 v0, v0, v11
	v_lshl_add_u32 v0, v0, 6, v1
	v_ashrrev_i32_e32 v1, 31, v0
	v_lshrrev_b32_e32 v1, 26, v1
	v_ashrrev_i32_e32 v4, 31, v39
	v_add_u32_e32 v1, v0, v1
	v_lshrrev_b32_e32 v4, 22, v4
	v_ashrrev_i32_e32 v2, 6, v1
	v_and_b32_e32 v1, 0xffffffc0, v1
	v_add_u32_e32 v4, v39, v4
	v_sub_u32_e32 v6, v0, v1
	v_and_b32_e32 v7, 0xfffffc00, v4
	v_lshlrev_b32_e32 v0, 4, v6
	v_sub_u32_e32 v15, v39, v7
	v_lshl_add_u32 v1, v2, 10, v0
	v_ashrrev_i32_e32 v5, 10, v4
	v_cmp_lt_i32_e64 s[26:27], 15, v15
	v_sub_u32_e32 v0, v39, v1
	s_nop 0
	v_addc_co_u32_e64 v4, vcc, 0, v5, s[26:27]
	v_sub_u32_e32 v11, v4, v2
	v_cmp_lt_i32_e32 vcc, 15, v0
	s_and_saveexec_b64 s[60:61], vcc
	s_cbranch_execz .LBB5_630
; %bb.625:                              ;   in Loop: Header=BB5_47 Depth=1
	v_accvgpr_write_b32 a46, v7
	v_accvgpr_write_b32 a45, v6
	s_trap 2
	ds_read_b128 v[4:7], v0
	v_accvgpr_write_b32 a44, v14
	v_add_u32_e32 v14, v1, v14
	v_accvgpr_write_b32 a47, v15
	v_ashrrev_i32_e32 v15, 31, v14
	s_waitcnt lgkmcnt(0)
	v_accvgpr_write_b32 a43, v31
	v_accvgpr_write_b32 a42, v30
	v_lshl_add_u64 v[16:17], v[14:15], 0, v[30:31]
	v_lshl_add_u64 v[46:47], v[4:5], 0, v[14:15]
	v_lshl_add_u64 v[30:31], v[6:7], 0, v[14:15]
	v_accvgpr_write_b32 a41, v37
	v_accvgpr_write_b32 a40, v54
	s_mov_b64 s[62:63], 0
	v_mov_b64_e32 v[18:19], v[46:47]
	v_mov_b64_e32 v[14:15], v[30:31]
.LBB5_626:                              ;   Parent Loop BB5_47 Depth=1
                                        ; =>  This Loop Header: Depth=2
                                        ;       Child Loop BB5_627 Depth 3
	global_load_dwordx4 v[4:7], v[18:19], off nt
	global_load_dwordx4 v[26:29], v[14:15], off nt
	;; [unrolled: 1-line block ×3, first 2 shown]
	s_mov_b64 s[64:65], -1
	s_mov_b64 s[66:67], 0
	s_waitcnt vmcnt(0)
	v_mul_f16_e32 v1, v4, v26
	v_mul_f16_sdwa v2, v4, v26 dst_sel:DWORD dst_unused:UNUSED_PAD src0_sel:WORD_1 src1_sel:WORD_1
	v_mul_f16_e32 v4, v5, v27
	v_mul_f16_sdwa v5, v5, v27 dst_sel:DWORD dst_unused:UNUSED_PAD src0_sel:WORD_1 src1_sel:WORD_1
	;; [unrolled: 2-line block ×4, first 2 shown]
	v_lshlrev_b32_e32 v26, 16, v5
	v_lshlrev_b32_e32 v27, 16, v2
	;; [unrolled: 1-line block ×4, first 2 shown]
	v_mul_f16_e32 v36, v1, v52
	v_mul_f16_sdwa v37, v2, v52 dst_sel:WORD_1 dst_unused:UNUSED_PAD src0_sel:DWORD src1_sel:WORD_1
	v_mul_f16_e32 v49, v4, v53
	v_mul_f16_sdwa v5, v5, v53 dst_sel:WORD_1 dst_unused:UNUSED_PAD src0_sel:DWORD src1_sel:WORD_1
	v_mul_f16_e32 v52, v9, v54
	v_mul_f16_sdwa v6, v6, v54 dst_sel:WORD_1 dst_unused:UNUSED_PAD src0_sel:DWORD src1_sel:WORD_1
	v_mul_f16_e32 v53, v10, v55
	v_mul_f16_sdwa v7, v7, v55 dst_sel:WORD_1 dst_unused:UNUSED_PAD src0_sel:DWORD src1_sel:WORD_1
	v_or_b32_e32 v26, v26, v4
	v_or3_b32 v2, v27, v1, 0
	v_or_b32_e32 v1, v28, v10
	v_or3_b32 v48, v29, v9, 0
	v_or_b32_e32 v9, v5, v49
	v_or_b32_e32 v4, v37, v36
	;; [unrolled: 1-line block ×4, first 2 shown]
	v_or3_b32 v37, 0, 0, v26
	v_or3_b32 v49, 0, 0, v1
.LBB5_627:                              ;   Parent Loop BB5_47 Depth=1
                                        ;     Parent Loop BB5_626 Depth=2
                                        ; =>    This Inner Loop Header: Depth=3
	v_cndmask_b32_e64 v1, 0, 1, s[64:65]
	v_cndmask_b32_e64 v27, v37, v9, s[64:65]
	v_readfirstlane_b32 s28, v1
	s_cmp_lg_u32 s28, 1
	s_cselect_b64 vcc, -1, 0
	s_cmp_eq_u32 s66, 1
	s_cselect_b64 s[28:29], -1, 0
	v_cndmask_b32_e64 v26, v2, v4, s[64:65]
	v_cndmask_b32_e64 v29, v49, v5, s[64:65]
	;; [unrolled: 1-line block ×3, first 2 shown]
	v_cndmask_b32_e32 v7, v47, v31, vcc
	v_cndmask_b32_e32 v6, v46, v30, vcc
	v_cndmask_b32_e64 v53, v47, v31, s[28:29]
	s_cmp_eq_u32 s66, 0
	v_cndmask_b32_e64 v52, v46, v30, s[28:29]
	global_store_dwordx4 v[6:7], v[26:29], off nt
	v_lshl_add_u64 v[6:7], v[52:53], 0, s[42:43]
	s_cselect_b64 s[30:31], -1, 0
	s_mov_b64 s[64:65], 0
	s_mov_b64 s[66:67], 1
	s_and_b64 vcc, exec, vcc
	v_cndmask_b32_e64 v31, v31, v7, s[28:29]
	v_cndmask_b32_e64 v30, v30, v6, s[28:29]
	;; [unrolled: 1-line block ×4, first 2 shown]
	s_cbranch_vccz .LBB5_627
; %bb.628:                              ;   in Loop: Header=BB5_626 Depth=2
	v_accvgpr_read_b32 v4, a26
	v_sub_u32_e32 v0, v0, v38
	v_accvgpr_read_b32 v5, a27
	v_cmp_gt_i32_e32 vcc, 16, v0
	v_lshl_add_u64 v[18:19], v[18:19], 0, v[42:43]
	v_lshl_add_u64 v[14:15], v[14:15], 0, v[42:43]
	v_lshl_add_u64 v[46:47], v[46:47], 0, v[4:5]
	v_lshl_add_u64 v[30:31], v[30:31], 0, v[4:5]
	v_lshl_add_u64 v[16:17], v[16:17], 0, v[42:43]
	s_or_b64 s[62:63], vcc, s[62:63]
	v_sub_u32_e32 v11, v11, v34
	s_andn2_b64 exec, exec, s[62:63]
	s_cbranch_execnz .LBB5_626
; %bb.629:                              ;   in Loop: Header=BB5_47 Depth=1
	s_or_b64 exec, exec, s[62:63]
	v_accvgpr_read_b32 v53, a13
	v_accvgpr_read_b32 v49, a17
	;; [unrolled: 1-line block ×13, first 2 shown]
	v_mov_b32_e32 v25, 1
	v_accvgpr_read_b32 v54, a40
	v_accvgpr_read_b32 v37, a41
	v_accvgpr_read_b32 v31, a43
	v_accvgpr_read_b32 v14, a44
	v_accvgpr_read_b32 v6, a45
	v_accvgpr_read_b32 v7, a46
	v_accvgpr_read_b32 v15, a47
.LBB5_630:                              ;   in Loop: Header=BB5_47 Depth=1
	s_or_b64 exec, exec, s[60:61]
	v_and_b32_e32 v1, 14, v39
	v_cndmask_b32_e64 v10, v15, v1, s[26:27]
	v_cmp_ne_u32_e32 vcc, 0, v10
	s_mov_b64 s[28:29], 0
	v_mov_b32_e32 v2, 0
                                        ; implicit-def: $vgpr0
                                        ; implicit-def: $vgpr9
	s_and_saveexec_b64 s[30:31], vcc
	s_cbranch_execz .LBB5_632
; %bb.631:                              ;   in Loop: Header=BB5_47 Depth=1
	v_sub_u32_e32 v0, v15, v1
	v_cndmask_b32_e64 v0, 0, v0, s[26:27]
	v_cmp_lt_i32_e32 vcc, 0, v11
	v_add3_u32 v2, v7, v14, v0
	s_mov_b64 s[28:29], exec
	v_cndmask_b32_e32 v0, 0, v34, vcc
	v_sub_u32_e32 v0, v0, v11
	v_lshl_add_u32 v0, v0, 6, v6
	v_ashrrev_i32_e32 v1, 31, v0
	v_lshrrev_b32_e32 v1, 26, v1
	v_add_u32_e32 v1, v0, v1
	v_ashrrev_i32_e32 v9, 6, v1
.LBB5_632:                              ;   in Loop: Header=BB5_47 Depth=1
	s_or_b64 exec, exec, s[30:31]
	s_and_b64 s[28:29], s[28:29], exec
.LBB5_633:                              ;   in Loop: Header=BB5_47 Depth=1
	s_or_b64 exec, exec, s[58:59]
	s_and_saveexec_b64 s[30:31], s[28:29]
	s_cbranch_execz .LBB5_644
.LBB5_634:                              ;   in Loop: Header=BB5_47 Depth=1
	v_ashrrev_i32_e32 v1, 31, v10
	v_lshrrev_b32_e32 v1, 23, v1
	v_add_u32_e32 v1, v10, v1
	v_ashrrev_i32_e32 v5, 9, v1
	v_sub_u32_e32 v1, v5, v9
	v_ashrrev_i32_e32 v4, 31, v0
	v_cmp_lt_i32_e32 vcc, 0, v1
	v_lshrrev_b32_e32 v4, 26, v4
	s_and_saveexec_b64 s[26:27], vcc
	s_cbranch_execz .LBB5_638
; %bb.635:                              ;   in Loop: Header=BB5_47 Depth=1
	v_add_u32_e32 v6, v0, v4
	v_and_b32_e32 v6, 0x7fffffc0, v6
	s_trap 2
	ds_read_b128 v[16:19], v0
	v_sub_u32_e32 v6, v0, v6
	v_lshlrev_b32_e32 v6, 1, v6
	v_lshlrev_b32_e32 v7, 9, v9
	v_add3_u32 v6, v6, v2, v7
	v_ashrrev_i32_e32 v7, 31, v6
	s_waitcnt lgkmcnt(0)
	v_accvgpr_write_b32 a43, v31
	v_lshl_add_u64 v[16:17], v[16:17], 0, v[6:7]
	v_lshl_add_u64 v[18:19], v[18:19], 0, v[6:7]
	v_accvgpr_write_b32 a40, v37
	v_accvgpr_write_b32 a42, v30
	v_lshl_add_u64 v[14:15], v[6:7], 0, v[30:31]
	s_mov_b64 s[28:29], 0
	v_mov_b64_e32 v[30:31], v[16:17]
	v_mov_b64_e32 v[48:49], v[18:19]
.LBB5_636:                              ;   Parent Loop BB5_47 Depth=1
                                        ; =>  This Inner Loop Header: Depth=2
	flat_load_ushort v6, v[16:17] nt
	flat_load_ushort v7, v[16:17] offset:128 nt
	flat_load_ushort v9, v[16:17] offset:256 nt
	;; [unrolled: 1-line block ×5, first 2 shown]
	flat_load_ushort v28, v[18:19] nt
	flat_load_ushort v29, v[18:19] offset:128 nt
	flat_load_ushort v36, v[18:19] offset:256 nt
	flat_load_ushort v37, v[18:19] offset:384 nt
	flat_load_ushort v39, v[14:15] nt
	flat_load_ushort v52, v[14:15] offset:128 nt
	v_sub_u32_e32 v1, v1, v34
	v_cmp_gt_i32_e32 vcc, 1, v1
	v_lshl_add_u64 v[16:17], v[16:17], 0, v[40:41]
	v_lshl_add_u64 v[18:19], v[18:19], 0, v[40:41]
	;; [unrolled: 1-line block ×3, first 2 shown]
	s_or_b64 s[28:29], vcc, s[28:29]
	s_waitcnt vmcnt(0) lgkmcnt(0)
	v_mul_f16_e32 v6, v6, v28
	v_mul_f16_e32 v7, v7, v29
	;; [unrolled: 1-line block ×8, first 2 shown]
	flat_store_short v[30:31], v28 nt
	flat_store_short v[30:31], v29 offset:128 nt
	flat_store_short v[30:31], v26 offset:256 nt
	flat_store_short v[30:31], v27 offset:384 nt
	flat_store_short v[48:49], v6 nt
	flat_store_short v[48:49], v7 offset:128 nt
	flat_store_short v[48:49], v9 offset:256 nt
	;; [unrolled: 1-line block ×3, first 2 shown]
	v_lshl_add_u64 v[30:31], v[30:31], 0, v[40:41]
	v_lshl_add_u64 v[48:49], v[48:49], 0, v[40:41]
	s_andn2_b64 exec, exec, s[28:29]
	s_cbranch_execnz .LBB5_636
; %bb.637:                              ;   in Loop: Header=BB5_47 Depth=1
	s_or_b64 exec, exec, s[28:29]
	v_accvgpr_read_b32 v53, a13
	v_accvgpr_read_b32 v49, a17
	;; [unrolled: 1-line block ×11, first 2 shown]
.LBB5_638:                              ;   in Loop: Header=BB5_47 Depth=1
	s_or_b64 exec, exec, s[26:27]
	v_lshlrev_b32_e32 v5, 9, v5
	v_cmp_ne_u32_e32 vcc, v10, v5
	s_and_b64 exec, exec, vcc
	s_cbranch_execz .LBB5_644
; %bb.639:                              ;   in Loop: Header=BB5_47 Depth=1
	v_add_u32_e32 v4, v0, v4
	v_and_b32_e32 v4, 0xffffffc0, v4
	v_sub_u32_e32 v0, v0, v4
	v_lshlrev_b32_e32 v1, 6, v1
	v_sub_u32_e32 v0, v0, v1
	v_ashrrev_i32_e32 v1, 31, v0
	v_lshrrev_b32_e32 v1, 26, v1
	v_add_u32_e32 v1, v0, v1
	v_and_b32_e32 v4, 0x7fffffc0, v1
	v_sub_u32_e32 v0, v0, v4
	v_lshlrev_b32_e32 v1, 1, v1
	v_and_b32_e32 v1, 0xffffff80, v1
	v_lshlrev_b32_e32 v0, 1, v0
	v_add3_u32 v1, v1, v0, v5
	v_sub_u32_e32 v0, v10, v1
	v_cmp_lt_i32_e32 vcc, 1, v0
	s_and_b64 exec, exec, vcc
	s_cbranch_execz .LBB5_644
; %bb.640:                              ;   in Loop: Header=BB5_47 Depth=1
	s_trap 2
	ds_read_b128 v[4:7], v0
	v_add_u32_e32 v16, v1, v2
	v_ashrrev_i32_e32 v17, 31, v16
	s_waitcnt lgkmcnt(0)
	v_lshl_add_u64 v[10:11], v[16:17], 0, v[30:31]
	s_mov_b64 s[58:59], 0
	v_lshl_add_u64 v[14:15], v[4:5], 0, v[16:17]
	v_lshl_add_u64 v[16:17], v[6:7], 0, v[16:17]
	v_mov_b64_e32 v[18:19], v[14:15]
	v_mov_b64_e32 v[30:31], v[16:17]
.LBB5_641:                              ;   Parent Loop BB5_47 Depth=1
                                        ; =>  This Loop Header: Depth=2
                                        ;       Child Loop BB5_642 Depth 3
	flat_load_ushort v1, v[18:19] nt
	flat_load_ushort v2, v[30:31] nt
	;; [unrolled: 1-line block ×3, first 2 shown]
	s_mov_b64 s[62:63], -1
	s_mov_b64 s[60:61], 0
	s_waitcnt vmcnt(0) lgkmcnt(0)
	v_mul_f16_e32 v1, v1, v2
	v_mul_f16_e32 v2, v4, v1
.LBB5_642:                              ;   Parent Loop BB5_47 Depth=1
                                        ;     Parent Loop BB5_641 Depth=2
                                        ; =>    This Inner Loop Header: Depth=3
	v_cndmask_b32_e64 v4, 0, 1, s[62:63]
	v_cndmask_b32_e64 v6, v1, v2, s[62:63]
	v_readfirstlane_b32 s26, v4
	s_cmp_lg_u32 s26, 1
	s_cselect_b64 vcc, -1, 0
	s_cmp_eq_u32 s60, 1
	v_cndmask_b32_e32 v5, v15, v17, vcc
	v_cndmask_b32_e32 v4, v14, v16, vcc
	s_cselect_b64 s[26:27], -1, 0
	v_cndmask_b32_e64 v7, v15, v17, s[26:27]
	s_cmp_eq_u32 s60, 0
	flat_store_short v[4:5], v6 nt
	v_cndmask_b32_e64 v6, v14, v16, s[26:27]
	v_lshl_add_u64 v[4:5], v[6:7], 0, s[44:45]
	s_cselect_b64 s[28:29], -1, 0
	s_mov_b64 s[62:63], 0
	s_mov_b64 s[60:61], 1
	s_and_b64 vcc, exec, vcc
	v_cndmask_b32_e64 v17, v17, v5, s[26:27]
	v_cndmask_b32_e64 v16, v16, v4, s[26:27]
	;; [unrolled: 1-line block ×4, first 2 shown]
	s_cbranch_vccz .LBB5_642
; %bb.643:                              ;   in Loop: Header=BB5_641 Depth=2
	v_sub_u32_e32 v0, v0, v24
	v_cmp_gt_i32_e32 vcc, 2, v0
	v_lshl_add_u64 v[18:19], v[18:19], 0, v[44:45]
	v_lshl_add_u64 v[30:31], v[30:31], 0, v[44:45]
	;; [unrolled: 1-line block ×4, first 2 shown]
	s_or_b64 s[58:59], vcc, s[58:59]
	v_lshl_add_u64 v[10:11], v[10:11], 0, v[44:45]
	s_andn2_b64 exec, exec, s[58:59]
	s_cbranch_execnz .LBB5_641
.LBB5_644:                              ;   in Loop: Header=BB5_47 Depth=1
	s_or_b64 exec, exec, s[30:31]
	s_branch .LBB5_673
.LBB5_645:                              ;   in Loop: Header=BB5_47 Depth=1
	s_mov_b64 s[26:27], -1
	s_and_saveexec_b64 s[28:29], s[20:21]
	s_cbranch_execz .LBB5_647
; %bb.646:                              ;   in Loop: Header=BB5_47 Depth=1
	ds_read_b32 v0, v0 offset:720
	s_waitcnt lgkmcnt(0)
	v_and_b32_e32 v0, 15, v0
	v_cmp_eq_u32_e32 vcc, 0, v0
	s_orn2_b64 s[26:27], vcc, exec
.LBB5_647:                              ;   in Loop: Header=BB5_47 Depth=1
	s_or_b64 exec, exec, s[28:29]
	s_and_saveexec_b64 s[28:29], s[16:17]
	s_cbranch_execz .LBB5_649
; %bb.648:                              ;   in Loop: Header=BB5_47 Depth=1
	ds_read_b32 v0, v0 offset:784
	s_waitcnt lgkmcnt(0)
	v_and_b32_e32 v0, 15, v0
	v_cmp_eq_u32_e32 vcc, 0, v0
	s_and_b64 vcc, s[26:27], vcc
	s_andn2_b64 s[26:27], s[26:27], exec
	s_and_b64 vcc, vcc, exec
	s_or_b64 s[26:27], s[26:27], vcc
.LBB5_649:                              ;   in Loop: Header=BB5_47 Depth=1
	s_or_b64 exec, exec, s[28:29]
	s_xor_b64 s[26:27], s[26:27], -1
	v_cndmask_b32_e64 v0, 0, 1, s[26:27]
	v_lshlrev_b32_e32 v2, 1, v37
	s_mov_b64 s[30:31], -1
	;;#ASMSTART
	;;#ASMEND
	v_mov_b32_e32 v4, 0
	v_cmp_ne_u32_e32 vcc, 0, v0
	s_cbranch_vccz .LBB5_651
; %bb.650:                              ;   in Loop: Header=BB5_47 Depth=1
	v_mov_b32_e32 v5, v59
	v_mov_b32_e32 v10, v58
	s_and_saveexec_b64 s[26:27], s[30:31]
	s_cbranch_execnz .LBB5_664
	s_branch .LBB5_672
.LBB5_651:                              ;   in Loop: Header=BB5_47 Depth=1
	v_accvgpr_read_b32 v0, a20
	v_accvgpr_read_b32 v1, a21
	v_sub_u32_e32 v1, v2, v0
	v_ashrrev_i32_e32 v0, 31, v2
	v_lshrrev_b32_e32 v0, 22, v0
	v_add_u32_e32 v0, v2, v0
	v_ashrrev_i32_e32 v4, 10, v0
	v_and_b32_e32 v0, 0xfffffc00, v0
	v_sub_u32_e32 v36, v2, v0
	v_cmp_lt_i32_e32 vcc, 15, v36
	v_accvgpr_read_b32 v5, a35
	s_nop 0
	v_addc_co_u32_e64 v9, s[26:27], v4, v5, vcc
	v_cmp_lt_i32_e64 s[26:27], 15, v1
	s_and_saveexec_b64 s[28:29], s[26:27]
	s_cbranch_execz .LBB5_655
; %bb.652:                              ;   in Loop: Header=BB5_47 Depth=1
	s_trap 2
	ds_read_b128 v[14:17], v0
	ds_read_b64 v[10:11], v0
	v_accvgpr_read_b32 v18, a20
	v_accvgpr_read_b32 v19, a21
	v_accvgpr_write_b32 a41, v37
	v_accvgpr_write_b32 a40, v54
	s_mov_b64 s[30:31], 0
	s_waitcnt lgkmcnt(0)
	v_lshl_add_u64 v[14:15], v[14:15], 0, v[18:19]
	v_lshl_add_u64 v[16:17], v[16:17], 0, v[18:19]
.LBB5_653:                              ;   Parent Loop BB5_47 Depth=1
                                        ; =>  This Inner Loop Header: Depth=2
	global_load_dwordx4 v[46:49], v[14:15], off nt
	global_load_dwordx4 v[52:55], v[16:17], off nt
	;; [unrolled: 1-line block ×3, first 2 shown]
	v_sub_u32_e32 v1, v1, v38
	v_cmp_gt_i32_e64 s[26:27], 16, v1
	v_lshl_add_u64 v[4:5], v[10:11], 0, v[18:19]
	v_lshl_add_u64 v[14:15], v[14:15], 0, v[42:43]
	;; [unrolled: 1-line block ×4, first 2 shown]
	v_sub_u32_e32 v9, v9, v34
	s_or_b64 s[30:31], s[26:27], s[30:31]
	s_waitcnt vmcnt(0)
	v_mul_f16_e32 v6, v46, v52
	v_mul_f16_sdwa v7, v46, v52 dst_sel:DWORD dst_unused:UNUSED_PAD src0_sel:WORD_1 src1_sel:WORD_1
	v_mul_f16_e32 v26, v47, v53
	v_mul_f16_sdwa v27, v47, v53 dst_sel:DWORD dst_unused:UNUSED_PAD src0_sel:WORD_1 src1_sel:WORD_1
	;; [unrolled: 2-line block ×4, first 2 shown]
	v_mul_f16_e32 v6, v6, v28
	v_mul_f16_sdwa v7, v7, v28 dst_sel:WORD_1 dst_unused:UNUSED_PAD src0_sel:DWORD src1_sel:WORD_1
	v_mul_f16_e32 v26, v26, v29
	v_mul_f16_sdwa v27, v27, v29 dst_sel:WORD_1 dst_unused:UNUSED_PAD src0_sel:DWORD src1_sel:WORD_1
	;; [unrolled: 2-line block ×4, first 2 shown]
	v_or_b32_e32 v29, v27, v26
	v_or_b32_e32 v28, v7, v6
	;; [unrolled: 1-line block ×4, first 2 shown]
	global_store_dwordx4 v[4:5], v[28:31], off nt
	s_andn2_b64 exec, exec, s[30:31]
	s_cbranch_execnz .LBB5_653
; %bb.654:                              ;   in Loop: Header=BB5_47 Depth=1
	s_or_b64 exec, exec, s[30:31]
	v_accvgpr_read_b32 v53, a13
	v_accvgpr_read_b32 v49, a17
	;; [unrolled: 1-line block ×12, first 2 shown]
	v_mov_b32_e32 v25, 1
	v_accvgpr_read_b32 v54, a40
	v_accvgpr_read_b32 v37, a41
.LBB5_655:                              ;   in Loop: Header=BB5_47 Depth=1
	s_or_b64 exec, exec, s[28:29]
	v_and_b32_e32 v11, 14, v2
	v_cndmask_b32_e32 v1, v36, v11, vcc
	v_cmp_ne_u32_e64 s[26:27], 0, v1
	s_mov_b64 s[30:31], 0
	v_mov_b32_e32 v4, 0
                                        ; implicit-def: $vgpr2
                                        ; implicit-def: $vgpr5
                                        ; implicit-def: $vgpr10
	s_and_saveexec_b64 s[28:29], s[26:27]
	s_cbranch_execz .LBB5_663
; %bb.656:                              ;   in Loop: Header=BB5_47 Depth=1
	v_sub_u32_e32 v2, v36, v11
	v_cndmask_b32_e32 v2, 0, v2, vcc
	v_cmp_lt_i32_e32 vcc, 0, v9
	v_add_u32_e32 v0, v2, v0
	v_accvgpr_read_b32 v4, a34
	v_cndmask_b32_e32 v2, 0, v34, vcc
	v_sub_u32_e32 v2, v2, v9
	v_lshl_add_u32 v2, v2, 6, v4
	v_ashrrev_i32_e32 v4, 31, v2
	v_lshrrev_b32_e32 v4, 26, v4
	v_ashrrev_i32_e32 v6, 31, v1
	v_add_u32_e32 v4, v2, v4
	v_lshrrev_b32_e32 v6, 22, v6
	v_ashrrev_i32_e32 v5, 6, v4
	v_and_b32_e32 v4, 0xffffffc0, v4
	v_add_u32_e32 v6, v1, v6
	v_sub_u32_e32 v9, v2, v4
	s_waitcnt lgkmcnt(0)
	v_and_b32_e32 v30, 0xfffffc00, v6
	v_lshlrev_b32_e32 v2, 4, v9
	v_sub_u32_e32 v36, v1, v30
	v_lshl_add_u32 v4, v5, 10, v2
	v_ashrrev_i32_e32 v7, 10, v6
	v_cmp_lt_i32_e32 vcc, 15, v36
	v_sub_u32_e32 v2, v1, v4
	s_nop 0
	v_addc_co_u32_e64 v6, s[26:27], 0, v7, vcc
	v_sub_u32_e32 v31, v6, v5
	v_cmp_lt_i32_e64 s[26:27], 15, v2
	s_and_saveexec_b64 s[30:31], s[26:27]
	s_cbranch_execz .LBB5_660
; %bb.657:                              ;   in Loop: Header=BB5_47 Depth=1
	s_trap 2
	ds_read_b128 v[16:19], v0
	ds_read_b64 v[14:15], v0
	v_add_u32_e32 v10, v4, v0
	v_ashrrev_i32_e32 v11, 31, v10
	v_accvgpr_write_b32 a41, v37
	v_accvgpr_write_b32 a40, v54
	s_waitcnt lgkmcnt(0)
	v_lshl_add_u64 v[16:17], v[16:17], 0, v[10:11]
	v_lshl_add_u64 v[18:19], v[18:19], 0, v[10:11]
	s_mov_b64 s[58:59], 0
.LBB5_658:                              ;   Parent Loop BB5_47 Depth=1
                                        ; =>  This Inner Loop Header: Depth=2
	global_load_dwordx4 v[52:55], v[16:17], off nt
	global_load_dwordx4 v[46:49], v[18:19], off nt
	;; [unrolled: 1-line block ×3, first 2 shown]
	v_sub_u32_e32 v2, v2, v38
	v_cmp_gt_i32_e64 s[26:27], 16, v2
	v_lshl_add_u64 v[26:27], v[14:15], 0, v[10:11]
	v_lshl_add_u64 v[16:17], v[16:17], 0, v[42:43]
	;; [unrolled: 1-line block ×4, first 2 shown]
	v_sub_u32_e32 v31, v31, v34
	s_or_b64 s[58:59], s[26:27], s[58:59]
	s_waitcnt vmcnt(0)
	v_mul_f16_e32 v28, v52, v46
	v_mul_f16_sdwa v29, v52, v46 dst_sel:DWORD dst_unused:UNUSED_PAD src0_sel:WORD_1 src1_sel:WORD_1
	v_mul_f16_e32 v37, v53, v47
	v_mul_f16_sdwa v39, v53, v47 dst_sel:DWORD dst_unused:UNUSED_PAD src0_sel:WORD_1 src1_sel:WORD_1
	;; [unrolled: 2-line block ×4, first 2 shown]
	v_mul_f16_e32 v28, v28, v4
	v_mul_f16_sdwa v4, v29, v4 dst_sel:WORD_1 dst_unused:UNUSED_PAD src0_sel:DWORD src1_sel:WORD_1
	v_mul_f16_e32 v29, v37, v5
	v_mul_f16_sdwa v5, v39, v5 dst_sel:WORD_1 dst_unused:UNUSED_PAD src0_sel:DWORD src1_sel:WORD_1
	;; [unrolled: 2-line block ×4, first 2 shown]
	v_or_b32_e32 v5, v5, v29
	v_or_b32_e32 v4, v4, v28
	;; [unrolled: 1-line block ×4, first 2 shown]
	global_store_dwordx4 v[26:27], v[4:7], off nt
	s_andn2_b64 exec, exec, s[58:59]
	s_cbranch_execnz .LBB5_658
; %bb.659:                              ;   in Loop: Header=BB5_47 Depth=1
	s_or_b64 exec, exec, s[58:59]
	v_accvgpr_read_b32 v53, a13
	v_accvgpr_read_b32 v49, a17
	;; [unrolled: 1-line block ×12, first 2 shown]
	v_mov_b32_e32 v25, 1
	v_accvgpr_read_b32 v54, a40
	v_accvgpr_read_b32 v37, a41
.LBB5_660:                              ;   in Loop: Header=BB5_47 Depth=1
	s_or_b64 exec, exec, s[30:31]
	v_and_b32_e32 v1, 14, v1
	v_cndmask_b32_e32 v2, v36, v1, vcc
	v_cmp_ne_u32_e64 s[26:27], 0, v2
	s_mov_b64 s[30:31], 0
	v_mov_b32_e32 v4, 0
                                        ; implicit-def: $vgpr5
                                        ; implicit-def: $vgpr10
	s_and_saveexec_b64 s[58:59], s[26:27]
	s_cbranch_execz .LBB5_662
; %bb.661:                              ;   in Loop: Header=BB5_47 Depth=1
	v_sub_u32_e32 v1, v36, v1
	v_cndmask_b32_e32 v1, 0, v1, vcc
	v_cmp_lt_i32_e32 vcc, 0, v31
	v_add3_u32 v4, v30, v0, v1
	s_mov_b64 s[30:31], exec
	v_cndmask_b32_e32 v0, 0, v34, vcc
	v_sub_u32_e32 v0, v0, v31
	v_lshl_add_u32 v5, v0, 6, v9
	v_ashrrev_i32_e32 v0, 31, v5
	v_lshrrev_b32_e32 v0, 26, v0
	v_add_u32_e32 v0, v5, v0
	v_ashrrev_i32_e32 v10, 6, v0
.LBB5_662:                              ;   in Loop: Header=BB5_47 Depth=1
	s_or_b64 exec, exec, s[58:59]
	s_and_b64 s[30:31], s[30:31], exec
.LBB5_663:                              ;   in Loop: Header=BB5_47 Depth=1
	s_or_b64 exec, exec, s[28:29]
	s_and_saveexec_b64 s[26:27], s[30:31]
	s_cbranch_execz .LBB5_672
.LBB5_664:                              ;   in Loop: Header=BB5_47 Depth=1
	v_ashrrev_i32_e32 v0, 31, v2
	v_lshrrev_b32_e32 v0, 23, v0
	v_add_u32_e32 v0, v2, v0
	v_ashrrev_i32_e32 v9, 9, v0
	v_sub_u32_e32 v0, v9, v10
	v_ashrrev_i32_e32 v1, 31, v5
	v_cmp_lt_i32_e32 vcc, 0, v0
	v_lshrrev_b32_e32 v1, 26, v1
	s_and_saveexec_b64 s[28:29], vcc
	s_cbranch_execz .LBB5_668
; %bb.665:                              ;   in Loop: Header=BB5_47 Depth=1
	v_add_u32_e32 v6, v5, v1
	v_and_b32_e32 v6, 0x7fffffc0, v6
	s_trap 2
	ds_read_b128 v[14:17], v0
	v_sub_u32_e32 v6, v5, v6
	v_lshlrev_b32_e32 v7, 9, v10
	ds_read_b64 v[10:11], v0
	v_lshlrev_b32_e32 v6, 1, v6
	v_add3_u32 v6, v6, v4, v7
	v_ashrrev_i32_e32 v7, 31, v6
	v_accvgpr_write_b32 a41, v37
	v_accvgpr_write_b32 a40, v54
	s_waitcnt lgkmcnt(0)
	v_lshl_add_u64 v[14:15], v[14:15], 0, v[6:7]
	v_lshl_add_u64 v[16:17], v[16:17], 0, v[6:7]
	v_lshl_add_u64 v[18:19], v[6:7], 0, s[52:53]
	s_mov_b64 s[30:31], 0
.LBB5_666:                              ;   Parent Loop BB5_47 Depth=1
                                        ; =>  This Inner Loop Header: Depth=2
	v_add_co_u32_e32 v6, vcc, 0xfffffe80, v18
	flat_load_ushort v36, v[14:15] nt
	flat_load_ushort v37, v[14:15] offset:128 nt
	flat_load_ushort v39, v[14:15] offset:256 nt
	;; [unrolled: 1-line block ×3, first 2 shown]
	flat_load_ushort v49, v[18:19] nt
	flat_load_ushort v52, v[16:17] nt
	flat_load_ushort v53, v[16:17] offset:128 nt
	flat_load_ushort v54, v[16:17] offset:256 nt
	;; [unrolled: 1-line block ×3, first 2 shown]
	v_addc_co_u32_e32 v7, vcc, -1, v19, vcc
	v_add_co_u32_e32 v26, vcc, 0xffffff00, v18
	flat_load_ushort v46, v[6:7] nt
	s_nop 0
	v_addc_co_u32_e32 v27, vcc, -1, v19, vcc
	v_add_co_u32_e32 v6, vcc, s74, v18
	flat_load_ushort v47, v[26:27] nt
	s_nop 0
	v_addc_co_u32_e32 v7, vcc, -1, v19, vcc
	flat_load_ushort v58, v[6:7] nt
	v_sub_u32_e32 v0, v0, v34
	v_lshl_add_u64 v[6:7], v[10:11], 0, v[18:19]
	v_cmp_gt_i32_e32 vcc, 1, v0
	s_or_b64 s[30:31], vcc, s[30:31]
	v_add_co_u32_e32 v26, vcc, 0xfffffe80, v6
	v_lshl_add_u64 v[14:15], v[14:15], 0, v[40:41]
	s_nop 0
	v_addc_co_u32_e32 v27, vcc, -1, v7, vcc
	v_add_co_u32_e32 v28, vcc, 0xffffff00, v6
	v_lshl_add_u64 v[16:17], v[16:17], 0, v[40:41]
	s_nop 0
	v_addc_co_u32_e32 v29, vcc, -1, v7, vcc
	;; [unrolled: 4-line block ×3, first 2 shown]
	s_waitcnt vmcnt(0) lgkmcnt(0)
	v_mul_f16_e32 v36, v36, v52
	v_mul_f16_e32 v37, v37, v53
	;; [unrolled: 1-line block ×6, first 2 shown]
	flat_store_short v[26:27], v36 nt
	v_mul_f16_e32 v26, v47, v37
	flat_store_short v[28:29], v26 nt
	v_mul_f16_e32 v26, v58, v39
	flat_store_short v[30:31], v26 nt
	flat_store_short v[6:7], v48 nt
	s_andn2_b64 exec, exec, s[30:31]
	s_cbranch_execnz .LBB5_666
; %bb.667:                              ;   in Loop: Header=BB5_47 Depth=1
	s_or_b64 exec, exec, s[30:31]
	v_accvgpr_read_b32 v53, a13
	v_accvgpr_read_b32 v49, a17
	;; [unrolled: 1-line block ×13, first 2 shown]
	v_mov_b32_e32 v25, 1
	v_accvgpr_read_b32 v54, a40
	v_accvgpr_read_b32 v37, a41
.LBB5_668:                              ;   in Loop: Header=BB5_47 Depth=1
	s_or_b64 exec, exec, s[28:29]
	v_lshlrev_b32_e32 v9, 9, v9
	v_cmp_ne_u32_e32 vcc, v2, v9
	s_and_b64 exec, exec, vcc
	s_cbranch_execz .LBB5_672
; %bb.669:                              ;   in Loop: Header=BB5_47 Depth=1
	v_add_u32_e32 v1, v5, v1
	v_and_b32_e32 v1, 0xffffffc0, v1
	v_sub_u32_e32 v1, v5, v1
	v_lshlrev_b32_e32 v0, 6, v0
	v_sub_u32_e32 v0, v1, v0
	v_ashrrev_i32_e32 v1, 31, v0
	v_lshrrev_b32_e32 v1, 26, v1
	v_add_u32_e32 v1, v0, v1
	v_and_b32_e32 v5, 0x7fffffc0, v1
	v_sub_u32_e32 v0, v0, v5
	v_lshlrev_b32_e32 v1, 1, v1
	v_and_b32_e32 v1, 0xffffff80, v1
	v_lshlrev_b32_e32 v0, 1, v0
	v_add3_u32 v1, v1, v0, v9
	v_sub_u32_e32 v0, v2, v1
	v_cmp_lt_i32_e32 vcc, 1, v0
	s_and_b64 exec, exec, vcc
	s_cbranch_execz .LBB5_672
; %bb.670:                              ;   in Loop: Header=BB5_47 Depth=1
	s_trap 2
	ds_read_b128 v[14:17], v0
	ds_read_b64 v[10:11], v0
	v_add_u32_e32 v4, v1, v4
	v_ashrrev_i32_e32 v5, 31, v4
	s_mov_b64 s[28:29], 0
	s_waitcnt lgkmcnt(0)
	v_lshl_add_u64 v[14:15], v[14:15], 0, v[4:5]
	v_lshl_add_u64 v[16:17], v[16:17], 0, v[4:5]
.LBB5_671:                              ;   Parent Loop BB5_47 Depth=1
                                        ; =>  This Inner Loop Header: Depth=2
	flat_load_ushort v1, v[14:15] nt
	flat_load_ushort v2, v[16:17] nt
	;; [unrolled: 1-line block ×3, first 2 shown]
	v_sub_u32_e32 v0, v0, v24
	v_cmp_gt_i32_e32 vcc, 2, v0
	v_lshl_add_u64 v[6:7], v[10:11], 0, v[4:5]
	v_lshl_add_u64 v[14:15], v[14:15], 0, v[44:45]
	;; [unrolled: 1-line block ×4, first 2 shown]
	s_or_b64 s[28:29], vcc, s[28:29]
	s_waitcnt vmcnt(0) lgkmcnt(0)
	v_mul_f16_e32 v1, v1, v2
	v_mul_f16_e32 v1, v9, v1
	flat_store_short v[6:7], v1 nt
	s_andn2_b64 exec, exec, s[28:29]
	s_cbranch_execnz .LBB5_671
.LBB5_672:                              ;   in Loop: Header=BB5_47 Depth=1
	s_or_b64 exec, exec, s[26:27]
.LBB5_673:                              ;   in Loop: Header=BB5_47 Depth=1
	v_cmp_lt_i32_e64 s[26:27], 0, v37
	s_and_saveexec_b64 s[28:29], s[6:7]
	s_cbranch_execz .LBB5_612
.LBB5_674:                              ;   in Loop: Header=BB5_47 Depth=1
	s_and_saveexec_b64 vcc, s[40:41]
	s_xor_b64 s[30:31], exec, vcc
	s_cbranch_execz .LBB5_701
; %bb.675:                              ;   in Loop: Header=BB5_47 Depth=1
	s_and_saveexec_b64 s[58:59], s[14:15]
	s_cbranch_execz .LBB5_700
; %bb.676:                              ;   in Loop: Header=BB5_47 Depth=1
	s_mov_b64 s[62:63], exec
	v_mbcnt_lo_u32_b32 v0, s62, 0
	v_mbcnt_hi_u32_b32 v0, s63, v0
	v_cmp_eq_u32_e32 vcc, 0, v0
	s_waitcnt lgkmcnt(0)
	s_and_saveexec_b64 s[60:61], vcc
	s_cbranch_execz .LBB5_678
; %bb.677:                              ;   in Loop: Header=BB5_47 Depth=1
	s_bcnt1_i32_b64 vcc_lo, s[62:63]
	v_mov_b32_e32 v2, vcc_lo
	ds_add_u64 v0, v[2:3]
	s_trap 2
.LBB5_678:                              ;   in Loop: Header=BB5_47 Depth=1
	s_or_b64 exec, exec, s[60:61]
	s_trap 2
	ds_read_b64 v[0:1], v0
	v_lshl_add_u64 v[12:13], v[12:13], 0, v[34:35]
	s_waitcnt lgkmcnt(0)
	v_cmp_lt_u64_e32 vcc, v[0:1], v[12:13]
	s_and_saveexec_b64 s[60:61], vcc
	s_cbranch_execz .LBB5_699
; %bb.679:                              ;   in Loop: Header=BB5_47 Depth=1
	s_mov_b32 s84, 0
	s_mov_b64 s[62:63], 0
                                        ; implicit-def: $sgpr64_sgpr65
                                        ; implicit-def: $sgpr66_sgpr67
	s_branch .LBB5_681
.LBB5_680:                              ;   in Loop: Header=BB5_681 Depth=2
	s_or_b64 exec, exec, s[70:71]
	s_and_b64 vcc, exec, vcc
	s_or_b64 s[62:63], vcc, s[62:63]
	s_andn2_b64 vcc, s[64:65], exec
	s_and_b64 s[64:65], s[66:67], exec
	s_or_b64 s[64:65], vcc, s[64:65]
	s_andn2_b64 exec, exec, s[62:63]
	s_cbranch_execz .LBB5_697
.LBB5_681:                              ;   Parent Loop BB5_47 Depth=1
                                        ; =>  This Inner Loop Header: Depth=2
	s_add_i32 s84, s84, 1
	s_cmpk_lg_i32 s84, 0x2710
	s_cselect_b64 s[68:69], -1, 0
	s_and_b64 vcc, exec, s[68:69]
                                        ; implicit-def: $sgpr70_sgpr71
	s_cbranch_vccnz .LBB5_683
; %bb.682:                              ;   in Loop: Header=BB5_681 Depth=2
	s_trap 2
	ds_read_b64 v[0:1], v0
	s_andn2_b64 s[68:69], s[68:69], exec
	s_mov_b32 s84, 0
	s_mov_b64 s[70:71], -1
	s_waitcnt vmcnt(0) lgkmcnt(0)
	flat_load_dword v0, v[0:1] sc0 sc1
	s_waitcnt vmcnt(0) lgkmcnt(0)
	buffer_inv sc0 sc1
	v_cmp_eq_u32_e32 vcc, 0, v0
	s_and_b64 vcc, vcc, exec
	s_or_b64 s[68:69], s[68:69], vcc
.LBB5_683:                              ;   in Loop: Header=BB5_681 Depth=2
	s_andn2_b64 s[66:67], s[66:67], exec
	s_and_b64 s[70:71], s[70:71], exec
	s_mov_b64 vcc, -1
	s_or_b64 s[66:67], s[66:67], s[70:71]
	s_and_saveexec_b64 s[70:71], s[68:69]
	s_cbranch_execz .LBB5_680
; %bb.684:                              ;   in Loop: Header=BB5_681 Depth=2
	s_sleep 1
	s_trap 2
	ds_read_b64 v[0:1], v0
	s_andn2_b64 s[66:67], s[66:67], exec
	s_waitcnt lgkmcnt(0)
	v_cmp_ge_u64_e32 vcc, v[0:1], v[12:13]
	s_orn2_b64 vcc, vcc, exec
	s_branch .LBB5_680
.LBB5_685:                              ;   in Loop: Header=BB5_47 Depth=1
	s_or_b64 exec, exec, s[58:59]
	s_and_saveexec_b64 vcc, s[60:61]
	s_xor_b64 vcc, exec, vcc
	s_cbranch_execz .LBB5_687
; %bb.686:                              ;   in Loop: Header=BB5_47 Depth=1
	ds_write_b32 v0, v25
	s_trap 2
.LBB5_687:                              ;   in Loop: Header=BB5_47 Depth=1
	s_or_b64 exec, exec, s[56:57]
	;;#ASMSTART
	s_wakeup
	;;#ASMEND
.LBB5_688:                              ;   in Loop: Header=BB5_47 Depth=1
	s_or_b64 exec, exec, s[54:55]
.LBB5_689:                              ;   in Loop: Header=BB5_47 Depth=1
	s_andn2_saveexec_b64 vcc, s[30:31]
	s_cbranch_execz .LBB5_691
; %bb.690:                              ;   in Loop: Header=BB5_47 Depth=1
	;;#ASMSTART
	s_waitcnt lgkmcnt(0) vmcnt(0)
	;;#ASMEND
	s_barrier
.LBB5_691:                              ;   in Loop: Header=BB5_47 Depth=1
	s_or_b64 exec, exec, vcc
	v_and_b32_e32 v0, 16, v62
.LBB5_692:                              ;   in Loop: Header=BB5_47 Depth=1
	s_or_b64 exec, exec, s[26:27]
	v_cmp_ne_u32_e32 vcc, 0, v0
	s_xor_b64 s[26:27], s[10:11], -1
	s_and_b64 vcc, vcc, s[26:27]
	s_and_saveexec_b64 s[26:27], vcc
	s_cbranch_execz .LBB5_694
; %bb.693:                              ;   in Loop: Header=BB5_47 Depth=1
	flat_store_dword v[48:49], v25 sc0 sc1
.LBB5_694:                              ;   in Loop: Header=BB5_47 Depth=1
	s_or_b64 exec, exec, s[26:27]
	v_and_b32_e32 v0, 48, v62
	v_cmp_ne_u32_e32 vcc, 0, v0
	s_and_saveexec_b64 s[26:27], vcc
	s_cbranch_execz .LBB5_696
; %bb.695:                              ;   in Loop: Header=BB5_47 Depth=1
	v_lshl_add_u64 v[20:21], v[20:21], 0, 4
	flat_store_dwordx2 v[22:23], v[20:21] sc0 sc1
.LBB5_696:                              ;   in Loop: Header=BB5_47 Depth=1
	s_or_b64 exec, exec, s[26:27]
	s_or_b64 exec, exec, s[28:29]
	s_and_b64 vcc, exec, s[24:25]
	s_cbranch_vccnz .LBB5_982
	s_branch .LBB5_729
.LBB5_697:                              ;   in Loop: Header=BB5_47 Depth=1
	s_or_b64 exec, exec, s[62:63]
	s_and_saveexec_b64 vcc, s[64:65]
	s_xor_b64 vcc, exec, vcc
	s_cbranch_execz .LBB5_699
; %bb.698:                              ;   in Loop: Header=BB5_47 Depth=1
	ds_write_b32 v0, v25
	s_trap 2
.LBB5_699:                              ;   in Loop: Header=BB5_47 Depth=1
	s_or_b64 exec, exec, s[60:61]
	;;#ASMSTART
	s_wakeup
	;;#ASMEND
.LBB5_700:                              ;   in Loop: Header=BB5_47 Depth=1
	s_or_b64 exec, exec, s[58:59]
.LBB5_701:                              ;   in Loop: Header=BB5_47 Depth=1
	s_andn2_saveexec_b64 vcc, s[30:31]
	s_cbranch_execz .LBB5_703
; %bb.702:                              ;   in Loop: Header=BB5_47 Depth=1
	s_waitcnt lgkmcnt(0)
	s_barrier
.LBB5_703:                              ;   in Loop: Header=BB5_47 Depth=1
	s_or_b64 exec, exec, vcc
	s_or_b64 exec, exec, s[28:29]
                                        ; implicit-def: $vgpr0
	s_and_saveexec_b64 s[28:29], s[22:23]
	s_xor_b64 s[28:29], exec, s[28:29]
	s_cbranch_execnz .LBB5_613
.LBB5_704:                              ;   in Loop: Header=BB5_47 Depth=1
	s_andn2_saveexec_b64 s[26:27], s[28:29]
	s_cbranch_execz .LBB5_723
.LBB5_705:                              ;   in Loop: Header=BB5_47 Depth=1
	s_and_saveexec_b64 s[28:29], s[40:41]
	s_xor_b64 s[28:29], exec, s[28:29]
	s_cbranch_execz .LBB5_720
; %bb.706:                              ;   in Loop: Header=BB5_47 Depth=1
	s_and_saveexec_b64 s[30:31], s[14:15]
	s_cbranch_execz .LBB5_719
; %bb.707:                              ;   in Loop: Header=BB5_47 Depth=1
	s_mov_b64 s[60:61], exec
	v_mbcnt_lo_u32_b32 v0, s60, 0
	v_mbcnt_hi_u32_b32 v0, s61, v0
	v_cmp_eq_u32_e32 vcc, 0, v0
	;;#ASMSTART
	s_waitcnt lgkmcnt(0) vmcnt(0)
	;;#ASMEND
	s_and_saveexec_b64 s[58:59], vcc
	s_cbranch_execz .LBB5_709
; %bb.708:                              ;   in Loop: Header=BB5_47 Depth=1
	s_bcnt1_i32_b64 vcc_lo, s[60:61]
	v_mov_b32_e32 v2, vcc_lo
	ds_add_u64 v0, v[2:3]
	s_trap 2
.LBB5_709:                              ;   in Loop: Header=BB5_47 Depth=1
	s_or_b64 exec, exec, s[58:59]
	s_trap 2
	ds_read_b64 v[0:1], v0
	v_lshl_add_u64 v[12:13], v[12:13], 0, v[34:35]
	s_waitcnt lgkmcnt(0)
	v_cmp_lt_u64_e32 vcc, v[0:1], v[12:13]
	s_and_saveexec_b64 s[58:59], vcc
	s_cbranch_execz .LBB5_718
; %bb.710:                              ;   in Loop: Header=BB5_47 Depth=1
	s_mov_b32 s70, 0
	s_mov_b64 s[60:61], 0
                                        ; implicit-def: $sgpr62_sgpr63
                                        ; implicit-def: $sgpr64_sgpr65
	s_branch .LBB5_712
.LBB5_711:                              ;   in Loop: Header=BB5_712 Depth=2
	s_or_b64 exec, exec, s[68:69]
	s_and_b64 vcc, exec, vcc
	s_or_b64 s[60:61], vcc, s[60:61]
	s_andn2_b64 vcc, s[62:63], exec
	s_and_b64 s[62:63], s[64:65], exec
	s_or_b64 s[62:63], vcc, s[62:63]
	s_andn2_b64 exec, exec, s[60:61]
	s_cbranch_execz .LBB5_716
.LBB5_712:                              ;   Parent Loop BB5_47 Depth=1
                                        ; =>  This Inner Loop Header: Depth=2
	s_add_i32 s70, s70, 1
	s_cmpk_lg_i32 s70, 0x2710
	s_cselect_b64 s[66:67], -1, 0
	s_and_b64 vcc, exec, s[66:67]
                                        ; implicit-def: $sgpr68_sgpr69
	s_cbranch_vccnz .LBB5_714
; %bb.713:                              ;   in Loop: Header=BB5_712 Depth=2
	s_trap 2
	ds_read_b64 v[0:1], v0
	s_andn2_b64 s[66:67], s[66:67], exec
	s_mov_b32 s70, 0
	s_mov_b64 s[68:69], -1
	s_waitcnt vmcnt(0) lgkmcnt(0)
	flat_load_dword v0, v[0:1] sc0 sc1
	s_waitcnt vmcnt(0) lgkmcnt(0)
	buffer_inv sc0 sc1
	v_cmp_eq_u32_e32 vcc, 0, v0
	s_and_b64 vcc, vcc, exec
	s_or_b64 s[66:67], s[66:67], vcc
.LBB5_714:                              ;   in Loop: Header=BB5_712 Depth=2
	s_andn2_b64 s[64:65], s[64:65], exec
	s_and_b64 s[68:69], s[68:69], exec
	s_mov_b64 vcc, -1
	s_or_b64 s[64:65], s[64:65], s[68:69]
	s_and_saveexec_b64 s[68:69], s[66:67]
	s_cbranch_execz .LBB5_711
; %bb.715:                              ;   in Loop: Header=BB5_712 Depth=2
	s_sleep 1
	s_trap 2
	ds_read_b64 v[0:1], v0
	s_andn2_b64 s[64:65], s[64:65], exec
	s_waitcnt lgkmcnt(0)
	v_cmp_ge_u64_e32 vcc, v[0:1], v[12:13]
	s_orn2_b64 vcc, vcc, exec
	s_branch .LBB5_711
.LBB5_716:                              ;   in Loop: Header=BB5_47 Depth=1
	s_or_b64 exec, exec, s[60:61]
	s_and_saveexec_b64 vcc, s[62:63]
	s_xor_b64 vcc, exec, vcc
	s_cbranch_execz .LBB5_718
; %bb.717:                              ;   in Loop: Header=BB5_47 Depth=1
	ds_write_b32 v0, v25
	s_trap 2
.LBB5_718:                              ;   in Loop: Header=BB5_47 Depth=1
	s_or_b64 exec, exec, s[58:59]
	;;#ASMSTART
	s_wakeup
	;;#ASMEND
.LBB5_719:                              ;   in Loop: Header=BB5_47 Depth=1
	s_or_b64 exec, exec, s[30:31]
.LBB5_720:                              ;   in Loop: Header=BB5_47 Depth=1
	s_andn2_saveexec_b64 s[28:29], s[28:29]
	s_cbranch_execz .LBB5_722
; %bb.721:                              ;   in Loop: Header=BB5_47 Depth=1
	;;#ASMSTART
	s_waitcnt lgkmcnt(0) vmcnt(0)
	;;#ASMEND
	s_barrier
.LBB5_722:                              ;   in Loop: Header=BB5_47 Depth=1
	s_or_b64 exec, exec, s[28:29]
	v_and_b32_e32 v0, 16, v62
.LBB5_723:                              ;   in Loop: Header=BB5_47 Depth=1
	s_or_b64 exec, exec, s[26:27]
	v_cmp_ne_u32_e32 vcc, 0, v0
	s_xor_b64 s[26:27], s[10:11], -1
	s_and_b64 s[28:29], vcc, s[26:27]
	s_and_saveexec_b64 s[26:27], s[28:29]
	s_cbranch_execz .LBB5_725
; %bb.724:                              ;   in Loop: Header=BB5_47 Depth=1
	flat_store_dword v[48:49], v25 sc0 sc1
.LBB5_725:                              ;   in Loop: Header=BB5_47 Depth=1
	s_or_b64 exec, exec, s[26:27]
	v_and_b32_e32 v0, 48, v62
	v_cmp_ne_u32_e32 vcc, 0, v0
	s_and_saveexec_b64 s[26:27], vcc
	s_cbranch_execz .LBB5_727
; %bb.726:                              ;   in Loop: Header=BB5_47 Depth=1
	v_lshl_add_u64 v[20:21], v[20:21], 0, 4
	flat_store_dwordx2 v[22:23], v[20:21] sc0 sc1
.LBB5_727:                              ;   in Loop: Header=BB5_47 Depth=1
	s_or_b64 exec, exec, s[26:27]
	v_mov_b32_e32 v0, v8
	s_or_b64 exec, exec, s[56:57]
	s_and_saveexec_b64 s[28:29], s[54:55]
	s_cbranch_execnz .LBB5_485
.LBB5_728:                              ;   in Loop: Header=BB5_47 Depth=1
	s_or_b64 exec, exec, s[28:29]
	s_and_b64 vcc, exec, s[24:25]
	s_cbranch_vccnz .LBB5_982
.LBB5_729:                              ;   in Loop: Header=BB5_47 Depth=1
	s_mov_b32 s70, 1
.LBB5_730:                              ;   Parent Loop BB5_47 Depth=1
                                        ; =>  This Loop Header: Depth=2
                                        ;       Child Loop BB5_743 Depth 3
                                        ;       Child Loop BB5_776 Depth 3
	;; [unrolled: 1-line block ×8, first 2 shown]
                                        ;         Child Loop BB5_872 Depth 4
                                        ;       Child Loop BB5_878 Depth 3
                                        ;         Child Loop BB5_879 Depth 4
                                        ;       Child Loop BB5_888 Depth 3
                                        ;       Child Loop BB5_893 Depth 3
                                        ;         Child Loop BB5_894 Depth 4
                                        ;       Child Loop BB5_933 Depth 3
                                        ;       Child Loop BB5_964 Depth 3
	;; [unrolled: 1-line block ×5, first 2 shown]
	s_sub_i32 s24, s76, s70
	s_cmp_le_i32 s72, s24
	s_cselect_b32 s25, s72, 0
	s_sub_i32 s24, s24, s25
	s_ashr_i32 s25, s24, 31
	v_mul_lo_u32 v0, v56, s25
	v_mul_lo_u32 v1, v57, s24
	v_mad_u64_u32 v[4:5], s[24:25], v56, s24, 0
	v_add3_u32 v5, v5, v0, v1
	v_sub_co_u32_e32 v0, vcc, v50, v4
	s_nop 1
	v_subb_co_u32_e32 v1, vcc, v51, v5, vcc
	v_cmp_lt_i64_e32 vcc, v[56:57], v[0:1]
	s_nop 1
	v_cndmask_b32_e32 v0, v0, v56, vcc
	v_max_i32_e32 v36, 0, v0
	v_add_u32_e32 v1, 15, v36
	v_ashrrev_i32_e32 v2, 31, v1
	v_lshrrev_b32_e32 v2, 28, v2
	v_add_u32_e32 v1, v1, v2
	v_cmp_gt_i32_e32 vcc, 1, v0
	v_and_b32_e32 v1, -16, v1
	s_or_b64 s[30:31], s[2:3], vcc
	v_max_i32_e32 v16, s79, v1
	s_xor_b64 s[24:25], s[30:31], -1
	v_mov_b32_e32 v0, 0
	s_and_saveexec_b64 s[54:55], s[24:25]
	s_cbranch_execz .LBB5_736
; %bb.731:                              ;   in Loop: Header=BB5_730 Depth=2
	s_and_saveexec_b64 s[24:25], s[0:1]
	s_cbranch_execz .LBB5_733
; %bb.732:                              ;   in Loop: Header=BB5_730 Depth=2
	s_trap 2
	ds_read_b128 v[6:9], v0
	v_accvgpr_read_b32 v0, a38
	v_accvgpr_read_b32 v1, a39
	v_lshl_add_u64 v[0:1], v[4:5], 0, v[0:1]
	v_lshlrev_b64 v[0:1], 1, v[0:1]
	s_waitcnt lgkmcnt(0)
	v_lshl_add_u64 v[4:5], v[6:7], 0, v[0:1]
	v_lshl_add_u64 v[0:1], v[8:9], 0, v[0:1]
	v_cmp_ne_u64_e32 vcc, 0, v[8:9]
	ds_write_b64 v0, v[4:5]
	s_nop 0
	v_cndmask_b32_e32 v1, 0, v1, vcc
	v_cndmask_b32_e32 v0, 0, v0, vcc
	ds_write_b64 v0, v[0:1]
.LBB5_733:                              ;   in Loop: Header=BB5_730 Depth=2
	s_or_b64 exec, exec, s[24:25]
	v_and_b32_e32 v0, 12, v62
	v_cmp_ne_u32_e32 vcc, 0, v0
	s_mov_b64 s[26:27], -1
	s_and_saveexec_b64 s[24:25], vcc
	s_cbranch_execz .LBB5_756
; %bb.734:                              ;   in Loop: Header=BB5_730 Depth=2
	v_and_b32_e32 v2, 8, v62
	v_lshl_add_u64 v[0:1], v[32:33], 0, v[2:3]
	v_lshl_add_u64 v[8:9], v[20:21], 0, 4
	v_cmp_lt_u64_e32 vcc, v[0:1], v[8:9]
	v_mov_b32_e32 v0, 1
	s_and_saveexec_b64 s[26:27], vcc
	s_cbranch_execz .LBB5_755
; %bb.735:                              ;   in Loop: Header=BB5_730 Depth=2
	s_mov_b64 s[28:29], 0
	v_mov_b32_e32 v0, 0
                                        ; implicit-def: $sgpr56_sgpr57
	s_branch .LBB5_743
.LBB5_736:                              ;   in Loop: Header=BB5_730 Depth=2
	s_or_b64 exec, exec, s[54:55]
	s_and_saveexec_b64 s[26:27], s[30:31]
	s_cbranch_execz .LBB5_980
.LBB5_737:                              ;   in Loop: Header=BB5_730 Depth=2
	v_and_b32_e32 v1, 12, v62
	v_cmp_ne_u32_e32 vcc, 0, v1
	s_mov_b64 s[28:29], -1
	s_and_saveexec_b64 s[24:25], vcc
	s_cbranch_execz .LBB5_782
; %bb.738:                              ;   in Loop: Header=BB5_730 Depth=2
	v_and_b32_e32 v2, 8, v62
	v_lshl_add_u64 v[4:5], v[32:33], 0, v[2:3]
	v_lshl_add_u64 v[8:9], v[20:21], 0, 4
	v_cmp_lt_u64_e32 vcc, v[4:5], v[8:9]
	v_mov_b32_e32 v1, 1
	s_and_saveexec_b64 s[28:29], vcc
	s_cbranch_execz .LBB5_781
; %bb.739:                              ;   in Loop: Header=BB5_730 Depth=2
	s_mov_b64 s[30:31], 0
	v_mov_b32_e32 v1, 0
                                        ; implicit-def: $sgpr54_sgpr55
	s_branch .LBB5_750
.LBB5_740:                              ;   in Loop: Header=BB5_743 Depth=3
	s_or_b64 exec, exec, s[64:65]
	v_mov_b32_e32 v1, 0
	s_orn2_b64 s[62:63], s[62:63], exec
.LBB5_741:                              ;   in Loop: Header=BB5_743 Depth=3
	s_or_b64 exec, exec, s[60:61]
	s_andn2_b64 vcc, s[56:57], exec
	s_and_b64 s[56:57], s[62:63], exec
	s_or_b64 s[56:57], vcc, s[56:57]
	v_mov_b32_e32 v0, v1
.LBB5_742:                              ;   in Loop: Header=BB5_743 Depth=3
	s_or_b64 exec, exec, s[58:59]
	s_waitcnt vmcnt(0) lgkmcnt(0)
	v_lshl_add_u64 v[4:5], v[32:33], 0, v[2:3]
	v_cmp_ge_u64_e32 vcc, v[4:5], v[8:9]
	s_xor_b64 s[58:59], s[56:57], -1
	s_or_b64 vcc, s[58:59], vcc
	s_and_b64 vcc, exec, vcc
	s_or_b64 s[28:29], vcc, s[28:29]
	s_andn2_b64 exec, exec, s[28:29]
	s_cbranch_execz .LBB5_754
.LBB5_743:                              ;   Parent Loop BB5_47 Depth=1
                                        ;     Parent Loop BB5_730 Depth=2
                                        ; =>    This Inner Loop Header: Depth=3
	s_sleep 1
	flat_load_dwordx2 v[32:33], v[22:23] sc0 sc1
	v_and_b32_e32 v1, 64, v62
	v_cmp_eq_u32_e32 vcc, 0, v1
	s_andn2_b64 s[56:57], s[56:57], exec
	s_and_saveexec_b64 s[58:59], vcc
	s_cbranch_execz .LBB5_742
; %bb.744:                              ;   in Loop: Header=BB5_743 Depth=3
	v_add_u32_e32 v1, 1, v0
	v_cmp_lt_i32_e32 vcc, s75, v0
	s_mov_b64 s[62:63], -1
	s_and_saveexec_b64 s[60:61], vcc
	s_cbranch_execz .LBB5_741
; %bb.745:                              ;   in Loop: Header=BB5_743 Depth=3
	s_trap 2
	ds_read_b64 v[0:1], v0
	s_waitcnt vmcnt(0) lgkmcnt(0)
	flat_load_dword v0, v[0:1] sc0 sc1
	s_waitcnt vmcnt(0) lgkmcnt(0)
	buffer_inv sc0 sc1
	v_cmp_ne_u32_e32 vcc, 0, v0
	s_and_saveexec_b64 s[64:65], vcc
	s_cbranch_execz .LBB5_740
; %bb.746:                              ;   in Loop: Header=BB5_743 Depth=3
	v_or_b32_e32 v62, 64, v62
	s_xor_b64 s[62:63], exec, -1
	ds_write_b32 v0, v0
	s_trap 2
	s_branch .LBB5_740
.LBB5_747:                              ;   in Loop: Header=BB5_750 Depth=3
	s_or_b64 exec, exec, s[62:63]
	v_mov_b32_e32 v4, 0
	s_orn2_b64 s[60:61], s[60:61], exec
.LBB5_748:                              ;   in Loop: Header=BB5_750 Depth=3
	s_or_b64 exec, exec, s[58:59]
	s_andn2_b64 vcc, s[54:55], exec
	s_and_b64 s[54:55], s[60:61], exec
	s_or_b64 s[54:55], vcc, s[54:55]
	v_mov_b32_e32 v1, v4
.LBB5_749:                              ;   in Loop: Header=BB5_750 Depth=3
	s_or_b64 exec, exec, s[56:57]
	s_waitcnt vmcnt(0) lgkmcnt(0)
	v_lshl_add_u64 v[4:5], v[32:33], 0, v[2:3]
	v_cmp_ge_u64_e32 vcc, v[4:5], v[8:9]
	s_xor_b64 s[56:57], s[54:55], -1
	s_or_b64 vcc, s[56:57], vcc
	s_and_b64 vcc, exec, vcc
	s_or_b64 s[30:31], vcc, s[30:31]
	s_andn2_b64 exec, exec, s[30:31]
	s_cbranch_execz .LBB5_780
.LBB5_750:                              ;   Parent Loop BB5_47 Depth=1
                                        ;     Parent Loop BB5_730 Depth=2
                                        ; =>    This Inner Loop Header: Depth=3
	s_sleep 1
	flat_load_dwordx2 v[32:33], v[22:23] sc0 sc1
	v_and_b32_e32 v4, 64, v62
	v_cmp_eq_u32_e32 vcc, 0, v4
	s_andn2_b64 s[54:55], s[54:55], exec
	s_and_saveexec_b64 s[56:57], vcc
	s_cbranch_execz .LBB5_749
; %bb.751:                              ;   in Loop: Header=BB5_750 Depth=3
	v_add_u32_e32 v4, 1, v1
	v_cmp_lt_i32_e32 vcc, s75, v1
	s_mov_b64 s[60:61], -1
	s_and_saveexec_b64 s[58:59], vcc
	s_cbranch_execz .LBB5_748
; %bb.752:                              ;   in Loop: Header=BB5_750 Depth=3
	s_trap 2
	ds_read_b64 v[4:5], v0
	s_waitcnt vmcnt(0) lgkmcnt(0)
	flat_load_dword v1, v[4:5] sc0 sc1
	s_waitcnt vmcnt(0) lgkmcnt(0)
	buffer_inv sc0 sc1
	v_cmp_ne_u32_e32 vcc, 0, v1
	s_and_saveexec_b64 s[62:63], vcc
	s_cbranch_execz .LBB5_747
; %bb.753:                              ;   in Loop: Header=BB5_750 Depth=3
	v_or_b32_e32 v62, 64, v62
	s_xor_b64 s[60:61], exec, -1
	ds_write_b32 v0, v1
	s_trap 2
	s_branch .LBB5_747
.LBB5_754:                              ;   in Loop: Header=BB5_730 Depth=2
	s_or_b64 exec, exec, s[28:29]
	v_and_b32_e32 v0, 12, v62
.LBB5_755:                              ;   in Loop: Header=BB5_730 Depth=2
	s_or_b64 exec, exec, s[26:27]
	v_cmp_eq_u32_e32 vcc, 0, v0
	s_orn2_b64 s[26:27], vcc, exec
	;;#ASMSTART
	s_wakeup
	;;#ASMEND
.LBB5_756:                              ;   in Loop: Header=BB5_730 Depth=2
	s_or_b64 exec, exec, s[24:25]
	s_xor_b64 s[24:25], s[26:27], -1
	v_min_i32_e32 v16, v16, v36
	s_and_saveexec_b64 s[26:27], s[24:25]
	s_cbranch_execz .LBB5_768
; %bb.757:                              ;   in Loop: Header=BB5_730 Depth=2
	v_and_b32_e32 v0, 0x108, v62
	v_cmp_ne_u32_e32 vcc, s83, v0
	v_and_b32_e32 v2, 7, v20
	s_and_saveexec_b64 s[24:25], vcc
	s_xor_b64 s[24:25], exec, s[24:25]
	s_andn2_saveexec_b64 s[24:25], s[24:25]
	s_cbranch_execz .LBB5_759
; %bb.758:                              ;   in Loop: Header=BB5_730 Depth=2
	v_ashrrev_i32_e32 v17, 31, v16
	v_mad_u64_u32 v[0:1], s[28:29], v2, 24, v[52:53]
	v_lshlrev_b64 v[4:5], 1, v[16:17]
	flat_store_dwordx2 v[0:1], v[4:5] offset:8
.LBB5_759:                              ;   in Loop: Header=BB5_730 Depth=2
	s_or_b64 exec, exec, s[24:25]
	v_and_b32_e32 v0, 0x100, v62
	v_cmp_ne_u32_e32 vcc, 0, v0
	s_mov_b64 s[24:25], -1
                                        ; implicit-def: $vgpr4_vgpr5
	s_and_saveexec_b64 s[28:29], vcc
	s_cbranch_execz .LBB5_763
; %bb.760:                              ;   in Loop: Header=BB5_730 Depth=2
	v_mad_u64_u32 v[8:9], s[24:25], v2, 24, v[52:53]
	v_mov_b32_e32 v0, v9
	v_mad_u64_u32 v[0:1], s[24:25], v3, 24, v[0:1]
	v_mov_b32_e32 v9, v0
	flat_load_dword v0, v[8:9]
                                        ; implicit-def: $vgpr4_vgpr5
	s_waitcnt vmcnt(0) lgkmcnt(0)
	v_cmp_ne_u32_e32 vcc, 1, v0
	v_cmp_eq_u32_e64 s[24:25], 1, v0
	s_and_saveexec_b64 s[56:57], s[24:25]
	s_cbranch_execz .LBB5_762
; %bb.761:                              ;   in Loop: Header=BB5_730 Depth=2
	flat_load_dword v0, v[8:9] offset:4 sc0 sc1
	s_waitcnt vmcnt(0) lgkmcnt(0)
	v_ashrrev_i32_e32 v1, 31, v0
	v_lshrrev_b64 v[4:5], 1, v[0:1]
.LBB5_762:                              ;   in Loop: Header=BB5_730 Depth=2
	s_or_b64 exec, exec, s[56:57]
	s_orn2_b64 s[24:25], vcc, exec
.LBB5_763:                              ;   in Loop: Header=BB5_730 Depth=2
	s_or_b64 exec, exec, s[28:29]
	s_and_saveexec_b64 s[28:29], s[24:25]
; %bb.764:                              ;   in Loop: Header=BB5_730 Depth=2
	v_accvgpr_read_b32 v4, a32
	v_mul_lo_u32 v0, v3, v4
	v_mul_lo_u32 v1, v2, v55
	v_mad_u64_u32 v[4:5], s[24:25], v2, v4, 0
	v_add3_u32 v5, v5, v1, v0
; %bb.765:                              ;   in Loop: Header=BB5_730 Depth=2
	s_or_b64 exec, exec, s[28:29]
	v_lshl_add_u64 v[0:1], v[4:5], 1, v[60:61]
	s_trap 2
	ds_write_b64 v0, v[0:1]
	v_and_b32_e32 v0, 0x2000, v62
	v_cmp_ne_u32_e32 vcc, 0, v0
	s_and_saveexec_b64 s[24:25], vcc
	s_cbranch_execz .LBB5_767
; %bb.766:                              ;   in Loop: Header=BB5_730 Depth=2
	ds_read_b64 v[0:1], v0 offset:584
	s_waitcnt lgkmcnt(0)
	v_lshl_add_u64 v[0:1], v[0:1], 0, 1
	ds_write_b64 v0, v[0:1] offset:584
.LBB5_767:                              ;   in Loop: Header=BB5_730 Depth=2
	s_or_b64 exec, exec, s[24:25]
	v_lshl_add_u64 v[20:21], v[20:21], 0, 4
.LBB5_768:                              ;   in Loop: Header=BB5_730 Depth=2
	s_or_b64 exec, exec, s[26:27]
	s_and_saveexec_b64 s[24:25], s[6:7]
	s_cbranch_execz .LBB5_817
; %bb.769:                              ;   in Loop: Header=BB5_730 Depth=2
	s_and_saveexec_b64 s[26:27], s[40:41]
	s_xor_b64 s[26:27], exec, s[26:27]
	s_cbranch_execz .LBB5_814
; %bb.770:                              ;   in Loop: Header=BB5_730 Depth=2
	s_and_saveexec_b64 s[28:29], s[14:15]
	s_cbranch_execz .LBB5_813
; %bb.771:                              ;   in Loop: Header=BB5_730 Depth=2
	s_mov_b64 s[58:59], exec
	v_mbcnt_lo_u32_b32 v0, s58, 0
	v_mbcnt_hi_u32_b32 v0, s59, v0
	v_cmp_eq_u32_e32 vcc, 0, v0
	s_waitcnt lgkmcnt(0)
	s_and_saveexec_b64 s[56:57], vcc
	s_cbranch_execz .LBB5_773
; %bb.772:                              ;   in Loop: Header=BB5_730 Depth=2
	s_bcnt1_i32_b64 vcc_lo, s[58:59]
	v_mov_b32_e32 v2, vcc_lo
	ds_add_u64 v0, v[2:3]
	s_trap 2
.LBB5_773:                              ;   in Loop: Header=BB5_730 Depth=2
	s_or_b64 exec, exec, s[56:57]
	s_trap 2
	ds_read_b64 v[0:1], v0
	v_lshl_add_u64 v[12:13], v[12:13], 0, v[34:35]
	s_waitcnt lgkmcnt(0)
	v_cmp_lt_u64_e32 vcc, v[0:1], v[12:13]
	s_and_saveexec_b64 s[56:57], vcc
	s_cbranch_execz .LBB5_812
; %bb.774:                              ;   in Loop: Header=BB5_730 Depth=2
	s_mov_b32 s68, 0
	s_mov_b64 s[58:59], 0
                                        ; implicit-def: $sgpr60_sgpr61
                                        ; implicit-def: $sgpr62_sgpr63
	s_branch .LBB5_776
.LBB5_775:                              ;   in Loop: Header=BB5_776 Depth=3
	s_or_b64 exec, exec, s[66:67]
	s_and_b64 vcc, exec, vcc
	s_or_b64 s[58:59], vcc, s[58:59]
	s_andn2_b64 vcc, s[60:61], exec
	s_and_b64 s[60:61], s[62:63], exec
	s_or_b64 s[60:61], vcc, s[60:61]
	s_andn2_b64 exec, exec, s[58:59]
	s_cbranch_execz .LBB5_810
.LBB5_776:                              ;   Parent Loop BB5_47 Depth=1
                                        ;     Parent Loop BB5_730 Depth=2
                                        ; =>    This Inner Loop Header: Depth=3
	s_add_i32 s68, s68, 1
	s_cmpk_lg_i32 s68, 0x2710
	s_cselect_b64 s[64:65], -1, 0
	s_and_b64 vcc, exec, s[64:65]
                                        ; implicit-def: $sgpr66_sgpr67
	s_cbranch_vccnz .LBB5_778
; %bb.777:                              ;   in Loop: Header=BB5_776 Depth=3
	s_trap 2
	ds_read_b64 v[0:1], v0
	s_andn2_b64 s[64:65], s[64:65], exec
	s_mov_b32 s68, 0
	s_mov_b64 s[66:67], -1
	s_waitcnt vmcnt(0) lgkmcnt(0)
	flat_load_dword v0, v[0:1] sc0 sc1
	s_waitcnt vmcnt(0) lgkmcnt(0)
	buffer_inv sc0 sc1
	v_cmp_eq_u32_e32 vcc, 0, v0
	s_and_b64 vcc, vcc, exec
	s_or_b64 s[64:65], s[64:65], vcc
.LBB5_778:                              ;   in Loop: Header=BB5_776 Depth=3
	s_andn2_b64 s[62:63], s[62:63], exec
	s_and_b64 s[66:67], s[66:67], exec
	s_mov_b64 vcc, -1
	s_or_b64 s[62:63], s[62:63], s[66:67]
	s_and_saveexec_b64 s[66:67], s[64:65]
	s_cbranch_execz .LBB5_775
; %bb.779:                              ;   in Loop: Header=BB5_776 Depth=3
	s_sleep 1
	s_trap 2
	ds_read_b64 v[0:1], v0
	s_andn2_b64 s[62:63], s[62:63], exec
	s_waitcnt lgkmcnt(0)
	v_cmp_ge_u64_e32 vcc, v[0:1], v[12:13]
	s_orn2_b64 vcc, vcc, exec
	s_branch .LBB5_775
.LBB5_780:                              ;   in Loop: Header=BB5_730 Depth=2
	s_or_b64 exec, exec, s[30:31]
	v_and_b32_e32 v1, 12, v62
.LBB5_781:                              ;   in Loop: Header=BB5_730 Depth=2
	s_or_b64 exec, exec, s[28:29]
	v_cmp_eq_u32_e32 vcc, 0, v1
	s_orn2_b64 s[28:29], vcc, exec
	;;#ASMSTART
	s_wakeup
	;;#ASMEND
.LBB5_782:                              ;   in Loop: Header=BB5_730 Depth=2
	s_or_b64 exec, exec, s[24:25]
	v_sub_u32_e32 v0, v36, v0
	s_xor_b64 s[24:25], s[28:29], -1
	v_min_i32_e32 v8, v16, v0
	s_and_saveexec_b64 s[28:29], s[24:25]
	s_cbranch_execz .LBB5_798
; %bb.783:                              ;   in Loop: Header=BB5_730 Depth=2
	v_and_b32_e32 v0, 0x108, v62
	v_cmp_ne_u32_e32 vcc, s83, v0
	v_and_b32_e32 v2, 7, v20
	s_and_saveexec_b64 s[24:25], vcc
	s_xor_b64 s[24:25], exec, s[24:25]
	s_andn2_saveexec_b64 s[24:25], s[24:25]
	s_cbranch_execz .LBB5_785
; %bb.784:                              ;   in Loop: Header=BB5_730 Depth=2
	v_ashrrev_i32_e32 v9, 31, v8
	v_mad_u64_u32 v[0:1], vcc, v2, 24, v[52:53]
	v_lshlrev_b64 v[4:5], 1, v[8:9]
	flat_store_dwordx2 v[0:1], v[4:5] offset:8
.LBB5_785:                              ;   in Loop: Header=BB5_730 Depth=2
	s_or_b64 exec, exec, s[24:25]
	v_and_b32_e32 v0, 0x100, v62
	v_cmp_ne_u32_e32 vcc, 0, v0
	s_mov_b64 s[24:25], -1
                                        ; implicit-def: $vgpr4_vgpr5
	s_and_saveexec_b64 s[30:31], vcc
	s_cbranch_execz .LBB5_789
; %bb.786:                              ;   in Loop: Header=BB5_730 Depth=2
	v_mad_u64_u32 v[10:11], s[24:25], v2, 24, v[52:53]
	v_mov_b32_e32 v0, v11
	v_mad_u64_u32 v[0:1], s[24:25], v3, 24, v[0:1]
	v_mov_b32_e32 v11, v0
	flat_load_dword v0, v[10:11]
                                        ; implicit-def: $vgpr4_vgpr5
	s_waitcnt vmcnt(0) lgkmcnt(0)
	v_cmp_ne_u32_e32 vcc, 1, v0
	v_cmp_eq_u32_e64 s[24:25], 1, v0
	s_and_saveexec_b64 s[54:55], s[24:25]
	s_cbranch_execz .LBB5_788
; %bb.787:                              ;   in Loop: Header=BB5_730 Depth=2
	flat_load_dword v0, v[10:11] offset:4 sc0 sc1
	s_waitcnt vmcnt(0) lgkmcnt(0)
	v_ashrrev_i32_e32 v1, 31, v0
	v_lshrrev_b64 v[4:5], 1, v[0:1]
.LBB5_788:                              ;   in Loop: Header=BB5_730 Depth=2
	s_or_b64 exec, exec, s[54:55]
	s_orn2_b64 s[24:25], vcc, exec
.LBB5_789:                              ;   in Loop: Header=BB5_730 Depth=2
	s_or_b64 exec, exec, s[30:31]
	s_and_saveexec_b64 vcc, s[24:25]
; %bb.790:                              ;   in Loop: Header=BB5_730 Depth=2
	v_accvgpr_read_b32 v4, a32
	v_mul_lo_u32 v0, v3, v4
	v_mul_lo_u32 v1, v2, v55
	v_mad_u64_u32 v[4:5], s[24:25], v2, v4, 0
	v_add3_u32 v5, v5, v1, v0
; %bb.791:                              ;   in Loop: Header=BB5_730 Depth=2
	s_or_b64 exec, exec, vcc
	v_lshl_add_u64 v[0:1], v[4:5], 1, v[60:61]
	s_trap 2
	ds_write_b64 v0, v[0:1]
	v_and_b32_e32 v0, 0x2000, v62
	v_cmp_ne_u32_e32 vcc, 0, v0
	s_and_saveexec_b64 s[24:25], vcc
	s_cbranch_execz .LBB5_793
; %bb.792:                              ;   in Loop: Header=BB5_730 Depth=2
	ds_read_b64 v[0:1], v0 offset:584
	s_waitcnt lgkmcnt(0)
	v_lshl_add_u64 v[0:1], v[0:1], 0, 1
	ds_write_b64 v0, v[0:1] offset:584
.LBB5_793:                              ;   in Loop: Header=BB5_730 Depth=2
	s_or_b64 exec, exec, s[24:25]
	v_lshl_add_u64 v[20:21], v[20:21], 0, 4
	s_or_b64 exec, exec, s[28:29]
	s_and_saveexec_b64 s[24:25], s[6:7]
	s_cbranch_execnz .LBB5_799
.LBB5_794:                              ;   in Loop: Header=BB5_730 Depth=2
	s_or_b64 exec, exec, s[24:25]
                                        ; implicit-def: $vgpr0
	s_and_saveexec_b64 s[24:25], s[22:23]
	s_xor_b64 s[24:25], exec, s[24:25]
	s_cbranch_execz .LBB5_836
.LBB5_795:                              ;   in Loop: Header=BB5_730 Depth=2
	s_trap 2
	ds_read_b32 v1, v0
	v_cmp_lt_i32_e32 vcc, 0, v8
	v_and_b32_e32 v2, 16, v62
	v_and_b32_e32 v0, 16, v62
	s_waitcnt lgkmcnt(0)
	v_readfirstlane_b32 s28, v1
	s_cmp_eq_u32 s28, 0
	s_cselect_b64 s[28:29], -1, 0
	s_and_b64 s[28:29], vcc, s[28:29]
	v_cmp_ne_u32_e32 vcc, 0, v2
	s_and_b64 vcc, vcc, s[28:29]
	s_and_saveexec_b64 s[28:29], vcc
	s_cbranch_execz .LBB5_797
; %bb.796:                              ;   in Loop: Header=BB5_730 Depth=2
	v_mov_b32_e32 v0, 1
	buffer_wbl2 sc1
	s_waitcnt vmcnt(0)
	buffer_inv sc1
.LBB5_797:                              ;   in Loop: Header=BB5_730 Depth=2
	s_or_b64 exec, exec, s[28:29]
	s_andn2_saveexec_b64 s[24:25], s[24:25]
	s_cbranch_execz .LBB5_944
	s_branch .LBB5_837
.LBB5_798:                              ;   in Loop: Header=BB5_730 Depth=2
	s_or_b64 exec, exec, s[28:29]
	s_and_saveexec_b64 s[24:25], s[6:7]
	s_cbranch_execz .LBB5_794
.LBB5_799:                              ;   in Loop: Header=BB5_730 Depth=2
	s_and_saveexec_b64 s[28:29], s[40:41]
	s_xor_b64 s[28:29], exec, s[28:29]
	s_cbranch_execz .LBB5_833
; %bb.800:                              ;   in Loop: Header=BB5_730 Depth=2
	s_and_saveexec_b64 s[30:31], s[14:15]
	s_cbranch_execz .LBB5_832
; %bb.801:                              ;   in Loop: Header=BB5_730 Depth=2
	s_mov_b64 s[56:57], exec
	v_mbcnt_lo_u32_b32 v0, s56, 0
	v_mbcnt_hi_u32_b32 v0, s57, v0
	v_cmp_eq_u32_e32 vcc, 0, v0
	s_waitcnt lgkmcnt(0)
	s_and_saveexec_b64 s[54:55], vcc
	s_cbranch_execz .LBB5_803
; %bb.802:                              ;   in Loop: Header=BB5_730 Depth=2
	s_bcnt1_i32_b64 vcc_lo, s[56:57]
	v_mov_b32_e32 v2, vcc_lo
	ds_add_u64 v0, v[2:3]
	s_trap 2
.LBB5_803:                              ;   in Loop: Header=BB5_730 Depth=2
	s_or_b64 exec, exec, s[54:55]
	s_trap 2
	ds_read_b64 v[0:1], v0
	v_lshl_add_u64 v[12:13], v[12:13], 0, v[34:35]
	s_waitcnt lgkmcnt(0)
	v_cmp_lt_u64_e32 vcc, v[0:1], v[12:13]
	s_and_saveexec_b64 s[54:55], vcc
	s_cbranch_execz .LBB5_831
; %bb.804:                              ;   in Loop: Header=BB5_730 Depth=2
	s_mov_b32 s66, 0
	s_mov_b64 s[56:57], 0
                                        ; implicit-def: $sgpr58_sgpr59
                                        ; implicit-def: $sgpr60_sgpr61
	s_branch .LBB5_806
.LBB5_805:                              ;   in Loop: Header=BB5_806 Depth=3
	s_or_b64 exec, exec, s[64:65]
	s_and_b64 vcc, exec, vcc
	s_or_b64 s[56:57], vcc, s[56:57]
	s_andn2_b64 vcc, s[58:59], exec
	s_and_b64 s[58:59], s[60:61], exec
	s_or_b64 s[58:59], vcc, s[58:59]
	s_andn2_b64 exec, exec, s[56:57]
	s_cbranch_execz .LBB5_829
.LBB5_806:                              ;   Parent Loop BB5_47 Depth=1
                                        ;     Parent Loop BB5_730 Depth=2
                                        ; =>    This Inner Loop Header: Depth=3
	s_add_i32 s66, s66, 1
	s_cmpk_lg_i32 s66, 0x2710
	s_cselect_b64 s[62:63], -1, 0
	s_and_b64 vcc, exec, s[62:63]
                                        ; implicit-def: $sgpr64_sgpr65
	s_cbranch_vccnz .LBB5_808
; %bb.807:                              ;   in Loop: Header=BB5_806 Depth=3
	s_trap 2
	ds_read_b64 v[0:1], v0
	s_andn2_b64 s[62:63], s[62:63], exec
	s_mov_b32 s66, 0
	s_mov_b64 s[64:65], -1
	s_waitcnt vmcnt(0) lgkmcnt(0)
	flat_load_dword v0, v[0:1] sc0 sc1
	s_waitcnt vmcnt(0) lgkmcnt(0)
	buffer_inv sc0 sc1
	v_cmp_eq_u32_e32 vcc, 0, v0
	s_and_b64 vcc, vcc, exec
	s_or_b64 s[62:63], s[62:63], vcc
.LBB5_808:                              ;   in Loop: Header=BB5_806 Depth=3
	s_andn2_b64 s[60:61], s[60:61], exec
	s_and_b64 s[64:65], s[64:65], exec
	s_mov_b64 vcc, -1
	s_or_b64 s[60:61], s[60:61], s[64:65]
	s_and_saveexec_b64 s[64:65], s[62:63]
	s_cbranch_execz .LBB5_805
; %bb.809:                              ;   in Loop: Header=BB5_806 Depth=3
	s_sleep 1
	s_trap 2
	ds_read_b64 v[0:1], v0
	s_andn2_b64 s[60:61], s[60:61], exec
	s_waitcnt lgkmcnt(0)
	v_cmp_ge_u64_e32 vcc, v[0:1], v[12:13]
	s_orn2_b64 vcc, vcc, exec
	s_branch .LBB5_805
.LBB5_810:                              ;   in Loop: Header=BB5_730 Depth=2
	s_or_b64 exec, exec, s[58:59]
	s_and_saveexec_b64 vcc, s[60:61]
	s_xor_b64 vcc, exec, vcc
	s_cbranch_execz .LBB5_812
; %bb.811:                              ;   in Loop: Header=BB5_730 Depth=2
	ds_write_b32 v0, v25
	s_trap 2
.LBB5_812:                              ;   in Loop: Header=BB5_730 Depth=2
	s_or_b64 exec, exec, s[56:57]
	;;#ASMSTART
	s_wakeup
	;;#ASMEND
.LBB5_813:                              ;   in Loop: Header=BB5_730 Depth=2
	s_or_b64 exec, exec, s[28:29]
.LBB5_814:                              ;   in Loop: Header=BB5_730 Depth=2
	s_andn2_saveexec_b64 s[26:27], s[26:27]
	s_cbranch_execz .LBB5_816
; %bb.815:                              ;   in Loop: Header=BB5_730 Depth=2
	s_waitcnt lgkmcnt(0)
	s_barrier
.LBB5_816:                              ;   in Loop: Header=BB5_730 Depth=2
	s_or_b64 exec, exec, s[26:27]
.LBB5_817:                              ;   in Loop: Header=BB5_730 Depth=2
	s_or_b64 exec, exec, s[24:25]
	s_trap 2
	ds_read_b32 v0, v0
	v_and_b32_e32 v1, 0x4000, v62
	v_cmp_ne_u32_e32 vcc, 0, v1
	s_xor_b64 s[24:25], s[4:5], -1
	s_and_b64 s[26:27], s[24:25], vcc
	s_and_saveexec_b64 s[24:25], s[26:27]
	s_cbranch_execz .LBB5_855
; %bb.818:                              ;   in Loop: Header=BB5_730 Depth=2
	s_and_saveexec_b64 s[26:27], s[40:41]
	s_xor_b64 s[26:27], exec, s[26:27]
	s_cbranch_execz .LBB5_852
; %bb.819:                              ;   in Loop: Header=BB5_730 Depth=2
	s_and_saveexec_b64 s[28:29], s[14:15]
	s_cbranch_execz .LBB5_851
; %bb.820:                              ;   in Loop: Header=BB5_730 Depth=2
	s_mov_b64 s[58:59], exec
	v_mbcnt_lo_u32_b32 v1, s58, 0
	v_mbcnt_hi_u32_b32 v1, s59, v1
	v_cmp_eq_u32_e32 vcc, 0, v1
	s_waitcnt lgkmcnt(0)
	s_and_saveexec_b64 s[56:57], vcc
	s_cbranch_execz .LBB5_822
; %bb.821:                              ;   in Loop: Header=BB5_730 Depth=2
	s_bcnt1_i32_b64 vcc_lo, s[58:59]
	v_mov_b32_e32 v2, vcc_lo
	ds_add_u64 v0, v[2:3]
	s_trap 2
.LBB5_822:                              ;   in Loop: Header=BB5_730 Depth=2
	s_or_b64 exec, exec, s[56:57]
	s_trap 2
	ds_read_b64 v[4:5], v0
	v_lshl_add_u64 v[12:13], v[12:13], 0, v[34:35]
	s_waitcnt lgkmcnt(0)
	v_cmp_lt_u64_e32 vcc, v[4:5], v[12:13]
	s_and_saveexec_b64 s[56:57], vcc
	s_cbranch_execz .LBB5_850
; %bb.823:                              ;   in Loop: Header=BB5_730 Depth=2
	s_mov_b32 s68, 0
	s_mov_b64 s[58:59], 0
                                        ; implicit-def: $sgpr60_sgpr61
                                        ; implicit-def: $sgpr62_sgpr63
	s_branch .LBB5_825
.LBB5_824:                              ;   in Loop: Header=BB5_825 Depth=3
	s_or_b64 exec, exec, s[66:67]
	s_and_b64 vcc, exec, vcc
	s_or_b64 s[58:59], vcc, s[58:59]
	s_andn2_b64 vcc, s[60:61], exec
	s_and_b64 s[60:61], s[62:63], exec
	s_or_b64 s[60:61], vcc, s[60:61]
	s_andn2_b64 exec, exec, s[58:59]
	s_cbranch_execz .LBB5_848
.LBB5_825:                              ;   Parent Loop BB5_47 Depth=1
                                        ;     Parent Loop BB5_730 Depth=2
                                        ; =>    This Inner Loop Header: Depth=3
	s_add_i32 s68, s68, 1
	s_cmpk_lg_i32 s68, 0x2710
	s_cselect_b64 s[64:65], -1, 0
	s_and_b64 vcc, exec, s[64:65]
                                        ; implicit-def: $sgpr66_sgpr67
	s_cbranch_vccnz .LBB5_827
; %bb.826:                              ;   in Loop: Header=BB5_825 Depth=3
	s_trap 2
	ds_read_b64 v[4:5], v0
	s_andn2_b64 s[64:65], s[64:65], exec
	s_mov_b32 s68, 0
	s_mov_b64 s[66:67], -1
	s_waitcnt vmcnt(0) lgkmcnt(0)
	flat_load_dword v1, v[4:5] sc0 sc1
	s_waitcnt vmcnt(0) lgkmcnt(0)
	buffer_inv sc0 sc1
	v_cmp_eq_u32_e32 vcc, 0, v1
	s_and_b64 vcc, vcc, exec
	s_or_b64 s[64:65], s[64:65], vcc
.LBB5_827:                              ;   in Loop: Header=BB5_825 Depth=3
	s_andn2_b64 s[62:63], s[62:63], exec
	s_and_b64 s[66:67], s[66:67], exec
	s_mov_b64 vcc, -1
	s_or_b64 s[62:63], s[62:63], s[66:67]
	s_and_saveexec_b64 s[66:67], s[64:65]
	s_cbranch_execz .LBB5_824
; %bb.828:                              ;   in Loop: Header=BB5_825 Depth=3
	s_sleep 1
	s_trap 2
	ds_read_b64 v[4:5], v0
	s_andn2_b64 s[62:63], s[62:63], exec
	s_waitcnt lgkmcnt(0)
	v_cmp_ge_u64_e32 vcc, v[4:5], v[12:13]
	s_orn2_b64 vcc, vcc, exec
	s_branch .LBB5_824
.LBB5_829:                              ;   in Loop: Header=BB5_730 Depth=2
	s_or_b64 exec, exec, s[56:57]
	s_and_saveexec_b64 vcc, s[58:59]
	s_xor_b64 vcc, exec, vcc
	s_cbranch_execz .LBB5_831
; %bb.830:                              ;   in Loop: Header=BB5_730 Depth=2
	ds_write_b32 v0, v25
	s_trap 2
.LBB5_831:                              ;   in Loop: Header=BB5_730 Depth=2
	s_or_b64 exec, exec, s[54:55]
	;;#ASMSTART
	s_wakeup
	;;#ASMEND
.LBB5_832:                              ;   in Loop: Header=BB5_730 Depth=2
	s_or_b64 exec, exec, s[30:31]
.LBB5_833:                              ;   in Loop: Header=BB5_730 Depth=2
	s_andn2_saveexec_b64 s[28:29], s[28:29]
	s_cbranch_execz .LBB5_835
; %bb.834:                              ;   in Loop: Header=BB5_730 Depth=2
	s_waitcnt lgkmcnt(0)
	s_barrier
.LBB5_835:                              ;   in Loop: Header=BB5_730 Depth=2
	s_or_b64 exec, exec, s[28:29]
	s_or_b64 exec, exec, s[24:25]
                                        ; implicit-def: $vgpr0
	s_and_saveexec_b64 s[24:25], s[22:23]
	s_xor_b64 s[24:25], exec, s[24:25]
	s_cbranch_execnz .LBB5_795
.LBB5_836:                              ;   in Loop: Header=BB5_730 Depth=2
	s_andn2_saveexec_b64 s[24:25], s[24:25]
	s_cbranch_execz .LBB5_944
.LBB5_837:                              ;   in Loop: Header=BB5_730 Depth=2
	s_and_saveexec_b64 s[28:29], s[40:41]
	s_xor_b64 s[28:29], exec, s[28:29]
	s_cbranch_execz .LBB5_941
; %bb.838:                              ;   in Loop: Header=BB5_730 Depth=2
	s_and_saveexec_b64 s[30:31], s[14:15]
	s_cbranch_execz .LBB5_940
; %bb.839:                              ;   in Loop: Header=BB5_730 Depth=2
	s_mov_b64 s[56:57], exec
	v_mbcnt_lo_u32_b32 v0, s56, 0
	v_mbcnt_hi_u32_b32 v0, s57, v0
	v_cmp_eq_u32_e32 vcc, 0, v0
	;;#ASMSTART
	s_waitcnt lgkmcnt(0) vmcnt(0)
	;;#ASMEND
	s_and_saveexec_b64 s[54:55], vcc
	s_cbranch_execz .LBB5_841
; %bb.840:                              ;   in Loop: Header=BB5_730 Depth=2
	s_bcnt1_i32_b64 vcc_lo, s[56:57]
	v_mov_b32_e32 v2, vcc_lo
	ds_add_u64 v0, v[2:3]
	s_trap 2
.LBB5_841:                              ;   in Loop: Header=BB5_730 Depth=2
	s_or_b64 exec, exec, s[54:55]
	s_trap 2
	ds_read_b64 v[0:1], v0
	v_lshl_add_u64 v[12:13], v[12:13], 0, v[34:35]
	s_waitcnt lgkmcnt(0)
	v_cmp_lt_u64_e32 vcc, v[0:1], v[12:13]
	s_and_saveexec_b64 s[54:55], vcc
	s_cbranch_execz .LBB5_939
; %bb.842:                              ;   in Loop: Header=BB5_730 Depth=2
	s_mov_b32 s66, 0
	s_mov_b64 s[56:57], 0
                                        ; implicit-def: $sgpr58_sgpr59
                                        ; implicit-def: $sgpr60_sgpr61
	s_branch .LBB5_844
.LBB5_843:                              ;   in Loop: Header=BB5_844 Depth=3
	s_or_b64 exec, exec, s[64:65]
	s_and_b64 vcc, exec, vcc
	s_or_b64 s[56:57], vcc, s[56:57]
	s_andn2_b64 vcc, s[58:59], exec
	s_and_b64 s[58:59], s[60:61], exec
	s_or_b64 s[58:59], vcc, s[58:59]
	s_andn2_b64 exec, exec, s[56:57]
	s_cbranch_execz .LBB5_937
.LBB5_844:                              ;   Parent Loop BB5_47 Depth=1
                                        ;     Parent Loop BB5_730 Depth=2
                                        ; =>    This Inner Loop Header: Depth=3
	s_add_i32 s66, s66, 1
	s_cmpk_lg_i32 s66, 0x2710
	s_cselect_b64 s[62:63], -1, 0
	s_and_b64 vcc, exec, s[62:63]
                                        ; implicit-def: $sgpr64_sgpr65
	s_cbranch_vccnz .LBB5_846
; %bb.845:                              ;   in Loop: Header=BB5_844 Depth=3
	s_trap 2
	ds_read_b64 v[0:1], v0
	s_andn2_b64 s[62:63], s[62:63], exec
	s_mov_b32 s66, 0
	s_mov_b64 s[64:65], -1
	s_waitcnt vmcnt(0) lgkmcnt(0)
	flat_load_dword v0, v[0:1] sc0 sc1
	s_waitcnt vmcnt(0) lgkmcnt(0)
	buffer_inv sc0 sc1
	v_cmp_eq_u32_e32 vcc, 0, v0
	s_and_b64 vcc, vcc, exec
	s_or_b64 s[62:63], s[62:63], vcc
.LBB5_846:                              ;   in Loop: Header=BB5_844 Depth=3
	s_andn2_b64 s[60:61], s[60:61], exec
	s_and_b64 s[64:65], s[64:65], exec
	s_mov_b64 vcc, -1
	s_or_b64 s[60:61], s[60:61], s[64:65]
	s_and_saveexec_b64 s[64:65], s[62:63]
	s_cbranch_execz .LBB5_843
; %bb.847:                              ;   in Loop: Header=BB5_844 Depth=3
	s_sleep 1
	s_trap 2
	ds_read_b64 v[0:1], v0
	s_andn2_b64 s[60:61], s[60:61], exec
	s_waitcnt lgkmcnt(0)
	v_cmp_ge_u64_e32 vcc, v[0:1], v[12:13]
	s_orn2_b64 vcc, vcc, exec
	s_branch .LBB5_843
.LBB5_848:                              ;   in Loop: Header=BB5_730 Depth=2
	s_or_b64 exec, exec, s[58:59]
	s_and_saveexec_b64 vcc, s[60:61]
	s_xor_b64 vcc, exec, vcc
	s_cbranch_execz .LBB5_850
; %bb.849:                              ;   in Loop: Header=BB5_730 Depth=2
	ds_write_b32 v0, v25
	s_trap 2
.LBB5_850:                              ;   in Loop: Header=BB5_730 Depth=2
	s_or_b64 exec, exec, s[56:57]
	;;#ASMSTART
	s_wakeup
	;;#ASMEND
.LBB5_851:                              ;   in Loop: Header=BB5_730 Depth=2
	s_or_b64 exec, exec, s[28:29]
.LBB5_852:                              ;   in Loop: Header=BB5_730 Depth=2
	s_andn2_saveexec_b64 s[26:27], s[26:27]
	s_cbranch_execz .LBB5_854
; %bb.853:                              ;   in Loop: Header=BB5_730 Depth=2
	s_waitcnt lgkmcnt(0)
	s_barrier
.LBB5_854:                              ;   in Loop: Header=BB5_730 Depth=2
	s_or_b64 exec, exec, s[26:27]
.LBB5_855:                              ;   in Loop: Header=BB5_730 Depth=2
	s_or_b64 exec, exec, s[24:25]
	s_trap 2
	s_waitcnt lgkmcnt(0)
	ds_read_b64 v[4:5], v0
	s_waitcnt lgkmcnt(0)
	v_readfirstlane_b32 s24, v4
	v_readfirstlane_b32 s25, v5
	s_cmp_eq_u64 s[24:25], 0
	s_cselect_b64 s[24:25], -1, 0
	s_or_b64 s[26:27], s[24:25], s[24:25]
	s_mov_b64 s[24:25], 0
	s_and_b64 vcc, exec, s[26:27]
	s_cbranch_vccnz .LBB5_863
; %bb.856:                              ;   in Loop: Header=BB5_730 Depth=2
	s_trap 2
	ds_read_b64 v[4:5], v0
	v_cmp_eq_u32_e64 s[24:25], 0, v0
	s_waitcnt lgkmcnt(0)
	v_cmp_ne_u64_e32 vcc, 0, v[4:5]
	v_cndmask_b32_e64 v37, 0, v16, s[24:25]
	s_cbranch_vccz .LBB5_868
; %bb.857:                              ;   in Loop: Header=BB5_730 Depth=2
	s_trap 2
	ds_read_b64 v[46:47], v0
	s_mov_b64 s[24:25], -1
	s_and_saveexec_b64 s[26:27], s[18:19]
	s_cbranch_execz .LBB5_859
; %bb.858:                              ;   in Loop: Header=BB5_730 Depth=2
	ds_read_b32 v0, v0 offset:720
	s_waitcnt lgkmcnt(0)
	v_and_b32_e32 v0, 15, v0
	v_cmp_eq_u32_e32 vcc, 0, v0
	s_orn2_b64 s[24:25], vcc, exec
.LBB5_859:                              ;   in Loop: Header=BB5_730 Depth=2
	s_or_b64 exec, exec, s[26:27]
	s_and_saveexec_b64 s[26:27], s[20:21]
	s_cbranch_execz .LBB5_861
; %bb.860:                              ;   in Loop: Header=BB5_730 Depth=2
	ds_read_b32 v0, v0 offset:784
	s_waitcnt lgkmcnt(0)
	v_and_b32_e32 v0, 15, v0
	v_cmp_eq_u32_e32 vcc, 0, v0
	s_and_b64 s[28:29], s[24:25], vcc
	s_andn2_b64 s[24:25], s[24:25], exec
	s_and_b64 s[28:29], s[28:29], exec
	s_or_b64 s[24:25], s[24:25], s[28:29]
.LBB5_861:                              ;   in Loop: Header=BB5_730 Depth=2
	s_or_b64 exec, exec, s[26:27]
	s_xor_b64 s[24:25], s[24:25], -1
	v_cndmask_b32_e64 v0, 0, 1, s[24:25]
	v_lshlrev_b32_e32 v39, 1, v37
	s_mov_b64 s[26:27], -1
	;;#ASMSTART
	;;#ASMEND
	v_mov_b32_e32 v2, 0
	v_cmp_ne_u32_e32 vcc, 0, v0
	s_cbranch_vccz .LBB5_869
; %bb.862:                              ;   in Loop: Header=BB5_730 Depth=2
	v_mov_b32_e32 v17, v59
	v_mov_b32_e32 v4, v58
	s_and_saveexec_b64 s[28:29], s[26:27]
	s_cbranch_execnz .LBB5_886
	s_branch .LBB5_896
.LBB5_863:                              ;   in Loop: Header=BB5_730 Depth=2
	s_and_saveexec_b64 s[26:27], s[6:7]
	s_cbranch_execnz .LBB5_926
.LBB5_864:                              ;   in Loop: Header=BB5_730 Depth=2
	s_or_b64 exec, exec, s[26:27]
                                        ; implicit-def: $vgpr0
	s_and_saveexec_b64 s[26:27], s[22:23]
	s_xor_b64 s[26:27], exec, s[26:27]
	s_cbranch_execz .LBB5_956
.LBB5_865:                              ;   in Loop: Header=BB5_730 Depth=2
	v_and_b32_e32 v1, 16, v62
	v_cmp_ne_u32_e32 vcc, 0, v1
	v_and_b32_e32 v0, 16, v62
	s_and_b64 s[28:29], vcc, s[24:25]
	s_and_saveexec_b64 s[24:25], s[28:29]
	s_cbranch_execz .LBB5_867
; %bb.866:                              ;   in Loop: Header=BB5_730 Depth=2
	v_mov_b32_e32 v0, 1
	buffer_wbl2 sc1
	s_waitcnt vmcnt(0) lgkmcnt(0)
	buffer_inv sc1
.LBB5_867:                              ;   in Loop: Header=BB5_730 Depth=2
	s_or_b64 exec, exec, s[24:25]
	s_andn2_saveexec_b64 s[24:25], s[26:27]
	s_cbranch_execz .LBB5_975
	s_branch .LBB5_957
.LBB5_868:                              ;   in Loop: Header=BB5_730 Depth=2
	s_cbranch_execnz .LBB5_897
	s_branch .LBB5_925
.LBB5_869:                              ;   in Loop: Header=BB5_730 Depth=2
	v_accvgpr_read_b32 v0, a20
	v_accvgpr_read_b32 v1, a21
	v_sub_u32_e32 v1, v39, v0
	v_ashrrev_i32_e32 v0, 31, v39
	v_lshrrev_b32_e32 v0, 22, v0
	v_add_u32_e32 v0, v39, v0
	v_ashrrev_i32_e32 v2, 10, v0
	v_and_b32_e32 v0, 0xfffffc00, v0
	v_sub_u32_e32 v53, v39, v0
	v_cmp_lt_i32_e64 s[24:25], 15, v53
	v_accvgpr_read_b32 v4, a35
	s_nop 0
	v_addc_co_u32_e64 v52, vcc, v2, v4, s[24:25]
	v_cmp_lt_i32_e32 vcc, 15, v1
	s_and_saveexec_b64 s[56:57], vcc
	s_cbranch_execz .LBB5_875
; %bb.870:                              ;   in Loop: Header=BB5_730 Depth=2
	s_trap 2
	ds_read_b64 v[8:9], v0
	ds_read_b128 v[4:7], v0
	v_accvgpr_read_b32 v10, a20
	v_accvgpr_read_b32 v11, a21
	s_waitcnt lgkmcnt(0)
	v_lshl_add_u64 v[14:15], v[46:47], 0, v[10:11]
	v_lshl_add_u64 v[18:19], v[8:9], 0, v[10:11]
	;; [unrolled: 1-line block ×4, first 2 shown]
	s_mov_b64 s[58:59], 0
.LBB5_871:                              ;   Parent Loop BB5_47 Depth=1
                                        ;     Parent Loop BB5_730 Depth=2
                                        ; =>    This Loop Header: Depth=3
                                        ;         Child Loop BB5_872 Depth 4
	global_load_dwordx4 v[8:11], v[18:19], off nt
	global_load_dwordx4 v[4:7], v[14:15], off nt
	s_mov_b64 s[62:63], -1
	s_mov_b64 s[60:61], 0
	s_waitcnt vmcnt(0)
	v_mul_f16_e32 v2, v8, v4
	v_mul_f16_sdwa v4, v8, v4 dst_sel:WORD_1 dst_unused:UNUSED_PAD src0_sel:WORD_1 src1_sel:WORD_1
	v_mul_f16_e32 v17, v9, v5
	v_mul_f16_sdwa v5, v9, v5 dst_sel:WORD_1 dst_unused:UNUSED_PAD src0_sel:WORD_1 src1_sel:WORD_1
	;; [unrolled: 2-line block ×4, first 2 shown]
	v_or_b32_e32 v5, v5, v17
	v_or_b32_e32 v2, v4, v2
	;; [unrolled: 1-line block ×4, first 2 shown]
.LBB5_872:                              ;   Parent Loop BB5_47 Depth=1
                                        ;     Parent Loop BB5_730 Depth=2
                                        ;       Parent Loop BB5_871 Depth=3
                                        ; =>      This Inner Loop Header: Depth=4
	v_cndmask_b32_e64 v6, 0, 1, s[62:63]
	v_cndmask_b32_e64 v27, v9, v5, s[62:63]
	v_readfirstlane_b32 s26, v6
	s_cmp_lg_u32 s26, 1
	s_cselect_b64 vcc, -1, 0
	s_cmp_eq_u32 s60, 1
	s_cselect_b64 s[26:27], -1, 0
	v_cndmask_b32_e64 v26, v8, v2, s[62:63]
	v_cndmask_b32_e64 v29, v11, v17, s[62:63]
	;; [unrolled: 1-line block ×3, first 2 shown]
	v_cndmask_b32_e32 v7, v31, v49, vcc
	v_cndmask_b32_e32 v6, v30, v48, vcc
	v_cndmask_b32_e64 v55, v31, v49, s[26:27]
	s_cmp_eq_u32 s60, 0
	v_cndmask_b32_e64 v54, v30, v48, s[26:27]
	global_store_dwordx4 v[6:7], v[26:29], off nt
	v_lshl_add_u64 v[6:7], v[54:55], 0, s[42:43]
	s_cselect_b64 s[28:29], -1, 0
	s_mov_b64 s[62:63], 0
	s_mov_b64 s[60:61], 1
	s_and_b64 vcc, exec, vcc
	v_cndmask_b32_e64 v49, v49, v7, s[26:27]
	v_cndmask_b32_e64 v48, v48, v6, s[26:27]
	;; [unrolled: 1-line block ×4, first 2 shown]
	s_cbranch_vccz .LBB5_872
; %bb.873:                              ;   in Loop: Header=BB5_871 Depth=3
	v_accvgpr_read_b32 v4, a26
	v_sub_u32_e32 v1, v1, v38
	v_accvgpr_read_b32 v5, a27
	v_cmp_gt_i32_e32 vcc, 16, v1
	v_lshl_add_u64 v[30:31], v[30:31], 0, v[4:5]
	v_lshl_add_u64 v[48:49], v[48:49], 0, v[4:5]
	;; [unrolled: 1-line block ×4, first 2 shown]
	s_or_b64 s[58:59], vcc, s[58:59]
	v_sub_u32_e32 v52, v52, v34
	s_andn2_b64 exec, exec, s[58:59]
	s_cbranch_execnz .LBB5_871
; %bb.874:                              ;   in Loop: Header=BB5_730 Depth=2
	s_or_b64 exec, exec, s[58:59]
	v_accvgpr_read_b32 v49, a17
	v_accvgpr_read_b32 v28, a28
	;; [unrolled: 1-line block ×8, first 2 shown]
	v_mov_b32_e32 v25, 1
.LBB5_875:                              ;   in Loop: Header=BB5_730 Depth=2
	s_or_b64 exec, exec, s[56:57]
	v_and_b32_e32 v5, 14, v39
	v_cndmask_b32_e64 v1, v53, v5, s[24:25]
	v_cmp_ne_u32_e32 vcc, 0, v1
	s_mov_b64 s[26:27], 0
	v_mov_b32_e32 v2, 0
                                        ; implicit-def: $vgpr39
                                        ; implicit-def: $vgpr17
                                        ; implicit-def: $vgpr4
	s_and_saveexec_b64 s[56:57], vcc
	s_cbranch_execz .LBB5_885
; %bb.876:                              ;   in Loop: Header=BB5_730 Depth=2
	v_sub_u32_e32 v2, v53, v5
	v_cndmask_b32_e64 v2, 0, v2, s[24:25]
	v_cmp_lt_i32_e32 vcc, 0, v52
	v_add_u32_e32 v0, v2, v0
	v_accvgpr_read_b32 v4, a34
	v_cndmask_b32_e32 v2, 0, v34, vcc
	v_sub_u32_e32 v2, v2, v52
	v_lshl_add_u32 v2, v2, 6, v4
	v_ashrrev_i32_e32 v4, 31, v2
	v_lshrrev_b32_e32 v4, 26, v4
	v_add_u32_e32 v4, v2, v4
	v_ashrrev_i32_e32 v5, 6, v4
	v_and_b32_e32 v4, 0xffffffc0, v4
	v_sub_u32_e32 v52, v2, v4
	v_ashrrev_i32_e32 v4, 31, v1
	v_lshrrev_b32_e32 v4, 22, v4
	v_add_u32_e32 v4, v1, v4
	v_and_b32_e32 v53, 0xfffffc00, v4
	v_lshlrev_b32_e32 v2, 4, v52
	v_sub_u32_e32 v61, v1, v53
	v_lshl_add_u32 v2, v5, 10, v2
	v_ashrrev_i32_e32 v6, 10, v4
	v_cmp_lt_i32_e64 s[24:25], 15, v61
	v_sub_u32_e32 v39, v1, v2
	s_nop 0
	v_addc_co_u32_e64 v4, vcc, 0, v6, s[24:25]
	v_sub_u32_e32 v60, v4, v5
	v_cmp_lt_i32_e32 vcc, 15, v39
	s_and_saveexec_b64 s[58:59], vcc
	s_cbranch_execz .LBB5_882
; %bb.877:                              ;   in Loop: Header=BB5_730 Depth=2
	s_trap 2
	ds_read_b64 v[8:9], v0
	ds_read_b128 v[4:7], v0
	v_add_u32_e32 v10, v2, v0
	v_ashrrev_i32_e32 v11, 31, v10
	s_waitcnt lgkmcnt(0)
	v_lshl_add_u64 v[18:19], v[10:11], 0, v[46:47]
	v_lshl_add_u64 v[14:15], v[8:9], 0, v[10:11]
	;; [unrolled: 1-line block ×4, first 2 shown]
	s_mov_b64 s[60:61], 0
.LBB5_878:                              ;   Parent Loop BB5_47 Depth=1
                                        ;     Parent Loop BB5_730 Depth=2
                                        ; =>    This Loop Header: Depth=3
                                        ;         Child Loop BB5_879 Depth 4
	global_load_dwordx4 v[8:11], v[14:15], off nt
	global_load_dwordx4 v[4:7], v[18:19], off nt
	s_mov_b64 s[64:65], -1
	s_mov_b64 s[62:63], 0
	s_waitcnt vmcnt(0)
	v_mul_f16_e32 v2, v8, v4
	v_mul_f16_sdwa v4, v8, v4 dst_sel:WORD_1 dst_unused:UNUSED_PAD src0_sel:WORD_1 src1_sel:WORD_1
	v_mul_f16_e32 v17, v9, v5
	v_mul_f16_sdwa v5, v9, v5 dst_sel:WORD_1 dst_unused:UNUSED_PAD src0_sel:WORD_1 src1_sel:WORD_1
	;; [unrolled: 2-line block ×4, first 2 shown]
	v_or_b32_e32 v5, v5, v17
	v_or_b32_e32 v2, v4, v2
	;; [unrolled: 1-line block ×4, first 2 shown]
.LBB5_879:                              ;   Parent Loop BB5_47 Depth=1
                                        ;     Parent Loop BB5_730 Depth=2
                                        ;       Parent Loop BB5_878 Depth=3
                                        ; =>      This Inner Loop Header: Depth=4
	v_cndmask_b32_e64 v6, 0, 1, s[64:65]
	v_cndmask_b32_e64 v27, v9, v5, s[64:65]
	v_readfirstlane_b32 s26, v6
	s_cmp_lg_u32 s26, 1
	s_cselect_b64 vcc, -1, 0
	s_cmp_eq_u32 s62, 1
	s_cselect_b64 s[26:27], -1, 0
	v_cndmask_b32_e64 v26, v8, v2, s[64:65]
	v_cndmask_b32_e64 v29, v11, v17, s[64:65]
	;; [unrolled: 1-line block ×3, first 2 shown]
	v_cndmask_b32_e32 v7, v31, v49, vcc
	v_cndmask_b32_e32 v6, v30, v48, vcc
	v_cndmask_b32_e64 v55, v31, v49, s[26:27]
	s_cmp_eq_u32 s62, 0
	v_cndmask_b32_e64 v54, v30, v48, s[26:27]
	global_store_dwordx4 v[6:7], v[26:29], off nt
	v_lshl_add_u64 v[6:7], v[54:55], 0, s[42:43]
	s_cselect_b64 s[28:29], -1, 0
	s_mov_b64 s[64:65], 0
	s_mov_b64 s[62:63], 1
	s_and_b64 vcc, exec, vcc
	v_cndmask_b32_e64 v49, v49, v7, s[26:27]
	v_cndmask_b32_e64 v48, v48, v6, s[26:27]
	;; [unrolled: 1-line block ×4, first 2 shown]
	s_cbranch_vccz .LBB5_879
; %bb.880:                              ;   in Loop: Header=BB5_878 Depth=3
	v_accvgpr_read_b32 v4, a26
	v_sub_u32_e32 v39, v39, v38
	v_accvgpr_read_b32 v5, a27
	v_cmp_gt_i32_e32 vcc, 16, v39
	v_lshl_add_u64 v[30:31], v[30:31], 0, v[4:5]
	v_lshl_add_u64 v[48:49], v[48:49], 0, v[4:5]
	v_lshl_add_u64 v[14:15], v[14:15], 0, v[42:43]
	v_lshl_add_u64 v[18:19], v[18:19], 0, v[42:43]
	s_or_b64 s[60:61], vcc, s[60:61]
	v_sub_u32_e32 v60, v60, v34
	s_andn2_b64 exec, exec, s[60:61]
	s_cbranch_execnz .LBB5_878
; %bb.881:                              ;   in Loop: Header=BB5_730 Depth=2
	s_or_b64 exec, exec, s[60:61]
	v_accvgpr_read_b32 v49, a17
	v_accvgpr_read_b32 v28, a28
	;; [unrolled: 1-line block ×8, first 2 shown]
	v_mov_b32_e32 v25, 1
.LBB5_882:                              ;   in Loop: Header=BB5_730 Depth=2
	s_or_b64 exec, exec, s[58:59]
	v_and_b32_e32 v1, 14, v1
	v_cndmask_b32_e64 v39, v61, v1, s[24:25]
	v_cmp_ne_u32_e32 vcc, 0, v39
	s_mov_b64 s[26:27], 0
	v_mov_b32_e32 v2, 0
                                        ; implicit-def: $vgpr17
                                        ; implicit-def: $vgpr4
	s_and_saveexec_b64 s[28:29], vcc
	s_cbranch_execz .LBB5_884
; %bb.883:                              ;   in Loop: Header=BB5_730 Depth=2
	v_sub_u32_e32 v1, v61, v1
	v_cndmask_b32_e64 v1, 0, v1, s[24:25]
	v_cmp_lt_i32_e32 vcc, 0, v60
	v_add3_u32 v2, v53, v0, v1
	s_mov_b64 s[26:27], exec
	v_cndmask_b32_e32 v0, 0, v34, vcc
	v_sub_u32_e32 v0, v0, v60
	v_lshl_add_u32 v17, v0, 6, v52
	v_ashrrev_i32_e32 v0, 31, v17
	v_lshrrev_b32_e32 v0, 26, v0
	v_add_u32_e32 v0, v17, v0
	v_ashrrev_i32_e32 v4, 6, v0
.LBB5_884:                              ;   in Loop: Header=BB5_730 Depth=2
	s_or_b64 exec, exec, s[28:29]
	v_accvgpr_read_b32 v61, a15
	s_and_b64 s[26:27], s[26:27], exec
	v_accvgpr_read_b32 v60, a14
.LBB5_885:                              ;   in Loop: Header=BB5_730 Depth=2
	s_or_b64 exec, exec, s[56:57]
	v_accvgpr_read_b32 v53, a13
	v_accvgpr_read_b32 v52, a12
	s_and_saveexec_b64 s[28:29], s[26:27]
	s_cbranch_execz .LBB5_896
.LBB5_886:                              ;   in Loop: Header=BB5_730 Depth=2
	v_ashrrev_i32_e32 v0, 31, v39
	v_lshrrev_b32_e32 v0, 23, v0
	v_add_u32_e32 v0, v39, v0
	v_ashrrev_i32_e32 v30, 9, v0
	v_sub_u32_e32 v0, v30, v4
	v_ashrrev_i32_e32 v1, 31, v17
	v_cmp_lt_i32_e32 vcc, 0, v0
	v_lshrrev_b32_e32 v1, 26, v1
	s_and_saveexec_b64 s[24:25], vcc
	s_cbranch_execz .LBB5_890
; %bb.887:                              ;   in Loop: Header=BB5_730 Depth=2
	v_add_u32_e32 v5, v17, v1
	s_trap 2
	v_and_b32_e32 v5, 0x7fffffc0, v5
	ds_read_b64 v[8:9], v0
	ds_read_b128 v[26:29], v0
	v_sub_u32_e32 v5, v17, v5
	v_lshlrev_b32_e32 v5, 1, v5
	v_lshlrev_b32_e32 v4, 9, v4
	v_add3_u32 v10, v5, v2, v4
	v_ashrrev_i32_e32 v11, 31, v10
	s_waitcnt lgkmcnt(0)
	v_lshl_add_u64 v[4:5], v[26:27], 0, v[10:11]
	v_lshl_add_u64 v[14:15], v[28:29], 0, v[10:11]
	s_mov_b64 s[26:27], 0
	v_mov_b64_e32 v[18:19], v[46:47]
.LBB5_888:                              ;   Parent Loop BB5_47 Depth=1
                                        ;     Parent Loop BB5_730 Depth=2
                                        ; =>    This Inner Loop Header: Depth=3
	v_lshl_add_u64 v[6:7], v[10:11], 0, v[18:19]
	v_lshl_add_u64 v[26:27], v[10:11], 0, v[8:9]
	flat_load_ushort v28, v[6:7] offset:256 nt
	flat_load_ushort v29, v[6:7] offset:384 nt
	;; [unrolled: 1-line block ×3, first 2 shown]
	s_nop 0
	flat_load_ushort v6, v[6:7] nt
	s_nop 0
	flat_load_ushort v7, v[26:27] nt
	flat_load_ushort v48, v[26:27] offset:128 nt
	flat_load_ushort v49, v[26:27] offset:256 nt
	s_nop 0
	flat_load_ushort v26, v[26:27] offset:384 nt
	v_sub_u32_e32 v0, v0, v34
	v_cmp_gt_i32_e32 vcc, 1, v0
	v_lshl_add_u64 v[18:19], v[18:19], 0, v[40:41]
	v_lshl_add_u64 v[8:9], v[8:9], 0, v[40:41]
	s_or_b64 s[26:27], vcc, s[26:27]
	s_waitcnt vmcnt(0) lgkmcnt(0)
	v_mul_f16_e32 v6, v6, v7
	v_mul_f16_e32 v27, v31, v48
	;; [unrolled: 1-line block ×4, first 2 shown]
	flat_store_short v[4:5], v6 nt
	flat_store_short v[4:5], v27 offset:128 nt
	flat_store_short v[4:5], v28 offset:256 nt
	;; [unrolled: 1-line block ×3, first 2 shown]
	flat_store_short v[14:15], v7 nt
	flat_store_short v[14:15], v48 offset:128 nt
	flat_store_short v[14:15], v49 offset:256 nt
	;; [unrolled: 1-line block ×3, first 2 shown]
	v_lshl_add_u64 v[4:5], v[4:5], 0, v[40:41]
	v_lshl_add_u64 v[14:15], v[14:15], 0, v[40:41]
	s_andn2_b64 exec, exec, s[26:27]
	s_cbranch_execnz .LBB5_888
; %bb.889:                              ;   in Loop: Header=BB5_730 Depth=2
	s_or_b64 exec, exec, s[26:27]
	v_accvgpr_read_b32 v49, a17
	v_accvgpr_read_b32 v28, a28
	;; [unrolled: 1-line block ×6, first 2 shown]
.LBB5_890:                              ;   in Loop: Header=BB5_730 Depth=2
	s_or_b64 exec, exec, s[24:25]
	v_lshlrev_b32_e32 v4, 9, v30
	v_cmp_ne_u32_e32 vcc, v39, v4
	s_and_b64 exec, exec, vcc
	s_cbranch_execz .LBB5_896
; %bb.891:                              ;   in Loop: Header=BB5_730 Depth=2
	v_add_u32_e32 v1, v17, v1
	v_and_b32_e32 v1, 0xffffffc0, v1
	v_sub_u32_e32 v1, v17, v1
	v_lshlrev_b32_e32 v0, 6, v0
	v_sub_u32_e32 v0, v1, v0
	v_ashrrev_i32_e32 v1, 31, v0
	v_lshrrev_b32_e32 v1, 26, v1
	v_add_u32_e32 v1, v0, v1
	v_and_b32_e32 v5, 0x7fffffc0, v1
	v_sub_u32_e32 v0, v0, v5
	v_lshlrev_b32_e32 v1, 1, v1
	v_and_b32_e32 v1, 0xffffff80, v1
	v_lshlrev_b32_e32 v0, 1, v0
	v_add3_u32 v1, v1, v0, v4
	v_sub_u32_e32 v0, v39, v1
	v_cmp_lt_i32_e32 vcc, 1, v0
	s_and_b64 exec, exec, vcc
	s_cbranch_execz .LBB5_896
; %bb.892:                              ;   in Loop: Header=BB5_730 Depth=2
	s_trap 2
	ds_read_b64 v[8:9], v0
	ds_read_b128 v[4:7], v0
	v_add_u32_e32 v18, v1, v2
	v_ashrrev_i32_e32 v19, 31, v18
	s_waitcnt lgkmcnt(0)
	v_lshl_add_u64 v[10:11], v[18:19], 0, v[46:47]
	v_lshl_add_u64 v[8:9], v[8:9], 0, v[18:19]
	;; [unrolled: 1-line block ×4, first 2 shown]
	s_mov_b64 s[56:57], 0
.LBB5_893:                              ;   Parent Loop BB5_47 Depth=1
                                        ;     Parent Loop BB5_730 Depth=2
                                        ; =>    This Loop Header: Depth=3
                                        ;         Child Loop BB5_894 Depth 4
	flat_load_ushort v1, v[8:9] nt
	flat_load_ushort v2, v[10:11] nt
	s_mov_b64 s[60:61], -1
	s_mov_b64 s[58:59], 0
	s_waitcnt vmcnt(0) lgkmcnt(0)
	v_mul_f16_e32 v2, v1, v2
.LBB5_894:                              ;   Parent Loop BB5_47 Depth=1
                                        ;     Parent Loop BB5_730 Depth=2
                                        ;       Parent Loop BB5_893 Depth=3
                                        ; =>      This Inner Loop Header: Depth=4
	v_cndmask_b32_e64 v4, 0, 1, s[60:61]
	v_cndmask_b32_e64 v6, v1, v2, s[60:61]
	v_readfirstlane_b32 s24, v4
	s_cmp_lg_u32 s24, 1
	s_cselect_b64 vcc, -1, 0
	s_cmp_eq_u32 s58, 1
	v_cndmask_b32_e32 v5, v15, v19, vcc
	v_cndmask_b32_e32 v4, v14, v18, vcc
	s_cselect_b64 s[24:25], -1, 0
	v_cndmask_b32_e64 v7, v15, v19, s[24:25]
	s_cmp_eq_u32 s58, 0
	flat_store_short v[4:5], v6 nt
	v_cndmask_b32_e64 v6, v14, v18, s[24:25]
	v_lshl_add_u64 v[4:5], v[6:7], 0, s[44:45]
	s_cselect_b64 s[26:27], -1, 0
	s_mov_b64 s[60:61], 0
	s_mov_b64 s[58:59], 1
	s_and_b64 vcc, exec, vcc
	v_cndmask_b32_e64 v19, v19, v5, s[24:25]
	v_cndmask_b32_e64 v18, v18, v4, s[24:25]
	;; [unrolled: 1-line block ×4, first 2 shown]
	s_cbranch_vccz .LBB5_894
; %bb.895:                              ;   in Loop: Header=BB5_893 Depth=3
	v_sub_u32_e32 v0, v0, v24
	v_cmp_gt_i32_e32 vcc, 2, v0
	v_lshl_add_u64 v[14:15], v[14:15], 0, v[28:29]
	v_lshl_add_u64 v[18:19], v[18:19], 0, v[28:29]
	;; [unrolled: 1-line block ×3, first 2 shown]
	s_or_b64 s[56:57], vcc, s[56:57]
	v_lshl_add_u64 v[10:11], v[10:11], 0, v[44:45]
	s_andn2_b64 exec, exec, s[56:57]
	s_cbranch_execnz .LBB5_893
.LBB5_896:                              ;   in Loop: Header=BB5_730 Depth=2
	s_or_b64 exec, exec, s[28:29]
	s_waitcnt lgkmcnt(0)
	v_accvgpr_read_b32 v47, a25
	v_accvgpr_read_b32 v46, a24
	s_branch .LBB5_925
.LBB5_897:                              ;   in Loop: Header=BB5_730 Depth=2
	s_mov_b64 s[24:25], -1
	s_and_saveexec_b64 s[26:27], s[18:19]
	s_cbranch_execz .LBB5_899
; %bb.898:                              ;   in Loop: Header=BB5_730 Depth=2
	ds_read_b32 v0, v0 offset:720
	s_waitcnt lgkmcnt(0)
	v_and_b32_e32 v0, 15, v0
	v_cmp_eq_u32_e32 vcc, 0, v0
	s_orn2_b64 s[24:25], vcc, exec
.LBB5_899:                              ;   in Loop: Header=BB5_730 Depth=2
	s_or_b64 exec, exec, s[26:27]
	s_and_saveexec_b64 s[26:27], s[16:17]
	s_cbranch_execz .LBB5_901
; %bb.900:                              ;   in Loop: Header=BB5_730 Depth=2
	ds_read_b32 v0, v0 offset:784
	s_waitcnt lgkmcnt(0)
	v_and_b32_e32 v0, 15, v0
	v_cmp_eq_u32_e32 vcc, 0, v0
	s_and_b64 s[28:29], s[24:25], vcc
	s_andn2_b64 s[24:25], s[24:25], exec
	s_and_b64 s[28:29], s[28:29], exec
	s_or_b64 s[24:25], s[24:25], s[28:29]
.LBB5_901:                              ;   in Loop: Header=BB5_730 Depth=2
	s_or_b64 exec, exec, s[26:27]
	s_xor_b64 s[24:25], s[24:25], -1
	v_cndmask_b32_e64 v0, 0, 1, s[24:25]
	v_lshlrev_b32_e32 v2, 1, v37
	s_mov_b64 s[28:29], -1
	;;#ASMSTART
	;;#ASMEND
	v_mov_b32_e32 v17, 0
	v_cmp_ne_u32_e32 vcc, 0, v0
	s_cbranch_vccz .LBB5_903
; %bb.902:                              ;   in Loop: Header=BB5_730 Depth=2
	v_mov_b32_e32 v0, v59
	v_mov_b32_e32 v18, v58
	s_and_saveexec_b64 s[24:25], s[28:29]
	s_cbranch_execnz .LBB5_916
	s_branch .LBB5_924
.LBB5_903:                              ;   in Loop: Header=BB5_730 Depth=2
	v_ashrrev_i32_e32 v0, 31, v2
	v_lshrrev_b32_e32 v0, 21, v0
	v_add_u32_e32 v0, v2, v0
	v_ashrrev_i32_e32 v0, 11, v0
	v_sub_u32_e32 v14, v0, v58
	v_cmp_lt_i32_e32 vcc, 0, v14
	s_and_saveexec_b64 s[24:25], vcc
	s_cbranch_execz .LBB5_907
; %bb.904:                              ;   in Loop: Header=BB5_730 Depth=2
	s_trap 2
	ds_read_b64 v[8:9], v0
	v_accvgpr_read_b32 v10, a36
	s_mov_b64 s[26:27], 0
	v_accvgpr_read_b32 v11, a37
	v_mov_b64_e32 v[24:25], v[26:27]
.LBB5_905:                              ;   Parent Loop BB5_47 Depth=1
                                        ;     Parent Loop BB5_730 Depth=2
                                        ; =>    This Inner Loop Header: Depth=3
	s_waitcnt lgkmcnt(0)
	v_lshl_add_u64 v[4:5], v[8:9], 0, v[10:11]
	global_load_dwordx4 v[26:29], v[10:11], off nt
	global_load_dwordx4 v[52:55], v[10:11], off offset:1024 nt
	global_load_dwordx4 v[46:49], v[4:5], off nt
	global_load_dwordx4 v[58:61], v[4:5], off offset:1024 nt
	v_sub_u32_e32 v14, v14, v34
	v_cmp_gt_i32_e32 vcc, 1, v14
	v_lshl_add_u64 v[10:11], v[10:11], 0, v[24:25]
	s_or_b64 s[26:27], vcc, s[26:27]
	s_waitcnt vmcnt(0)
	v_mul_f16_e32 v1, v46, v26
	v_mul_f16_sdwa v6, v46, v26 dst_sel:WORD_1 dst_unused:UNUSED_PAD src0_sel:WORD_1 src1_sel:WORD_1
	v_mul_f16_e32 v7, v47, v27
	v_mul_f16_sdwa v15, v47, v27 dst_sel:WORD_1 dst_unused:UNUSED_PAD src0_sel:WORD_1 src1_sel:WORD_1
	;; [unrolled: 2-line block ×8, first 2 shown]
	v_or_b32_e32 v27, v15, v7
	v_or_b32_e32 v26, v6, v1
	;; [unrolled: 1-line block ×8, first 2 shown]
	global_store_dwordx4 v[4:5], v[26:29], off nt
	global_store_dwordx4 v[4:5], v[52:55], off offset:1024 nt
	s_andn2_b64 exec, exec, s[26:27]
	s_cbranch_execnz .LBB5_905
; %bb.906:                              ;   in Loop: Header=BB5_730 Depth=2
	s_or_b64 exec, exec, s[26:27]
	v_accvgpr_read_b32 v53, a13
	v_accvgpr_read_b32 v61, a15
	;; [unrolled: 1-line block ×13, first 2 shown]
	v_mov_b64_e32 v[26:27], v[24:25]
	v_accvgpr_read_b32 v24, a33
	v_mov_b32_e32 v25, 1
.LBB5_907:                              ;   in Loop: Header=BB5_730 Depth=2
	s_or_b64 exec, exec, s[24:25]
	v_lshlrev_b32_e32 v1, 11, v0
	v_cmp_ne_u32_e32 vcc, v2, v1
	s_mov_b64 s[28:29], 0
	v_mov_b32_e32 v17, 0
                                        ; implicit-def: $vgpr0
                                        ; implicit-def: $vgpr18
	s_and_saveexec_b64 s[26:27], vcc
	s_cbranch_execz .LBB5_915
; %bb.908:                              ;   in Loop: Header=BB5_730 Depth=2
	v_lshlrev_b32_e32 v0, 6, v14
	v_accvgpr_read_b32 v5, a34
	v_sub_u32_e32 v0, v5, v0
	v_ashrrev_i32_e32 v5, 31, v0
	v_lshrrev_b32_e32 v5, 26, v5
	v_add_u32_e32 v5, v0, v5
	v_sub_u32_e32 v4, v2, v1
	v_ashrrev_i32_e32 v6, 6, v5
	v_and_b32_e32 v5, 0xffffffc0, v5
	v_sub_u32_e32 v10, v0, v5
	v_ashrrev_i32_e32 v5, 31, v4
	v_lshrrev_b32_e32 v5, 22, v5
	v_add_u32_e32 v5, v4, v5
	v_and_b32_e32 v11, 0xfffffc00, v5
	v_lshlrev_b32_e32 v0, 4, v10
	v_sub_u32_e32 v15, v4, v11
	v_lshl_add_u32 v8, v6, 10, v0
	v_ashrrev_i32_e32 v7, 10, v5
	v_cmp_lt_i32_e32 vcc, 15, v15
	v_sub_u32_e32 v0, v4, v8
	s_nop 0
	v_addc_co_u32_e64 v4, s[24:25], 0, v7, vcc
	v_sub_u32_e32 v14, v4, v6
	v_cmp_lt_i32_e64 s[24:25], 15, v0
	s_and_saveexec_b64 s[28:29], s[24:25]
	s_cbranch_execz .LBB5_912
; %bb.909:                              ;   in Loop: Header=BB5_730 Depth=2
	s_trap 2
	ds_read_b64 v[4:5], v0
	v_add_u32_e32 v8, v8, v1
	v_ashrrev_i32_e32 v9, 31, v8
	s_mov_b64 s[56:57], 0
.LBB5_910:                              ;   Parent Loop BB5_47 Depth=1
                                        ;     Parent Loop BB5_730 Depth=2
                                        ; =>    This Inner Loop Header: Depth=3
	s_waitcnt lgkmcnt(0)
	v_lshl_add_u64 v[6:7], v[4:5], 0, v[8:9]
	global_load_dwordx4 v[26:29], v[8:9], off nt
	global_load_dwordx4 v[52:55], v[6:7], off nt
	v_sub_u32_e32 v0, v0, v38
	v_cmp_gt_i32_e64 s[24:25], 16, v0
	v_lshl_add_u64 v[8:9], v[8:9], 0, v[42:43]
	v_sub_u32_e32 v14, v14, v34
	s_or_b64 s[56:57], s[24:25], s[56:57]
	s_waitcnt vmcnt(0)
	v_mul_f16_e32 v17, v52, v26
	v_mul_f16_sdwa v18, v52, v26 dst_sel:WORD_1 dst_unused:UNUSED_PAD src0_sel:WORD_1 src1_sel:WORD_1
	v_mul_f16_e32 v19, v53, v27
	v_mul_f16_sdwa v26, v53, v27 dst_sel:WORD_1 dst_unused:UNUSED_PAD src0_sel:WORD_1 src1_sel:WORD_1
	;; [unrolled: 2-line block ×4, first 2 shown]
	v_or_b32_e32 v27, v26, v19
	v_or_b32_e32 v26, v18, v17
	;; [unrolled: 1-line block ×4, first 2 shown]
	global_store_dwordx4 v[6:7], v[26:29], off nt
	s_andn2_b64 exec, exec, s[56:57]
	s_cbranch_execnz .LBB5_910
; %bb.911:                              ;   in Loop: Header=BB5_730 Depth=2
	s_or_b64 exec, exec, s[56:57]
	v_accvgpr_read_b32 v53, a13
	v_accvgpr_read_b32 v28, a28
	;; [unrolled: 1-line block ×8, first 2 shown]
	v_mov_b32_e32 v25, 1
.LBB5_912:                              ;   in Loop: Header=BB5_730 Depth=2
	s_or_b64 exec, exec, s[28:29]
	v_and_b32_e32 v4, 14, v2
	v_cndmask_b32_e32 v2, v15, v4, vcc
	v_cmp_ne_u32_e64 s[24:25], 0, v2
	s_mov_b64 s[28:29], 0
	v_mov_b32_e32 v17, 0
                                        ; implicit-def: $vgpr0
                                        ; implicit-def: $vgpr18
	s_and_saveexec_b64 s[56:57], s[24:25]
	s_cbranch_execz .LBB5_914
; %bb.913:                              ;   in Loop: Header=BB5_730 Depth=2
	v_sub_u32_e32 v0, v15, v4
	v_cndmask_b32_e32 v0, 0, v0, vcc
	v_cmp_lt_i32_e32 vcc, 0, v14
	v_add3_u32 v17, v11, v1, v0
	s_mov_b64 s[28:29], exec
	v_cndmask_b32_e32 v0, 0, v34, vcc
	v_sub_u32_e32 v0, v0, v14
	v_lshl_add_u32 v0, v0, 6, v10
	v_ashrrev_i32_e32 v1, 31, v0
	v_lshrrev_b32_e32 v1, 26, v1
	v_add_u32_e32 v1, v0, v1
	v_ashrrev_i32_e32 v18, 6, v1
.LBB5_914:                              ;   in Loop: Header=BB5_730 Depth=2
	s_or_b64 exec, exec, s[56:57]
	s_and_b64 s[28:29], s[28:29], exec
.LBB5_915:                              ;   in Loop: Header=BB5_730 Depth=2
	s_or_b64 exec, exec, s[26:27]
	s_and_saveexec_b64 s[24:25], s[28:29]
	s_cbranch_execz .LBB5_924
.LBB5_916:                              ;   in Loop: Header=BB5_730 Depth=2
	v_ashrrev_i32_e32 v1, 31, v2
	v_lshrrev_b32_e32 v1, 23, v1
	v_add_u32_e32 v1, v2, v1
	v_ashrrev_i32_e32 v5, 9, v1
	v_sub_u32_e32 v1, v5, v18
	v_ashrrev_i32_e32 v4, 31, v0
	v_cmp_lt_i32_e32 vcc, 0, v1
	v_lshrrev_b32_e32 v4, 26, v4
	s_and_saveexec_b64 s[26:27], vcc
	s_cbranch_execz .LBB5_920
; %bb.917:                              ;   in Loop: Header=BB5_730 Depth=2
	v_add_u32_e32 v6, v0, v4
	v_and_b32_e32 v6, 0x7fffffc0, v6
	s_trap 2
	ds_read_b64 v[8:9], v0
	v_sub_u32_e32 v6, v0, v6
	v_lshlrev_b32_e32 v6, 1, v6
	v_lshlrev_b32_e32 v7, 9, v18
	v_add3_u32 v6, v6, v17, v7
	v_ashrrev_i32_e32 v7, 31, v6
	v_lshl_add_u64 v[10:11], v[6:7], 0, s[52:53]
	s_mov_b64 s[28:29], 0
.LBB5_918:                              ;   Parent Loop BB5_47 Depth=1
                                        ;     Parent Loop BB5_730 Depth=2
                                        ; =>    This Inner Loop Header: Depth=3
	s_waitcnt lgkmcnt(0)
	v_lshl_add_u64 v[14:15], v[8:9], 0, v[10:11]
	v_add_co_u32_e32 v6, vcc, 0xfffffe80, v14
	flat_load_ushort v28, v[10:11] nt
	s_nop 0
	v_addc_co_u32_e32 v7, vcc, -1, v15, vcc
	v_add_co_u32_e32 v18, vcc, 0xfffffe80, v10
	flat_load_ushort v30, v[6:7] nt
	s_nop 0
	v_addc_co_u32_e32 v19, vcc, -1, v11, vcc
	;; [unrolled: 4-line block ×5, first 2 shown]
	flat_load_ushort v48, v[18:19] nt
	v_add_co_u32_e32 v18, vcc, s74, v10
	flat_load_ushort v49, v[6:7] nt
	s_nop 0
	v_addc_co_u32_e32 v19, vcc, -1, v11, vcc
	flat_load_ushort v52, v[18:19] nt
	v_sub_u32_e32 v1, v1, v34
	v_cmp_gt_i32_e32 vcc, 1, v1
	s_or_b64 s[28:29], vcc, s[28:29]
	v_add_co_u32_e32 v6, vcc, 0xfffffe80, v14
	v_lshl_add_u64 v[10:11], v[10:11], 0, v[40:41]
	s_nop 0
	v_addc_co_u32_e32 v7, vcc, -1, v15, vcc
	v_add_co_u32_e32 v18, vcc, 0xffffff00, v14
	s_waitcnt vmcnt(0) lgkmcnt(0)
	v_mul_f16_e32 v28, v29, v28
	v_addc_co_u32_e32 v19, vcc, -1, v15, vcc
	v_mul_f16_e32 v29, v30, v31
	v_add_co_u32_e32 v26, vcc, 0xffffff80, v14
	flat_store_short v[6:7], v29 nt
	v_mul_f16_e32 v6, v39, v48
	v_addc_co_u32_e32 v27, vcc, -1, v15, vcc
	flat_store_short v[18:19], v6 nt
	v_mul_f16_e32 v6, v49, v52
	flat_store_short v[26:27], v6 nt
	flat_store_short v[14:15], v28 nt
	s_andn2_b64 exec, exec, s[28:29]
	s_cbranch_execnz .LBB5_918
; %bb.919:                              ;   in Loop: Header=BB5_730 Depth=2
	s_or_b64 exec, exec, s[28:29]
	v_accvgpr_read_b32 v53, a13
	v_accvgpr_read_b32 v49, a17
	;; [unrolled: 1-line block ×8, first 2 shown]
.LBB5_920:                              ;   in Loop: Header=BB5_730 Depth=2
	s_or_b64 exec, exec, s[26:27]
	v_lshlrev_b32_e32 v5, 9, v5
	v_cmp_ne_u32_e32 vcc, v2, v5
	s_and_b64 exec, exec, vcc
	s_cbranch_execz .LBB5_924
; %bb.921:                              ;   in Loop: Header=BB5_730 Depth=2
	v_add_u32_e32 v4, v0, v4
	v_and_b32_e32 v4, 0xffffffc0, v4
	v_sub_u32_e32 v0, v0, v4
	v_lshlrev_b32_e32 v1, 6, v1
	v_sub_u32_e32 v0, v0, v1
	v_ashrrev_i32_e32 v1, 31, v0
	v_lshrrev_b32_e32 v1, 26, v1
	v_add_u32_e32 v1, v0, v1
	v_and_b32_e32 v4, 0x7fffffc0, v1
	v_sub_u32_e32 v0, v0, v4
	v_lshlrev_b32_e32 v1, 1, v1
	v_and_b32_e32 v1, 0xffffff80, v1
	v_lshlrev_b32_e32 v0, 1, v0
	v_add3_u32 v1, v1, v0, v5
	v_sub_u32_e32 v0, v2, v1
	v_cmp_lt_i32_e32 vcc, 1, v0
	s_and_b64 exec, exec, vcc
	s_cbranch_execz .LBB5_924
; %bb.922:                              ;   in Loop: Header=BB5_730 Depth=2
	s_trap 2
	ds_read_b64 v[4:5], v0
	v_add_u32_e32 v8, v1, v17
	v_ashrrev_i32_e32 v9, 31, v8
	s_mov_b64 s[26:27], 0
.LBB5_923:                              ;   Parent Loop BB5_47 Depth=1
                                        ;     Parent Loop BB5_730 Depth=2
                                        ; =>    This Inner Loop Header: Depth=3
	s_waitcnt lgkmcnt(0)
	v_lshl_add_u64 v[6:7], v[4:5], 0, v[8:9]
	flat_load_ushort v1, v[8:9] nt
	flat_load_ushort v2, v[6:7] nt
	v_sub_u32_e32 v0, v0, v24
	v_cmp_gt_i32_e32 vcc, 2, v0
	v_lshl_add_u64 v[8:9], v[8:9], 0, v[44:45]
	s_or_b64 s[26:27], vcc, s[26:27]
	s_waitcnt vmcnt(0) lgkmcnt(0)
	v_mul_f16_e32 v1, v2, v1
	flat_store_short v[6:7], v1 nt
	s_andn2_b64 exec, exec, s[26:27]
	s_cbranch_execnz .LBB5_923
.LBB5_924:                              ;   in Loop: Header=BB5_730 Depth=2
	s_or_b64 exec, exec, s[24:25]
.LBB5_925:                              ;   in Loop: Header=BB5_730 Depth=2
	v_cmp_lt_i32_e64 s[24:25], 0, v37
	s_and_saveexec_b64 s[26:27], s[6:7]
	s_cbranch_execz .LBB5_864
.LBB5_926:                              ;   in Loop: Header=BB5_730 Depth=2
	s_and_saveexec_b64 s[28:29], s[40:41]
	s_xor_b64 s[28:29], exec, s[28:29]
	s_cbranch_execz .LBB5_953
; %bb.927:                              ;   in Loop: Header=BB5_730 Depth=2
	s_and_saveexec_b64 s[56:57], s[14:15]
	s_cbranch_execz .LBB5_952
; %bb.928:                              ;   in Loop: Header=BB5_730 Depth=2
	s_mov_b64 s[60:61], exec
	v_mbcnt_lo_u32_b32 v0, s60, 0
	v_mbcnt_hi_u32_b32 v0, s61, v0
	v_cmp_eq_u32_e32 vcc, 0, v0
	s_waitcnt lgkmcnt(0)
	s_and_saveexec_b64 s[58:59], vcc
	s_cbranch_execz .LBB5_930
; %bb.929:                              ;   in Loop: Header=BB5_730 Depth=2
	s_bcnt1_i32_b64 vcc_lo, s[60:61]
	v_mov_b32_e32 v2, vcc_lo
	ds_add_u64 v0, v[2:3]
	s_trap 2
.LBB5_930:                              ;   in Loop: Header=BB5_730 Depth=2
	s_or_b64 exec, exec, s[58:59]
	s_trap 2
	ds_read_b64 v[0:1], v0
	v_lshl_add_u64 v[12:13], v[12:13], 0, v[34:35]
	s_waitcnt lgkmcnt(0)
	v_cmp_lt_u64_e32 vcc, v[0:1], v[12:13]
	s_and_saveexec_b64 s[58:59], vcc
	s_cbranch_execz .LBB5_951
; %bb.931:                              ;   in Loop: Header=BB5_730 Depth=2
	s_mov_b32 s71, 0
	s_mov_b64 s[60:61], 0
                                        ; implicit-def: $sgpr62_sgpr63
                                        ; implicit-def: $sgpr64_sgpr65
	s_branch .LBB5_933
.LBB5_932:                              ;   in Loop: Header=BB5_933 Depth=3
	s_or_b64 exec, exec, s[68:69]
	s_and_b64 vcc, exec, vcc
	s_or_b64 s[60:61], vcc, s[60:61]
	s_andn2_b64 vcc, s[62:63], exec
	s_and_b64 s[62:63], s[64:65], exec
	s_or_b64 s[62:63], vcc, s[62:63]
	s_andn2_b64 exec, exec, s[60:61]
	s_cbranch_execz .LBB5_949
.LBB5_933:                              ;   Parent Loop BB5_47 Depth=1
                                        ;     Parent Loop BB5_730 Depth=2
                                        ; =>    This Inner Loop Header: Depth=3
	s_add_i32 s71, s71, 1
	s_cmpk_lg_i32 s71, 0x2710
	s_cselect_b64 s[66:67], -1, 0
	s_and_b64 vcc, exec, s[66:67]
                                        ; implicit-def: $sgpr68_sgpr69
	s_cbranch_vccnz .LBB5_935
; %bb.934:                              ;   in Loop: Header=BB5_933 Depth=3
	s_trap 2
	ds_read_b64 v[0:1], v0
	s_andn2_b64 s[66:67], s[66:67], exec
	s_mov_b32 s71, 0
	s_mov_b64 s[68:69], -1
	s_waitcnt vmcnt(0) lgkmcnt(0)
	flat_load_dword v0, v[0:1] sc0 sc1
	s_waitcnt vmcnt(0) lgkmcnt(0)
	buffer_inv sc0 sc1
	v_cmp_eq_u32_e32 vcc, 0, v0
	s_and_b64 vcc, vcc, exec
	s_or_b64 s[66:67], s[66:67], vcc
.LBB5_935:                              ;   in Loop: Header=BB5_933 Depth=3
	s_andn2_b64 s[64:65], s[64:65], exec
	s_and_b64 s[68:69], s[68:69], exec
	s_mov_b64 vcc, -1
	s_or_b64 s[64:65], s[64:65], s[68:69]
	s_and_saveexec_b64 s[68:69], s[66:67]
	s_cbranch_execz .LBB5_932
; %bb.936:                              ;   in Loop: Header=BB5_933 Depth=3
	s_sleep 1
	s_trap 2
	ds_read_b64 v[0:1], v0
	s_andn2_b64 s[64:65], s[64:65], exec
	s_waitcnt lgkmcnt(0)
	v_cmp_ge_u64_e32 vcc, v[0:1], v[12:13]
	s_orn2_b64 vcc, vcc, exec
	s_branch .LBB5_932
.LBB5_937:                              ;   in Loop: Header=BB5_730 Depth=2
	s_or_b64 exec, exec, s[56:57]
	s_and_saveexec_b64 vcc, s[58:59]
	s_xor_b64 vcc, exec, vcc
	s_cbranch_execz .LBB5_939
; %bb.938:                              ;   in Loop: Header=BB5_730 Depth=2
	ds_write_b32 v0, v25
	s_trap 2
.LBB5_939:                              ;   in Loop: Header=BB5_730 Depth=2
	s_or_b64 exec, exec, s[54:55]
	;;#ASMSTART
	s_wakeup
	;;#ASMEND
.LBB5_940:                              ;   in Loop: Header=BB5_730 Depth=2
	s_or_b64 exec, exec, s[30:31]
.LBB5_941:                              ;   in Loop: Header=BB5_730 Depth=2
	s_andn2_saveexec_b64 s[28:29], s[28:29]
	s_cbranch_execz .LBB5_943
; %bb.942:                              ;   in Loop: Header=BB5_730 Depth=2
	;;#ASMSTART
	s_waitcnt lgkmcnt(0) vmcnt(0)
	;;#ASMEND
	s_barrier
.LBB5_943:                              ;   in Loop: Header=BB5_730 Depth=2
	s_or_b64 exec, exec, s[28:29]
	v_and_b32_e32 v0, 16, v62
.LBB5_944:                              ;   in Loop: Header=BB5_730 Depth=2
	s_or_b64 exec, exec, s[24:25]
	v_cmp_ne_u32_e32 vcc, 0, v0
	s_xor_b64 s[24:25], s[10:11], -1
	s_and_b64 s[28:29], vcc, s[24:25]
	s_and_saveexec_b64 s[24:25], s[28:29]
	s_cbranch_execz .LBB5_946
; %bb.945:                              ;   in Loop: Header=BB5_730 Depth=2
	flat_store_dword v[48:49], v25 sc0 sc1
.LBB5_946:                              ;   in Loop: Header=BB5_730 Depth=2
	s_or_b64 exec, exec, s[24:25]
	v_and_b32_e32 v0, 48, v62
	v_cmp_ne_u32_e32 vcc, 0, v0
	s_and_saveexec_b64 s[24:25], vcc
	s_cbranch_execz .LBB5_948
; %bb.947:                              ;   in Loop: Header=BB5_730 Depth=2
	v_lshl_add_u64 v[20:21], v[20:21], 0, 4
	flat_store_dwordx2 v[22:23], v[20:21] sc0 sc1
.LBB5_948:                              ;   in Loop: Header=BB5_730 Depth=2
	s_or_b64 exec, exec, s[24:25]
	s_or_b64 exec, exec, s[26:27]
	s_add_i32 s24, s70, 1
	s_cmp_eq_u32 s70, s80
	s_cbranch_scc0 .LBB5_981
	s_branch .LBB5_982
.LBB5_949:                              ;   in Loop: Header=BB5_730 Depth=2
	s_or_b64 exec, exec, s[60:61]
	s_and_saveexec_b64 vcc, s[62:63]
	s_xor_b64 vcc, exec, vcc
	s_cbranch_execz .LBB5_951
; %bb.950:                              ;   in Loop: Header=BB5_730 Depth=2
	ds_write_b32 v0, v25
	s_trap 2
.LBB5_951:                              ;   in Loop: Header=BB5_730 Depth=2
	s_or_b64 exec, exec, s[58:59]
	;;#ASMSTART
	s_wakeup
	;;#ASMEND
.LBB5_952:                              ;   in Loop: Header=BB5_730 Depth=2
	s_or_b64 exec, exec, s[56:57]
.LBB5_953:                              ;   in Loop: Header=BB5_730 Depth=2
	s_andn2_saveexec_b64 s[28:29], s[28:29]
	s_cbranch_execz .LBB5_955
; %bb.954:                              ;   in Loop: Header=BB5_730 Depth=2
	s_waitcnt lgkmcnt(0)
	s_barrier
.LBB5_955:                              ;   in Loop: Header=BB5_730 Depth=2
	s_or_b64 exec, exec, s[28:29]
	s_or_b64 exec, exec, s[26:27]
                                        ; implicit-def: $vgpr0
	s_and_saveexec_b64 s[26:27], s[22:23]
	s_xor_b64 s[26:27], exec, s[26:27]
	s_cbranch_execnz .LBB5_865
.LBB5_956:                              ;   in Loop: Header=BB5_730 Depth=2
	s_andn2_saveexec_b64 s[24:25], s[26:27]
	s_cbranch_execz .LBB5_975
.LBB5_957:                              ;   in Loop: Header=BB5_730 Depth=2
	s_and_saveexec_b64 s[26:27], s[40:41]
	s_xor_b64 s[26:27], exec, s[26:27]
	s_cbranch_execz .LBB5_972
; %bb.958:                              ;   in Loop: Header=BB5_730 Depth=2
	s_and_saveexec_b64 s[28:29], s[14:15]
	s_cbranch_execz .LBB5_971
; %bb.959:                              ;   in Loop: Header=BB5_730 Depth=2
	s_mov_b64 s[58:59], exec
	v_mbcnt_lo_u32_b32 v0, s58, 0
	v_mbcnt_hi_u32_b32 v0, s59, v0
	v_cmp_eq_u32_e32 vcc, 0, v0
	;;#ASMSTART
	s_waitcnt lgkmcnt(0) vmcnt(0)
	;;#ASMEND
	s_and_saveexec_b64 s[56:57], vcc
	s_cbranch_execz .LBB5_961
; %bb.960:                              ;   in Loop: Header=BB5_730 Depth=2
	s_bcnt1_i32_b64 vcc_lo, s[58:59]
	v_mov_b32_e32 v2, vcc_lo
	ds_add_u64 v0, v[2:3]
	s_trap 2
.LBB5_961:                              ;   in Loop: Header=BB5_730 Depth=2
	s_or_b64 exec, exec, s[56:57]
	s_trap 2
	ds_read_b64 v[0:1], v0
	v_lshl_add_u64 v[12:13], v[12:13], 0, v[34:35]
	s_waitcnt lgkmcnt(0)
	v_cmp_lt_u64_e32 vcc, v[0:1], v[12:13]
	s_and_saveexec_b64 s[56:57], vcc
	s_cbranch_execz .LBB5_970
; %bb.962:                              ;   in Loop: Header=BB5_730 Depth=2
	s_mov_b32 s68, 0
	s_mov_b64 s[58:59], 0
                                        ; implicit-def: $sgpr60_sgpr61
                                        ; implicit-def: $sgpr62_sgpr63
	s_branch .LBB5_964
.LBB5_963:                              ;   in Loop: Header=BB5_964 Depth=3
	s_or_b64 exec, exec, s[66:67]
	s_and_b64 vcc, exec, vcc
	s_or_b64 s[58:59], vcc, s[58:59]
	s_andn2_b64 vcc, s[60:61], exec
	s_and_b64 s[60:61], s[62:63], exec
	s_or_b64 s[60:61], vcc, s[60:61]
	s_andn2_b64 exec, exec, s[58:59]
	s_cbranch_execz .LBB5_968
.LBB5_964:                              ;   Parent Loop BB5_47 Depth=1
                                        ;     Parent Loop BB5_730 Depth=2
                                        ; =>    This Inner Loop Header: Depth=3
	s_add_i32 s68, s68, 1
	s_cmpk_lg_i32 s68, 0x2710
	s_cselect_b64 s[64:65], -1, 0
	s_and_b64 vcc, exec, s[64:65]
                                        ; implicit-def: $sgpr66_sgpr67
	s_cbranch_vccnz .LBB5_966
; %bb.965:                              ;   in Loop: Header=BB5_964 Depth=3
	s_trap 2
	ds_read_b64 v[0:1], v0
	s_andn2_b64 s[64:65], s[64:65], exec
	s_mov_b32 s68, 0
	s_mov_b64 s[66:67], -1
	s_waitcnt vmcnt(0) lgkmcnt(0)
	flat_load_dword v0, v[0:1] sc0 sc1
	s_waitcnt vmcnt(0) lgkmcnt(0)
	buffer_inv sc0 sc1
	v_cmp_eq_u32_e32 vcc, 0, v0
	s_and_b64 vcc, vcc, exec
	s_or_b64 s[64:65], s[64:65], vcc
.LBB5_966:                              ;   in Loop: Header=BB5_964 Depth=3
	s_andn2_b64 s[62:63], s[62:63], exec
	s_and_b64 s[66:67], s[66:67], exec
	s_mov_b64 vcc, -1
	s_or_b64 s[62:63], s[62:63], s[66:67]
	s_and_saveexec_b64 s[66:67], s[64:65]
	s_cbranch_execz .LBB5_963
; %bb.967:                              ;   in Loop: Header=BB5_964 Depth=3
	s_sleep 1
	s_trap 2
	ds_read_b64 v[0:1], v0
	s_andn2_b64 s[62:63], s[62:63], exec
	s_waitcnt lgkmcnt(0)
	v_cmp_ge_u64_e32 vcc, v[0:1], v[12:13]
	s_orn2_b64 vcc, vcc, exec
	s_branch .LBB5_963
.LBB5_968:                              ;   in Loop: Header=BB5_730 Depth=2
	s_or_b64 exec, exec, s[58:59]
	s_and_saveexec_b64 vcc, s[60:61]
	s_xor_b64 vcc, exec, vcc
	s_cbranch_execz .LBB5_970
; %bb.969:                              ;   in Loop: Header=BB5_730 Depth=2
	ds_write_b32 v0, v25
	s_trap 2
.LBB5_970:                              ;   in Loop: Header=BB5_730 Depth=2
	s_or_b64 exec, exec, s[56:57]
	;;#ASMSTART
	s_wakeup
	;;#ASMEND
.LBB5_971:                              ;   in Loop: Header=BB5_730 Depth=2
	s_or_b64 exec, exec, s[28:29]
.LBB5_972:                              ;   in Loop: Header=BB5_730 Depth=2
	s_andn2_saveexec_b64 s[26:27], s[26:27]
	s_cbranch_execz .LBB5_974
; %bb.973:                              ;   in Loop: Header=BB5_730 Depth=2
	;;#ASMSTART
	s_waitcnt lgkmcnt(0) vmcnt(0)
	;;#ASMEND
	s_barrier
.LBB5_974:                              ;   in Loop: Header=BB5_730 Depth=2
	s_or_b64 exec, exec, s[26:27]
	v_and_b32_e32 v0, 16, v62
.LBB5_975:                              ;   in Loop: Header=BB5_730 Depth=2
	s_or_b64 exec, exec, s[24:25]
	v_cmp_ne_u32_e32 vcc, 0, v0
	s_xor_b64 s[24:25], s[10:11], -1
	s_and_b64 s[26:27], vcc, s[24:25]
	s_and_saveexec_b64 s[24:25], s[26:27]
	s_cbranch_execz .LBB5_977
; %bb.976:                              ;   in Loop: Header=BB5_730 Depth=2
	flat_store_dword v[48:49], v25 sc0 sc1
.LBB5_977:                              ;   in Loop: Header=BB5_730 Depth=2
	s_or_b64 exec, exec, s[24:25]
	v_and_b32_e32 v0, 48, v62
	v_cmp_ne_u32_e32 vcc, 0, v0
	s_and_saveexec_b64 s[24:25], vcc
	s_cbranch_execz .LBB5_979
; %bb.978:                              ;   in Loop: Header=BB5_730 Depth=2
	v_lshl_add_u64 v[20:21], v[20:21], 0, 4
	flat_store_dwordx2 v[22:23], v[20:21] sc0 sc1
.LBB5_979:                              ;   in Loop: Header=BB5_730 Depth=2
	s_or_b64 exec, exec, s[24:25]
	v_mov_b32_e32 v0, v16
	s_or_b64 exec, exec, s[54:55]
	s_and_saveexec_b64 s[26:27], s[30:31]
	s_cbranch_execnz .LBB5_737
.LBB5_980:                              ;   in Loop: Header=BB5_730 Depth=2
	s_or_b64 exec, exec, s[26:27]
	s_add_i32 s24, s70, 1
	s_cmp_eq_u32 s70, s80
	s_cbranch_scc1 .LBB5_982
.LBB5_981:                              ;   in Loop: Header=BB5_730 Depth=2
	s_mov_b32 s70, s24
	s_branch .LBB5_730
.LBB5_982:                              ;   in Loop: Header=BB5_47 Depth=1
	v_mul_lo_u32 v0, v57, s81
	v_mul_lo_u32 v1, v56, s82
	v_mad_u64_u32 v[4:5], s[24:25], v56, s81, 0
	v_add3_u32 v5, v5, v1, v0
	v_sub_co_u32_e32 v0, vcc, v50, v4
	v_mov_b32_e32 v10, 0
	s_nop 0
	v_subb_co_u32_e32 v1, vcc, v51, v5, vcc
	v_cmp_lt_i64_e32 vcc, v[56:57], v[0:1]
	s_nop 1
	v_cndmask_b32_e32 v0, v0, v56, vcc
	v_max_i32_e32 v18, 0, v0
	v_add_u32_e32 v1, 15, v18
	v_ashrrev_i32_e32 v2, 31, v1
	v_lshrrev_b32_e32 v2, 28, v2
	v_add_u32_e32 v1, v1, v2
	v_and_b32_e32 v1, -16, v1
	v_cmp_gt_i32_e32 vcc, 1, v0
	v_max_i32_e32 v19, s79, v1
	s_or_b64 s[26:27], s[2:3], vcc
	s_xor_b64 s[24:25], s[26:27], -1
	s_mov_b64 s[28:29], exec
	v_accvgpr_read_b32 v27, a7
	v_accvgpr_read_b32 v51, a23
	s_and_b64 s[24:25], s[28:29], s[24:25]
	v_accvgpr_read_b32 v26, a6
	v_accvgpr_read_b32 v50, a22
	s_mov_b64 exec, s[24:25]
	s_cbranch_execz .LBB5_1119
; %bb.983:                              ;   in Loop: Header=BB5_47 Depth=1
	s_and_saveexec_b64 s[24:25], s[0:1]
	s_cbranch_execz .LBB5_985
; %bb.984:                              ;   in Loop: Header=BB5_47 Depth=1
	s_trap 2
	ds_read_b128 v[6:9], v0
	v_accvgpr_read_b32 v0, a38
	v_accvgpr_read_b32 v1, a39
	v_lshl_add_u64 v[0:1], v[4:5], 0, v[0:1]
	v_lshlrev_b64 v[0:1], 1, v[0:1]
	s_waitcnt lgkmcnt(0)
	v_lshl_add_u64 v[4:5], v[6:7], 0, v[0:1]
	v_lshl_add_u64 v[0:1], v[8:9], 0, v[0:1]
	v_cmp_ne_u64_e32 vcc, 0, v[8:9]
	ds_write_b64 v0, v[4:5]
	s_nop 0
	v_cndmask_b32_e32 v1, 0, v1, vcc
	v_cndmask_b32_e32 v0, 0, v0, vcc
	ds_write_b64 v0, v[0:1]
.LBB5_985:                              ;   in Loop: Header=BB5_47 Depth=1
	s_or_b64 exec, exec, s[24:25]
	v_and_b32_e32 v0, 4, v62
	v_cmp_ne_u32_e32 vcc, 0, v0
	s_mov_b64 s[30:31], -1
	s_and_saveexec_b64 s[24:25], vcc
	s_cbranch_execz .LBB5_995
; %bb.986:                              ;   in Loop: Header=BB5_47 Depth=1
	v_lshl_add_u64 v[8:9], v[20:21], 0, 4
	v_cmp_lt_u64_e32 vcc, v[32:33], v[8:9]
	v_mov_b32_e32 v0, 1
	s_and_saveexec_b64 s[30:31], vcc
	s_cbranch_execz .LBB5_1006
; %bb.987:                              ;   in Loop: Header=BB5_47 Depth=1
	s_mov_b64 s[54:55], 0
	v_mov_b32_e32 v0, 0
                                        ; implicit-def: $sgpr56_sgpr57
	s_branch .LBB5_991
.LBB5_988:                              ;   in Loop: Header=BB5_991 Depth=2
	s_or_b64 exec, exec, s[64:65]
	v_mov_b32_e32 v1, 0
	s_orn2_b64 s[62:63], s[62:63], exec
.LBB5_989:                              ;   in Loop: Header=BB5_991 Depth=2
	s_or_b64 exec, exec, s[60:61]
	s_andn2_b64 vcc, s[56:57], exec
	s_and_b64 s[56:57], s[62:63], exec
	s_or_b64 s[56:57], vcc, s[56:57]
	v_mov_b32_e32 v0, v1
.LBB5_990:                              ;   in Loop: Header=BB5_991 Depth=2
	s_or_b64 exec, exec, s[58:59]
	s_waitcnt vmcnt(0) lgkmcnt(0)
	v_cmp_ge_u64_e32 vcc, v[32:33], v[8:9]
	s_xor_b64 s[58:59], s[56:57], -1
	s_or_b64 vcc, s[58:59], vcc
	s_and_b64 vcc, exec, vcc
	s_or_b64 s[54:55], vcc, s[54:55]
	s_andn2_b64 exec, exec, s[54:55]
	s_cbranch_execz .LBB5_1005
.LBB5_991:                              ;   Parent Loop BB5_47 Depth=1
                                        ; =>  This Inner Loop Header: Depth=2
	s_sleep 1
	flat_load_dwordx2 v[32:33], v[22:23] sc0 sc1
	v_and_b32_e32 v1, 64, v62
	v_cmp_eq_u32_e32 vcc, 0, v1
	s_andn2_b64 s[56:57], s[56:57], exec
	s_and_saveexec_b64 s[58:59], vcc
	s_cbranch_execz .LBB5_990
; %bb.992:                              ;   in Loop: Header=BB5_991 Depth=2
	v_add_u32_e32 v1, 1, v0
	v_cmp_lt_i32_e32 vcc, s75, v0
	s_mov_b64 s[62:63], -1
	s_and_saveexec_b64 s[60:61], vcc
	s_cbranch_execz .LBB5_989
; %bb.993:                              ;   in Loop: Header=BB5_991 Depth=2
	s_trap 2
	ds_read_b64 v[0:1], v0
	s_waitcnt vmcnt(0) lgkmcnt(0)
	flat_load_dword v0, v[0:1] sc0 sc1
	s_waitcnt vmcnt(0) lgkmcnt(0)
	buffer_inv sc0 sc1
	v_cmp_ne_u32_e32 vcc, 0, v0
	s_and_saveexec_b64 s[64:65], vcc
	s_cbranch_execz .LBB5_988
; %bb.994:                              ;   in Loop: Header=BB5_991 Depth=2
	v_or_b32_e32 v62, 64, v62
	s_xor_b64 s[62:63], exec, -1
	ds_write_b32 v0, v0
	s_trap 2
	s_branch .LBB5_988
.LBB5_995:                              ;   in Loop: Header=BB5_47 Depth=1
	s_or_b64 exec, exec, s[24:25]
	s_xor_b64 s[24:25], s[30:31], -1
	s_and_saveexec_b64 s[30:31], s[24:25]
	s_cbranch_execz .LBB5_1007
.LBB5_996:                              ;   in Loop: Header=BB5_47 Depth=1
	v_and_b32_e32 v0, 0x100, v62
	v_cmp_ne_u32_e32 vcc, 0, v0
	v_and_b32_e32 v0, 7, v20
	s_mov_b64 s[24:25], -1
                                        ; implicit-def: $vgpr4_vgpr5
	s_and_saveexec_b64 s[54:55], vcc
	s_cbranch_execz .LBB5_1000
; %bb.997:                              ;   in Loop: Header=BB5_47 Depth=1
	v_mad_u64_u32 v[8:9], s[24:25], v0, 24, v[52:53]
	flat_load_dword v1, v[8:9]
                                        ; implicit-def: $vgpr4_vgpr5
	s_waitcnt vmcnt(0) lgkmcnt(0)
	v_cmp_ne_u32_e32 vcc, 1, v1
	v_cmp_eq_u32_e64 s[24:25], 1, v1
	s_and_saveexec_b64 s[56:57], s[24:25]
	s_cbranch_execz .LBB5_999
; %bb.998:                              ;   in Loop: Header=BB5_47 Depth=1
	flat_load_dword v4, v[8:9] offset:4 sc0 sc1
	s_waitcnt vmcnt(0) lgkmcnt(0)
	v_ashrrev_i32_e32 v5, 31, v4
	v_lshrrev_b64 v[4:5], 1, v[4:5]
.LBB5_999:                              ;   in Loop: Header=BB5_47 Depth=1
	s_or_b64 exec, exec, s[56:57]
	s_orn2_b64 s[24:25], vcc, exec
.LBB5_1000:                             ;   in Loop: Header=BB5_47 Depth=1
	s_or_b64 exec, exec, s[54:55]
	s_and_saveexec_b64 vcc, s[24:25]
; %bb.1001:                             ;   in Loop: Header=BB5_47 Depth=1
	v_accvgpr_read_b32 v2, a32
	v_mad_i64_i32 v[4:5], s[24:25], v0, v2, 0
; %bb.1002:                             ;   in Loop: Header=BB5_47 Depth=1
	s_or_b64 exec, exec, vcc
	v_lshl_add_u64 v[0:1], v[4:5], 1, v[60:61]
	ds_write_b64 v0, v[0:1] offset:720
	v_and_b32_e32 v0, 0x2000, v62
	v_cmp_ne_u32_e32 vcc, 0, v0
	s_and_saveexec_b64 s[24:25], vcc
	s_cbranch_execz .LBB5_1004
; %bb.1003:                             ;   in Loop: Header=BB5_47 Depth=1
	ds_read_b64 v[0:1], v0 offset:584
	s_waitcnt lgkmcnt(0)
	v_lshl_add_u64 v[0:1], v[0:1], 0, 1
	ds_write_b64 v0, v[0:1] offset:584
.LBB5_1004:                             ;   in Loop: Header=BB5_47 Depth=1
	s_or_b64 exec, exec, s[24:25]
	v_lshl_add_u64 v[20:21], v[20:21], 0, 4
	s_or_b64 exec, exec, s[30:31]
	s_and_saveexec_b64 s[24:25], s[6:7]
	s_cbranch_execz .LBB5_1026
	s_branch .LBB5_1008
.LBB5_1005:                             ;   in Loop: Header=BB5_47 Depth=1
	s_or_b64 exec, exec, s[54:55]
	v_and_b32_e32 v0, 4, v62
.LBB5_1006:                             ;   in Loop: Header=BB5_47 Depth=1
	s_or_b64 exec, exec, s[30:31]
	v_cmp_eq_u32_e32 vcc, 0, v0
	s_orn2_b64 s[30:31], vcc, exec
	;;#ASMSTART
	s_wakeup
	;;#ASMEND
	s_or_b64 exec, exec, s[24:25]
	s_xor_b64 s[24:25], s[30:31], -1
	s_and_saveexec_b64 s[30:31], s[24:25]
	s_cbranch_execnz .LBB5_996
.LBB5_1007:                             ;   in Loop: Header=BB5_47 Depth=1
	s_or_b64 exec, exec, s[30:31]
	s_and_saveexec_b64 s[24:25], s[6:7]
	s_cbranch_execz .LBB5_1026
.LBB5_1008:                             ;   in Loop: Header=BB5_47 Depth=1
	s_and_saveexec_b64 vcc, s[40:41]
	s_xor_b64 s[30:31], exec, vcc
	s_cbranch_execz .LBB5_1023
; %bb.1009:                             ;   in Loop: Header=BB5_47 Depth=1
	s_and_saveexec_b64 s[54:55], s[14:15]
	s_cbranch_execz .LBB5_1022
; %bb.1010:                             ;   in Loop: Header=BB5_47 Depth=1
	s_mov_b64 s[58:59], exec
	v_mbcnt_lo_u32_b32 v0, s58, 0
	v_mbcnt_hi_u32_b32 v0, s59, v0
	v_cmp_eq_u32_e32 vcc, 0, v0
	s_waitcnt lgkmcnt(0)
	s_and_saveexec_b64 s[56:57], vcc
	s_cbranch_execz .LBB5_1012
; %bb.1011:                             ;   in Loop: Header=BB5_47 Depth=1
	s_bcnt1_i32_b64 vcc_lo, s[58:59]
	v_mov_b32_e32 v2, vcc_lo
	ds_add_u64 v0, v[2:3]
	s_trap 2
.LBB5_1012:                             ;   in Loop: Header=BB5_47 Depth=1
	s_or_b64 exec, exec, s[56:57]
	s_trap 2
	ds_read_b64 v[0:1], v0
	v_lshl_add_u64 v[12:13], v[12:13], 0, v[34:35]
	s_waitcnt lgkmcnt(0)
	v_cmp_lt_u64_e32 vcc, v[0:1], v[12:13]
	s_and_saveexec_b64 s[56:57], vcc
	s_cbranch_execz .LBB5_1021
; %bb.1013:                             ;   in Loop: Header=BB5_47 Depth=1
	s_mov_b32 s68, 0
	s_mov_b64 s[58:59], 0
                                        ; implicit-def: $sgpr60_sgpr61
                                        ; implicit-def: $sgpr62_sgpr63
	s_branch .LBB5_1015
.LBB5_1014:                             ;   in Loop: Header=BB5_1015 Depth=2
	s_or_b64 exec, exec, s[66:67]
	s_and_b64 vcc, exec, vcc
	s_or_b64 s[58:59], vcc, s[58:59]
	s_andn2_b64 vcc, s[60:61], exec
	s_and_b64 s[60:61], s[62:63], exec
	s_or_b64 s[60:61], vcc, s[60:61]
	s_andn2_b64 exec, exec, s[58:59]
	s_cbranch_execz .LBB5_1019
.LBB5_1015:                             ;   Parent Loop BB5_47 Depth=1
                                        ; =>  This Inner Loop Header: Depth=2
	s_add_i32 s68, s68, 1
	s_cmpk_lg_i32 s68, 0x2710
	s_cselect_b64 s[64:65], -1, 0
	s_and_b64 vcc, exec, s[64:65]
                                        ; implicit-def: $sgpr66_sgpr67
	s_cbranch_vccnz .LBB5_1017
; %bb.1016:                             ;   in Loop: Header=BB5_1015 Depth=2
	s_trap 2
	ds_read_b64 v[0:1], v0
	s_andn2_b64 s[64:65], s[64:65], exec
	s_mov_b32 s68, 0
	s_mov_b64 s[66:67], -1
	s_waitcnt vmcnt(0) lgkmcnt(0)
	flat_load_dword v0, v[0:1] sc0 sc1
	s_waitcnt vmcnt(0) lgkmcnt(0)
	buffer_inv sc0 sc1
	v_cmp_eq_u32_e32 vcc, 0, v0
	s_and_b64 vcc, vcc, exec
	s_or_b64 s[64:65], s[64:65], vcc
.LBB5_1017:                             ;   in Loop: Header=BB5_1015 Depth=2
	s_andn2_b64 s[62:63], s[62:63], exec
	s_and_b64 s[66:67], s[66:67], exec
	s_mov_b64 vcc, -1
	s_or_b64 s[62:63], s[62:63], s[66:67]
	s_and_saveexec_b64 s[66:67], s[64:65]
	s_cbranch_execz .LBB5_1014
; %bb.1018:                             ;   in Loop: Header=BB5_1015 Depth=2
	s_sleep 1
	s_trap 2
	ds_read_b64 v[0:1], v0
	s_andn2_b64 s[62:63], s[62:63], exec
	s_waitcnt lgkmcnt(0)
	v_cmp_ge_u64_e32 vcc, v[0:1], v[12:13]
	s_orn2_b64 vcc, vcc, exec
	s_branch .LBB5_1014
.LBB5_1019:                             ;   in Loop: Header=BB5_47 Depth=1
	s_or_b64 exec, exec, s[58:59]
	s_and_saveexec_b64 vcc, s[60:61]
	s_xor_b64 vcc, exec, vcc
	s_cbranch_execz .LBB5_1021
; %bb.1020:                             ;   in Loop: Header=BB5_47 Depth=1
	ds_write_b32 v0, v25
	s_trap 2
.LBB5_1021:                             ;   in Loop: Header=BB5_47 Depth=1
	s_or_b64 exec, exec, s[56:57]
	;;#ASMSTART
	s_wakeup
	;;#ASMEND
.LBB5_1022:                             ;   in Loop: Header=BB5_47 Depth=1
	s_or_b64 exec, exec, s[54:55]
.LBB5_1023:                             ;   in Loop: Header=BB5_47 Depth=1
	s_andn2_saveexec_b64 vcc, s[30:31]
	s_cbranch_execz .LBB5_1025
; %bb.1024:                             ;   in Loop: Header=BB5_47 Depth=1
	s_waitcnt lgkmcnt(0)
	s_barrier
.LBB5_1025:                             ;   in Loop: Header=BB5_47 Depth=1
	s_or_b64 exec, exec, vcc
.LBB5_1026:                             ;   in Loop: Header=BB5_47 Depth=1
	s_or_b64 exec, exec, s[24:25]
	s_trap 2
	ds_read_b32 v0, v0
	v_and_b32_e32 v1, 0x4000, v62
	v_cmp_ne_u32_e32 vcc, 0, v1
	s_xor_b64 s[24:25], s[4:5], -1
	s_and_b64 vcc, s[24:25], vcc
	s_and_saveexec_b64 s[24:25], vcc
	s_cbranch_execz .LBB5_1045
; %bb.1027:                             ;   in Loop: Header=BB5_47 Depth=1
	s_and_saveexec_b64 vcc, s[40:41]
	s_xor_b64 s[30:31], exec, vcc
	s_cbranch_execz .LBB5_1042
; %bb.1028:                             ;   in Loop: Header=BB5_47 Depth=1
	s_and_saveexec_b64 s[54:55], s[14:15]
	s_cbranch_execz .LBB5_1041
; %bb.1029:                             ;   in Loop: Header=BB5_47 Depth=1
	s_mov_b64 s[58:59], exec
	v_mbcnt_lo_u32_b32 v1, s58, 0
	v_mbcnt_hi_u32_b32 v1, s59, v1
	v_cmp_eq_u32_e32 vcc, 0, v1
	s_waitcnt lgkmcnt(0)
	s_and_saveexec_b64 s[56:57], vcc
	s_cbranch_execz .LBB5_1031
; %bb.1030:                             ;   in Loop: Header=BB5_47 Depth=1
	s_bcnt1_i32_b64 vcc_lo, s[58:59]
	v_mov_b32_e32 v2, vcc_lo
	ds_add_u64 v0, v[2:3]
	s_trap 2
.LBB5_1031:                             ;   in Loop: Header=BB5_47 Depth=1
	s_or_b64 exec, exec, s[56:57]
	s_trap 2
	ds_read_b64 v[4:5], v0
	v_lshl_add_u64 v[12:13], v[12:13], 0, v[34:35]
	s_waitcnt lgkmcnt(0)
	v_cmp_lt_u64_e32 vcc, v[4:5], v[12:13]
	s_and_saveexec_b64 s[56:57], vcc
	s_cbranch_execz .LBB5_1040
; %bb.1032:                             ;   in Loop: Header=BB5_47 Depth=1
	s_mov_b32 s68, 0
	s_mov_b64 s[58:59], 0
                                        ; implicit-def: $sgpr60_sgpr61
                                        ; implicit-def: $sgpr62_sgpr63
	s_branch .LBB5_1034
.LBB5_1033:                             ;   in Loop: Header=BB5_1034 Depth=2
	s_or_b64 exec, exec, s[66:67]
	s_and_b64 vcc, exec, vcc
	s_or_b64 s[58:59], vcc, s[58:59]
	s_andn2_b64 vcc, s[60:61], exec
	s_and_b64 s[60:61], s[62:63], exec
	s_or_b64 s[60:61], vcc, s[60:61]
	s_andn2_b64 exec, exec, s[58:59]
	s_cbranch_execz .LBB5_1038
.LBB5_1034:                             ;   Parent Loop BB5_47 Depth=1
                                        ; =>  This Inner Loop Header: Depth=2
	s_add_i32 s68, s68, 1
	s_cmpk_lg_i32 s68, 0x2710
	s_cselect_b64 s[64:65], -1, 0
	s_and_b64 vcc, exec, s[64:65]
                                        ; implicit-def: $sgpr66_sgpr67
	s_cbranch_vccnz .LBB5_1036
; %bb.1035:                             ;   in Loop: Header=BB5_1034 Depth=2
	s_trap 2
	ds_read_b64 v[4:5], v0
	s_andn2_b64 s[64:65], s[64:65], exec
	s_mov_b32 s68, 0
	s_mov_b64 s[66:67], -1
	s_waitcnt vmcnt(0) lgkmcnt(0)
	flat_load_dword v1, v[4:5] sc0 sc1
	s_waitcnt vmcnt(0) lgkmcnt(0)
	buffer_inv sc0 sc1
	v_cmp_eq_u32_e32 vcc, 0, v1
	s_and_b64 vcc, vcc, exec
	s_or_b64 s[64:65], s[64:65], vcc
.LBB5_1036:                             ;   in Loop: Header=BB5_1034 Depth=2
	s_andn2_b64 s[62:63], s[62:63], exec
	s_and_b64 s[66:67], s[66:67], exec
	s_mov_b64 vcc, -1
	s_or_b64 s[62:63], s[62:63], s[66:67]
	s_and_saveexec_b64 s[66:67], s[64:65]
	s_cbranch_execz .LBB5_1033
; %bb.1037:                             ;   in Loop: Header=BB5_1034 Depth=2
	s_sleep 1
	s_trap 2
	ds_read_b64 v[4:5], v0
	s_andn2_b64 s[62:63], s[62:63], exec
	s_waitcnt lgkmcnt(0)
	v_cmp_ge_u64_e32 vcc, v[4:5], v[12:13]
	s_orn2_b64 vcc, vcc, exec
	s_branch .LBB5_1033
.LBB5_1038:                             ;   in Loop: Header=BB5_47 Depth=1
	s_or_b64 exec, exec, s[58:59]
	s_and_saveexec_b64 vcc, s[60:61]
	s_xor_b64 vcc, exec, vcc
	s_cbranch_execz .LBB5_1040
; %bb.1039:                             ;   in Loop: Header=BB5_47 Depth=1
	ds_write_b32 v0, v25
	s_trap 2
.LBB5_1040:                             ;   in Loop: Header=BB5_47 Depth=1
	s_or_b64 exec, exec, s[56:57]
	;;#ASMSTART
	s_wakeup
	;;#ASMEND
.LBB5_1041:                             ;   in Loop: Header=BB5_47 Depth=1
	s_or_b64 exec, exec, s[54:55]
.LBB5_1042:                             ;   in Loop: Header=BB5_47 Depth=1
	s_andn2_saveexec_b64 vcc, s[30:31]
	s_cbranch_execz .LBB5_1044
; %bb.1043:                             ;   in Loop: Header=BB5_47 Depth=1
	s_waitcnt lgkmcnt(0)
	s_barrier
.LBB5_1044:                             ;   in Loop: Header=BB5_47 Depth=1
	s_or_b64 exec, exec, vcc
.LBB5_1045:                             ;   in Loop: Header=BB5_47 Depth=1
	s_or_b64 exec, exec, s[24:25]
	s_trap 2
	s_waitcnt lgkmcnt(0)
	ds_read_b64 v[4:5], v0
	v_min_i32_e32 v19, v19, v18
	s_waitcnt lgkmcnt(0)
	v_readfirstlane_b32 s24, v4
	v_readfirstlane_b32 s25, v5
	s_cmp_eq_u64 s[24:25], 0
	s_cselect_b64 s[24:25], -1, 0
	s_or_b64 vcc, s[24:25], s[24:25]
	s_mov_b64 s[24:25], 0
	s_and_b64 vcc, exec, vcc
	s_cbranch_vccnz .LBB5_1052
; %bb.1046:                             ;   in Loop: Header=BB5_47 Depth=1
	s_trap 2
	ds_read_b64 v[8:9], v0
	s_mov_b64 s[24:25], -1
	s_and_saveexec_b64 s[30:31], s[18:19]
	s_cbranch_execz .LBB5_1048
; %bb.1047:                             ;   in Loop: Header=BB5_47 Depth=1
	ds_read_b32 v1, v0 offset:720
	s_waitcnt lgkmcnt(0)
	v_and_b32_e32 v1, 15, v1
	v_cmp_eq_u32_e32 vcc, 0, v1
	s_orn2_b64 s[24:25], vcc, exec
.LBB5_1048:                             ;   in Loop: Header=BB5_47 Depth=1
	s_or_b64 exec, exec, s[30:31]
	s_and_saveexec_b64 s[30:31], s[16:17]
	s_cbranch_execz .LBB5_1050
; %bb.1049:                             ;   in Loop: Header=BB5_47 Depth=1
	ds_read_b32 v1, v0 offset:784
	s_waitcnt lgkmcnt(0)
	v_and_b32_e32 v1, 15, v1
	v_cmp_eq_u32_e32 vcc, 0, v1
	s_and_b64 vcc, s[24:25], vcc
	s_andn2_b64 s[24:25], s[24:25], exec
	s_and_b64 vcc, vcc, exec
	s_or_b64 s[24:25], s[24:25], vcc
.LBB5_1050:                             ;   in Loop: Header=BB5_47 Depth=1
	s_or_b64 exec, exec, s[30:31]
	v_cmp_eq_u32_e32 vcc, 0, v0
	s_xor_b64 s[24:25], s[24:25], -1
	v_cndmask_b32_e64 v0, 0, 1, s[24:25]
	v_cndmask_b32_e32 v2, 0, v19, vcc
	v_mov_b32_e32 v1, 0
	v_lshlrev_b32_e32 v30, 1, v2
	s_mov_b64 s[54:55], -1
	;;#ASMSTART
	;;#ASMEND
	s_nop 0
	v_cmp_ne_u32_e32 vcc, 0, v0
	s_cbranch_vccz .LBB5_1064
; %bb.1051:                             ;   in Loop: Header=BB5_47 Depth=1
	v_mov_b32_e32 v0, v59
	v_mov_b32_e32 v10, v58
	s_and_saveexec_b64 s[24:25], s[54:55]
	s_cbranch_execnz .LBB5_1077
	s_branch .LBB5_1085
.LBB5_1052:                             ;   in Loop: Header=BB5_47 Depth=1
	s_and_saveexec_b64 s[30:31], s[6:7]
	s_cbranch_execz .LBB5_1086
.LBB5_1053:                             ;   in Loop: Header=BB5_47 Depth=1
	s_and_saveexec_b64 vcc, s[40:41]
	s_xor_b64 s[54:55], exec, vcc
	s_cbranch_execz .LBB5_1094
; %bb.1054:                             ;   in Loop: Header=BB5_47 Depth=1
	s_and_saveexec_b64 s[56:57], s[14:15]
	s_cbranch_execz .LBB5_1093
; %bb.1055:                             ;   in Loop: Header=BB5_47 Depth=1
	s_mov_b64 s[60:61], exec
	v_mbcnt_lo_u32_b32 v0, s60, 0
	v_mbcnt_hi_u32_b32 v0, s61, v0
	v_cmp_eq_u32_e32 vcc, 0, v0
	s_waitcnt lgkmcnt(0)
	s_and_saveexec_b64 s[58:59], vcc
	s_cbranch_execz .LBB5_1057
; %bb.1056:                             ;   in Loop: Header=BB5_47 Depth=1
	s_bcnt1_i32_b64 vcc_lo, s[60:61]
	v_mov_b32_e32 v2, vcc_lo
	ds_add_u64 v0, v[2:3]
	s_trap 2
.LBB5_1057:                             ;   in Loop: Header=BB5_47 Depth=1
	s_or_b64 exec, exec, s[58:59]
	s_trap 2
	ds_read_b64 v[0:1], v0
	v_lshl_add_u64 v[12:13], v[12:13], 0, v[34:35]
	s_waitcnt lgkmcnt(0)
	v_cmp_lt_u64_e32 vcc, v[0:1], v[12:13]
	s_and_saveexec_b64 s[58:59], vcc
	s_cbranch_execz .LBB5_1092
; %bb.1058:                             ;   in Loop: Header=BB5_47 Depth=1
	s_mov_b32 s70, 0
	s_mov_b64 s[60:61], 0
                                        ; implicit-def: $sgpr62_sgpr63
                                        ; implicit-def: $sgpr64_sgpr65
	s_branch .LBB5_1060
.LBB5_1059:                             ;   in Loop: Header=BB5_1060 Depth=2
	s_or_b64 exec, exec, s[68:69]
	s_and_b64 vcc, exec, vcc
	s_or_b64 s[60:61], vcc, s[60:61]
	s_andn2_b64 vcc, s[62:63], exec
	s_and_b64 s[62:63], s[64:65], exec
	s_or_b64 s[62:63], vcc, s[62:63]
	s_andn2_b64 exec, exec, s[60:61]
	s_cbranch_execz .LBB5_1090
.LBB5_1060:                             ;   Parent Loop BB5_47 Depth=1
                                        ; =>  This Inner Loop Header: Depth=2
	s_add_i32 s70, s70, 1
	s_cmpk_lg_i32 s70, 0x2710
	s_cselect_b64 s[66:67], -1, 0
	s_and_b64 vcc, exec, s[66:67]
                                        ; implicit-def: $sgpr68_sgpr69
	s_cbranch_vccnz .LBB5_1062
; %bb.1061:                             ;   in Loop: Header=BB5_1060 Depth=2
	s_trap 2
	ds_read_b64 v[0:1], v0
	s_andn2_b64 s[66:67], s[66:67], exec
	s_mov_b32 s70, 0
	s_mov_b64 s[68:69], -1
	s_waitcnt vmcnt(0) lgkmcnt(0)
	flat_load_dword v0, v[0:1] sc0 sc1
	s_waitcnt vmcnt(0) lgkmcnt(0)
	buffer_inv sc0 sc1
	v_cmp_eq_u32_e32 vcc, 0, v0
	s_and_b64 vcc, vcc, exec
	s_or_b64 s[66:67], s[66:67], vcc
.LBB5_1062:                             ;   in Loop: Header=BB5_1060 Depth=2
	s_andn2_b64 s[64:65], s[64:65], exec
	s_and_b64 s[68:69], s[68:69], exec
	s_mov_b64 vcc, -1
	s_or_b64 s[64:65], s[64:65], s[68:69]
	s_and_saveexec_b64 s[68:69], s[66:67]
	s_cbranch_execz .LBB5_1059
; %bb.1063:                             ;   in Loop: Header=BB5_1060 Depth=2
	s_sleep 1
	s_trap 2
	ds_read_b64 v[0:1], v0
	s_andn2_b64 s[64:65], s[64:65], exec
	s_waitcnt lgkmcnt(0)
	v_cmp_ge_u64_e32 vcc, v[0:1], v[12:13]
	s_orn2_b64 vcc, vcc, exec
	s_branch .LBB5_1059
.LBB5_1064:                             ;   in Loop: Header=BB5_47 Depth=1
	v_ashrrev_i32_e32 v0, 31, v30
	v_lshrrev_b32_e32 v0, 21, v0
	v_add_u32_e32 v0, v30, v0
	v_ashrrev_i32_e32 v0, 11, v0
	v_sub_u32_e32 v16, v0, v58
	v_cmp_lt_i32_e32 vcc, 0, v16
	s_and_saveexec_b64 s[24:25], vcc
	s_cbranch_execz .LBB5_1068
; %bb.1065:                             ;   in Loop: Header=BB5_47 Depth=1
	s_trap 2
	ds_read_b64 v[10:11], v0
	v_accvgpr_read_b32 v14, a36
	v_accvgpr_read_b32 v24, a30
	s_mov_b64 s[30:31], 0
	v_accvgpr_read_b32 v15, a37
	v_accvgpr_read_b32 v25, a31
.LBB5_1066:                             ;   Parent Loop BB5_47 Depth=1
                                        ; =>  This Inner Loop Header: Depth=2
	s_waitcnt lgkmcnt(0)
	v_lshl_add_u64 v[6:7], v[8:9], 0, v[14:15]
	v_lshl_add_u64 v[4:5], v[10:11], 0, v[14:15]
	global_load_dwordx4 v[26:29], v[6:7], off nt
	global_load_dwordx4 v[52:55], v[4:5], off nt
	global_load_dwordx4 v[46:49], v[4:5], off offset:1024 nt
	global_load_dwordx4 v[58:61], v[6:7], off offset:1024 nt
	v_sub_u32_e32 v16, v16, v34
	v_cmp_gt_i32_e32 vcc, 1, v16
	v_lshl_add_u64 v[14:15], v[14:15], 0, v[24:25]
	s_or_b64 s[30:31], vcc, s[30:31]
	s_waitcnt vmcnt(0)
	v_mul_f16_e32 v1, v52, v26
	v_mul_f16_sdwa v6, v52, v26 dst_sel:WORD_1 dst_unused:UNUSED_PAD src0_sel:WORD_1 src1_sel:WORD_1
	v_mul_f16_e32 v7, v53, v27
	v_mul_f16_sdwa v17, v53, v27 dst_sel:WORD_1 dst_unused:UNUSED_PAD src0_sel:WORD_1 src1_sel:WORD_1
	;; [unrolled: 2-line block ×8, first 2 shown]
	v_or_b32_e32 v27, v17, v7
	v_or_b32_e32 v26, v6, v1
	;; [unrolled: 1-line block ×8, first 2 shown]
	global_store_dwordx4 v[4:5], v[26:29], off nt
	global_store_dwordx4 v[4:5], v[52:55], off offset:1024 nt
	s_andn2_b64 exec, exec, s[30:31]
	s_cbranch_execnz .LBB5_1066
; %bb.1067:                             ;   in Loop: Header=BB5_47 Depth=1
	s_or_b64 exec, exec, s[30:31]
	v_accvgpr_read_b32 v27, a7
	v_accvgpr_read_b32 v53, a13
	;; [unrolled: 1-line block ×18, first 2 shown]
	v_mov_b32_e32 v25, 1
.LBB5_1068:                             ;   in Loop: Header=BB5_47 Depth=1
	s_or_b64 exec, exec, s[24:25]
	v_lshlrev_b32_e32 v14, 11, v0
	v_cmp_ne_u32_e32 vcc, v30, v14
	s_mov_b64 s[54:55], 0
	v_mov_b32_e32 v1, 0
                                        ; implicit-def: $vgpr0
                                        ; implicit-def: $vgpr10
	s_and_saveexec_b64 s[30:31], vcc
	s_cbranch_execz .LBB5_1076
; %bb.1069:                             ;   in Loop: Header=BB5_47 Depth=1
	v_lshlrev_b32_e32 v0, 6, v16
	v_accvgpr_read_b32 v1, a34
	v_sub_u32_e32 v0, v1, v0
	v_sub_u32_e32 v4, v30, v14
	v_ashrrev_i32_e32 v1, 31, v0
	v_lshrrev_b32_e32 v1, 26, v1
	v_ashrrev_i32_e32 v6, 31, v4
	v_add_u32_e32 v1, v0, v1
	v_lshrrev_b32_e32 v6, 22, v6
	v_ashrrev_i32_e32 v5, 6, v1
	v_and_b32_e32 v1, 0xffffffc0, v1
	v_add_u32_e32 v6, v4, v6
	v_sub_u32_e32 v15, v0, v1
	v_and_b32_e32 v16, 0xfffffc00, v6
	v_lshlrev_b32_e32 v0, 4, v15
	v_sub_u32_e32 v31, v4, v16
	v_lshl_add_u32 v1, v5, 10, v0
	v_ashrrev_i32_e32 v7, 10, v6
	v_cmp_lt_i32_e32 vcc, 15, v31
	v_sub_u32_e32 v0, v4, v1
	s_nop 0
	v_addc_co_u32_e64 v4, s[24:25], 0, v7, vcc
	v_sub_u32_e32 v17, v4, v5
	v_cmp_lt_i32_e64 s[24:25], 15, v0
	s_and_saveexec_b64 s[54:55], s[24:25]
	s_cbranch_execz .LBB5_1073
; %bb.1070:                             ;   in Loop: Header=BB5_47 Depth=1
	s_trap 2
	ds_read_b64 v[4:5], v0
	v_add_u32_e32 v10, v1, v14
	v_ashrrev_i32_e32 v11, 31, v10
	s_mov_b64 s[56:57], 0
.LBB5_1071:                             ;   Parent Loop BB5_47 Depth=1
                                        ; =>  This Inner Loop Header: Depth=2
	s_waitcnt lgkmcnt(0)
	v_lshl_add_u64 v[36:37], v[4:5], 0, v[10:11]
	v_lshl_add_u64 v[6:7], v[8:9], 0, v[10:11]
	global_load_dwordx4 v[26:29], v[36:37], off nt
	global_load_dwordx4 v[52:55], v[6:7], off nt
	v_sub_u32_e32 v0, v0, v38
	v_cmp_gt_i32_e64 s[24:25], 16, v0
	v_sub_u32_e32 v17, v17, v34
	v_lshl_add_u64 v[10:11], v[10:11], 0, v[42:43]
	s_or_b64 s[56:57], s[24:25], s[56:57]
	s_waitcnt vmcnt(0)
	v_mul_f16_e32 v1, v26, v52
	v_mul_f16_sdwa v6, v26, v52 dst_sel:WORD_1 dst_unused:UNUSED_PAD src0_sel:WORD_1 src1_sel:WORD_1
	v_mul_f16_e32 v7, v27, v53
	v_mul_f16_sdwa v26, v27, v53 dst_sel:WORD_1 dst_unused:UNUSED_PAD src0_sel:WORD_1 src1_sel:WORD_1
	;; [unrolled: 2-line block ×4, first 2 shown]
	v_or_b32_e32 v27, v26, v7
	v_or_b32_e32 v26, v6, v1
	;; [unrolled: 1-line block ×4, first 2 shown]
	global_store_dwordx4 v[36:37], v[26:29], off nt
	s_andn2_b64 exec, exec, s[56:57]
	s_cbranch_execnz .LBB5_1071
; %bb.1072:                             ;   in Loop: Header=BB5_47 Depth=1
	s_or_b64 exec, exec, s[56:57]
	v_accvgpr_read_b32 v27, a7
	v_accvgpr_read_b32 v53, a13
	;; [unrolled: 1-line block ×10, first 2 shown]
	v_mov_b32_e32 v25, 1
.LBB5_1073:                             ;   in Loop: Header=BB5_47 Depth=1
	s_or_b64 exec, exec, s[54:55]
	v_and_b32_e32 v4, 14, v30
	v_cndmask_b32_e32 v30, v31, v4, vcc
	v_cmp_ne_u32_e64 s[24:25], 0, v30
	s_mov_b64 s[54:55], 0
	v_mov_b32_e32 v1, 0
                                        ; implicit-def: $vgpr0
                                        ; implicit-def: $vgpr10
	s_and_saveexec_b64 s[56:57], s[24:25]
	s_cbranch_execz .LBB5_1075
; %bb.1074:                             ;   in Loop: Header=BB5_47 Depth=1
	v_sub_u32_e32 v0, v31, v4
	v_cndmask_b32_e32 v0, 0, v0, vcc
	v_cmp_lt_i32_e32 vcc, 0, v17
	v_add3_u32 v1, v16, v14, v0
	s_mov_b64 s[54:55], exec
	v_cndmask_b32_e32 v0, 0, v34, vcc
	v_sub_u32_e32 v0, v0, v17
	v_lshl_add_u32 v0, v0, 6, v15
	v_ashrrev_i32_e32 v4, 31, v0
	v_lshrrev_b32_e32 v4, 26, v4
	v_add_u32_e32 v4, v0, v4
	v_ashrrev_i32_e32 v10, 6, v4
.LBB5_1075:                             ;   in Loop: Header=BB5_47 Depth=1
	s_or_b64 exec, exec, s[56:57]
	s_and_b64 s[54:55], s[54:55], exec
.LBB5_1076:                             ;   in Loop: Header=BB5_47 Depth=1
	s_or_b64 exec, exec, s[30:31]
	s_and_saveexec_b64 s[24:25], s[54:55]
	s_cbranch_execz .LBB5_1085
.LBB5_1077:                             ;   in Loop: Header=BB5_47 Depth=1
	v_ashrrev_i32_e32 v4, 31, v30
	v_lshrrev_b32_e32 v4, 23, v4
	v_add_u32_e32 v4, v30, v4
	v_ashrrev_i32_e32 v37, 9, v4
	v_sub_u32_e32 v31, v37, v10
	v_ashrrev_i32_e32 v4, 31, v0
	v_cmp_lt_i32_e32 vcc, 0, v31
	v_lshrrev_b32_e32 v36, 26, v4
	s_and_saveexec_b64 s[30:31], vcc
	s_cbranch_execz .LBB5_1081
; %bb.1078:                             ;   in Loop: Header=BB5_47 Depth=1
	s_trap 2
	ds_read_b64 v[4:5], v0
	v_add_u32_e32 v6, v0, v36
	v_and_b32_e32 v6, 0x7fffffc0, v6
	v_sub_u32_e32 v6, v0, v6
	v_lshlrev_b32_e32 v6, 1, v6
	v_lshlrev_b32_e32 v7, 9, v10
	v_add3_u32 v10, v6, v1, v7
	v_ashrrev_i32_e32 v11, 31, v10
	s_mov_b64 s[54:55], 0
	s_waitcnt lgkmcnt(0)
	v_mov_b64_e32 v[14:15], v[4:5]
	v_mov_b64_e32 v[16:17], v[8:9]
.LBB5_1079:                             ;   Parent Loop BB5_47 Depth=1
                                        ; =>  This Inner Loop Header: Depth=2
	v_lshl_add_u64 v[26:27], v[10:11], 0, v[14:15]
	v_lshl_add_u64 v[6:7], v[10:11], 0, v[16:17]
	flat_load_ushort v28, v[26:27] nt
	flat_load_ushort v29, v[26:27] offset:128 nt
	flat_load_ushort v39, v[26:27] offset:256 nt
	s_nop 0
	flat_load_ushort v26, v[26:27] offset:384 nt
	s_nop 0
	flat_load_ushort v27, v[6:7] nt
	flat_load_ushort v48, v[6:7] offset:128 nt
	flat_load_ushort v49, v[6:7] offset:256 nt
	;; [unrolled: 1-line block ×3, first 2 shown]
	v_sub_u32_e32 v31, v31, v34
	v_cmp_gt_i32_e32 vcc, 1, v31
	v_lshl_add_u64 v[6:7], v[10:11], 0, v[4:5]
	v_lshl_add_u64 v[16:17], v[16:17], 0, v[40:41]
	v_lshl_add_u64 v[14:15], v[14:15], 0, v[40:41]
	v_lshl_add_u64 v[4:5], v[4:5], 0, v[40:41]
	s_or_b64 s[54:55], vcc, s[54:55]
	s_waitcnt vmcnt(0) lgkmcnt(0)
	v_mul_f16_e32 v27, v28, v27
	v_mul_f16_e32 v28, v29, v48
	;; [unrolled: 1-line block ×4, first 2 shown]
	flat_store_short v[6:7], v27 nt
	flat_store_short v[6:7], v28 offset:128 nt
	flat_store_short v[6:7], v29 offset:256 nt
	;; [unrolled: 1-line block ×3, first 2 shown]
	s_andn2_b64 exec, exec, s[54:55]
	s_cbranch_execnz .LBB5_1079
; %bb.1080:                             ;   in Loop: Header=BB5_47 Depth=1
	s_or_b64 exec, exec, s[54:55]
	v_accvgpr_read_b32 v27, a7
	v_accvgpr_read_b32 v49, a17
	;; [unrolled: 1-line block ×8, first 2 shown]
.LBB5_1081:                             ;   in Loop: Header=BB5_47 Depth=1
	s_or_b64 exec, exec, s[30:31]
	v_lshlrev_b32_e32 v4, 9, v37
	v_cmp_ne_u32_e32 vcc, v30, v4
	s_and_b64 exec, exec, vcc
	s_cbranch_execz .LBB5_1085
; %bb.1082:                             ;   in Loop: Header=BB5_47 Depth=1
	v_add_u32_e32 v5, v0, v36
	v_and_b32_e32 v5, 0xffffffc0, v5
	v_sub_u32_e32 v0, v0, v5
	v_lshlrev_b32_e32 v5, 6, v31
	v_sub_u32_e32 v0, v0, v5
	v_ashrrev_i32_e32 v5, 31, v0
	v_lshrrev_b32_e32 v5, 26, v5
	v_add_u32_e32 v5, v0, v5
	v_and_b32_e32 v6, 0x7fffffc0, v5
	v_sub_u32_e32 v0, v0, v6
	v_lshlrev_b32_e32 v5, 1, v5
	v_and_b32_e32 v5, 0xffffff80, v5
	v_lshlrev_b32_e32 v0, 1, v0
	v_add3_u32 v10, v5, v0, v4
	v_sub_u32_e32 v0, v30, v10
	v_cmp_lt_i32_e32 vcc, 1, v0
	s_and_b64 exec, exec, vcc
	s_cbranch_execz .LBB5_1085
; %bb.1083:                             ;   in Loop: Header=BB5_47 Depth=1
	s_trap 2
	ds_read_b64 v[4:5], v0
	v_add_u32_e32 v10, v10, v1
	v_ashrrev_i32_e32 v11, 31, v10
	s_mov_b64 s[30:31], 0
.LBB5_1084:                             ;   Parent Loop BB5_47 Depth=1
                                        ; =>  This Inner Loop Header: Depth=2
	s_waitcnt lgkmcnt(0)
	v_lshl_add_u64 v[6:7], v[8:9], 0, v[10:11]
	v_lshl_add_u64 v[14:15], v[4:5], 0, v[10:11]
	flat_load_ushort v1, v[14:15] nt
	s_nop 0
	flat_load_ushort v6, v[6:7] nt
	v_sub_u32_e32 v0, v0, v24
	v_cmp_gt_i32_e32 vcc, 2, v0
	v_lshl_add_u64 v[10:11], v[10:11], 0, v[44:45]
	s_or_b64 s[30:31], vcc, s[30:31]
	s_waitcnt vmcnt(0) lgkmcnt(0)
	v_mul_f16_e32 v1, v1, v6
	flat_store_short v[14:15], v1 nt
	s_andn2_b64 exec, exec, s[30:31]
	s_cbranch_execnz .LBB5_1084
.LBB5_1085:                             ;   in Loop: Header=BB5_47 Depth=1
	s_or_b64 exec, exec, s[24:25]
	v_cmp_lt_i32_e64 s[24:25], 0, v2
	s_and_saveexec_b64 s[30:31], s[6:7]
	s_cbranch_execnz .LBB5_1053
.LBB5_1086:                             ;   in Loop: Header=BB5_47 Depth=1
	s_or_b64 exec, exec, s[30:31]
	s_and_saveexec_b64 vcc, s[22:23]
	s_xor_b64 s[30:31], exec, vcc
	s_cbranch_execz .LBB5_1097
.LBB5_1087:                             ;   in Loop: Header=BB5_47 Depth=1
	v_and_b32_e32 v0, 16, v62
	v_cmp_ne_u32_e32 vcc, 0, v0
	s_and_b64 vcc, vcc, s[24:25]
	s_and_saveexec_b64 s[24:25], vcc
	s_cbranch_execz .LBB5_1089
; %bb.1088:                             ;   in Loop: Header=BB5_47 Depth=1
	buffer_wbl2 sc1
	s_waitcnt vmcnt(0) lgkmcnt(0)
	buffer_inv sc1
.LBB5_1089:                             ;   in Loop: Header=BB5_47 Depth=1
	s_or_b64 exec, exec, s[24:25]
	s_andn2_saveexec_b64 s[24:25], s[30:31]
	s_cbranch_execz .LBB5_1116
	s_branch .LBB5_1098
.LBB5_1090:                             ;   in Loop: Header=BB5_47 Depth=1
	s_or_b64 exec, exec, s[60:61]
	s_and_saveexec_b64 vcc, s[62:63]
	s_xor_b64 vcc, exec, vcc
	s_cbranch_execz .LBB5_1092
; %bb.1091:                             ;   in Loop: Header=BB5_47 Depth=1
	ds_write_b32 v0, v25
	s_trap 2
.LBB5_1092:                             ;   in Loop: Header=BB5_47 Depth=1
	s_or_b64 exec, exec, s[58:59]
	;;#ASMSTART
	s_wakeup
	;;#ASMEND
.LBB5_1093:                             ;   in Loop: Header=BB5_47 Depth=1
	s_or_b64 exec, exec, s[56:57]
.LBB5_1094:                             ;   in Loop: Header=BB5_47 Depth=1
	s_andn2_saveexec_b64 vcc, s[54:55]
	s_cbranch_execz .LBB5_1096
; %bb.1095:                             ;   in Loop: Header=BB5_47 Depth=1
	s_waitcnt lgkmcnt(0)
	s_barrier
.LBB5_1096:                             ;   in Loop: Header=BB5_47 Depth=1
	s_or_b64 exec, exec, vcc
	s_or_b64 exec, exec, s[30:31]
	s_and_saveexec_b64 vcc, s[22:23]
	s_xor_b64 s[30:31], exec, vcc
	s_cbranch_execnz .LBB5_1087
.LBB5_1097:                             ;   in Loop: Header=BB5_47 Depth=1
	s_andn2_saveexec_b64 s[24:25], s[30:31]
	s_cbranch_execz .LBB5_1116
.LBB5_1098:                             ;   in Loop: Header=BB5_47 Depth=1
	s_and_saveexec_b64 vcc, s[40:41]
	s_xor_b64 s[30:31], exec, vcc
	s_cbranch_execz .LBB5_1113
; %bb.1099:                             ;   in Loop: Header=BB5_47 Depth=1
	s_and_saveexec_b64 s[54:55], s[14:15]
	s_cbranch_execz .LBB5_1112
; %bb.1100:                             ;   in Loop: Header=BB5_47 Depth=1
	s_mov_b64 s[58:59], exec
	v_mbcnt_lo_u32_b32 v0, s58, 0
	v_mbcnt_hi_u32_b32 v0, s59, v0
	v_cmp_eq_u32_e32 vcc, 0, v0
	;;#ASMSTART
	s_waitcnt lgkmcnt(0) vmcnt(0)
	;;#ASMEND
	s_and_saveexec_b64 s[56:57], vcc
	s_cbranch_execz .LBB5_1102
; %bb.1101:                             ;   in Loop: Header=BB5_47 Depth=1
	s_bcnt1_i32_b64 vcc_lo, s[58:59]
	v_mov_b32_e32 v2, vcc_lo
	ds_add_u64 v0, v[2:3]
	s_trap 2
.LBB5_1102:                             ;   in Loop: Header=BB5_47 Depth=1
	s_or_b64 exec, exec, s[56:57]
	s_trap 2
	ds_read_b64 v[0:1], v0
	v_lshl_add_u64 v[12:13], v[12:13], 0, v[34:35]
	s_waitcnt lgkmcnt(0)
	v_cmp_lt_u64_e32 vcc, v[0:1], v[12:13]
	s_and_saveexec_b64 s[56:57], vcc
	s_cbranch_execz .LBB5_1111
; %bb.1103:                             ;   in Loop: Header=BB5_47 Depth=1
	s_mov_b32 s68, 0
	s_mov_b64 s[58:59], 0
                                        ; implicit-def: $sgpr60_sgpr61
                                        ; implicit-def: $sgpr62_sgpr63
	s_branch .LBB5_1105
.LBB5_1104:                             ;   in Loop: Header=BB5_1105 Depth=2
	s_or_b64 exec, exec, s[66:67]
	s_and_b64 vcc, exec, vcc
	s_or_b64 s[58:59], vcc, s[58:59]
	s_andn2_b64 vcc, s[60:61], exec
	s_and_b64 s[60:61], s[62:63], exec
	s_or_b64 s[60:61], vcc, s[60:61]
	s_andn2_b64 exec, exec, s[58:59]
	s_cbranch_execz .LBB5_1109
.LBB5_1105:                             ;   Parent Loop BB5_47 Depth=1
                                        ; =>  This Inner Loop Header: Depth=2
	s_add_i32 s68, s68, 1
	s_cmpk_lg_i32 s68, 0x2710
	s_cselect_b64 s[64:65], -1, 0
	s_and_b64 vcc, exec, s[64:65]
                                        ; implicit-def: $sgpr66_sgpr67
	s_cbranch_vccnz .LBB5_1107
; %bb.1106:                             ;   in Loop: Header=BB5_1105 Depth=2
	s_trap 2
	ds_read_b64 v[0:1], v0
	s_andn2_b64 s[64:65], s[64:65], exec
	s_mov_b32 s68, 0
	s_mov_b64 s[66:67], -1
	s_waitcnt vmcnt(0) lgkmcnt(0)
	flat_load_dword v0, v[0:1] sc0 sc1
	s_waitcnt vmcnt(0) lgkmcnt(0)
	buffer_inv sc0 sc1
	v_cmp_eq_u32_e32 vcc, 0, v0
	s_and_b64 vcc, vcc, exec
	s_or_b64 s[64:65], s[64:65], vcc
.LBB5_1107:                             ;   in Loop: Header=BB5_1105 Depth=2
	s_andn2_b64 s[62:63], s[62:63], exec
	s_and_b64 s[66:67], s[66:67], exec
	s_mov_b64 vcc, -1
	s_or_b64 s[62:63], s[62:63], s[66:67]
	s_and_saveexec_b64 s[66:67], s[64:65]
	s_cbranch_execz .LBB5_1104
; %bb.1108:                             ;   in Loop: Header=BB5_1105 Depth=2
	s_sleep 1
	s_trap 2
	ds_read_b64 v[0:1], v0
	s_andn2_b64 s[62:63], s[62:63], exec
	s_waitcnt lgkmcnt(0)
	v_cmp_ge_u64_e32 vcc, v[0:1], v[12:13]
	s_orn2_b64 vcc, vcc, exec
	s_branch .LBB5_1104
.LBB5_1109:                             ;   in Loop: Header=BB5_47 Depth=1
	s_or_b64 exec, exec, s[58:59]
	s_and_saveexec_b64 vcc, s[60:61]
	s_xor_b64 vcc, exec, vcc
	s_cbranch_execz .LBB5_1111
; %bb.1110:                             ;   in Loop: Header=BB5_47 Depth=1
	ds_write_b32 v0, v25
	s_trap 2
.LBB5_1111:                             ;   in Loop: Header=BB5_47 Depth=1
	s_or_b64 exec, exec, s[56:57]
	;;#ASMSTART
	s_wakeup
	;;#ASMEND
.LBB5_1112:                             ;   in Loop: Header=BB5_47 Depth=1
	s_or_b64 exec, exec, s[54:55]
.LBB5_1113:                             ;   in Loop: Header=BB5_47 Depth=1
	s_andn2_saveexec_b64 vcc, s[30:31]
	s_cbranch_execz .LBB5_1115
; %bb.1114:                             ;   in Loop: Header=BB5_47 Depth=1
	;;#ASMSTART
	s_waitcnt lgkmcnt(0) vmcnt(0)
	;;#ASMEND
	s_barrier
.LBB5_1115:                             ;   in Loop: Header=BB5_47 Depth=1
	s_or_b64 exec, exec, vcc
.LBB5_1116:                             ;   in Loop: Header=BB5_47 Depth=1
	s_or_b64 exec, exec, s[24:25]
	v_and_b32_e32 v0, 32, v62
	v_cmp_ne_u32_e32 vcc, 0, v0
	s_and_saveexec_b64 s[24:25], vcc
	s_cbranch_execz .LBB5_1118
; %bb.1117:                             ;   in Loop: Header=BB5_47 Depth=1
	v_lshl_add_u64 v[20:21], v[20:21], 0, 4
	flat_store_dwordx2 v[22:23], v[20:21] sc0 sc1
.LBB5_1118:                             ;   in Loop: Header=BB5_47 Depth=1
	s_or_b64 exec, exec, s[24:25]
	v_mov_b32_e32 v10, v19
.LBB5_1119:                             ;   in Loop: Header=BB5_47 Depth=1
	s_or_b64 exec, exec, s[28:29]
	s_and_saveexec_b64 s[28:29], s[26:27]
	s_cbranch_execz .LBB5_46
; %bb.1120:                             ;   in Loop: Header=BB5_47 Depth=1
	v_and_b32_e32 v0, 4, v62
	v_cmp_ne_u32_e32 vcc, 0, v0
	s_mov_b64 s[26:27], -1
	s_and_saveexec_b64 s[24:25], vcc
	s_cbranch_execz .LBB5_1130
; %bb.1121:                             ;   in Loop: Header=BB5_47 Depth=1
	s_waitcnt lgkmcnt(0)
	v_lshl_add_u64 v[8:9], v[20:21], 0, 4
	v_cmp_lt_u64_e32 vcc, v[32:33], v[8:9]
	v_mov_b32_e32 v0, 1
	s_and_saveexec_b64 s[26:27], vcc
	s_cbranch_execz .LBB5_1145
; %bb.1122:                             ;   in Loop: Header=BB5_47 Depth=1
	s_mov_b64 s[30:31], 0
	v_mov_b32_e32 v0, 0
                                        ; implicit-def: $sgpr54_sgpr55
	s_branch .LBB5_1126
.LBB5_1123:                             ;   in Loop: Header=BB5_1126 Depth=2
	s_or_b64 exec, exec, s[62:63]
	v_mov_b32_e32 v1, 0
	s_orn2_b64 s[60:61], s[60:61], exec
.LBB5_1124:                             ;   in Loop: Header=BB5_1126 Depth=2
	s_or_b64 exec, exec, s[58:59]
	s_andn2_b64 vcc, s[54:55], exec
	s_and_b64 s[54:55], s[60:61], exec
	s_or_b64 s[54:55], vcc, s[54:55]
	v_mov_b32_e32 v0, v1
.LBB5_1125:                             ;   in Loop: Header=BB5_1126 Depth=2
	s_or_b64 exec, exec, s[56:57]
	s_waitcnt vmcnt(0) lgkmcnt(0)
	v_cmp_ge_u64_e32 vcc, v[32:33], v[8:9]
	s_xor_b64 s[56:57], s[54:55], -1
	s_or_b64 vcc, s[56:57], vcc
	s_and_b64 vcc, exec, vcc
	s_or_b64 s[30:31], vcc, s[30:31]
	s_andn2_b64 exec, exec, s[30:31]
	s_cbranch_execz .LBB5_1144
.LBB5_1126:                             ;   Parent Loop BB5_47 Depth=1
                                        ; =>  This Inner Loop Header: Depth=2
	s_sleep 1
	flat_load_dwordx2 v[32:33], v[22:23] sc0 sc1
	v_and_b32_e32 v1, 64, v62
	v_cmp_eq_u32_e32 vcc, 0, v1
	s_andn2_b64 s[54:55], s[54:55], exec
	s_and_saveexec_b64 s[56:57], vcc
	s_cbranch_execz .LBB5_1125
; %bb.1127:                             ;   in Loop: Header=BB5_1126 Depth=2
	v_add_u32_e32 v1, 1, v0
	v_cmp_lt_i32_e32 vcc, s75, v0
	s_mov_b64 s[60:61], -1
	s_and_saveexec_b64 s[58:59], vcc
	s_cbranch_execz .LBB5_1124
; %bb.1128:                             ;   in Loop: Header=BB5_1126 Depth=2
	s_trap 2
	ds_read_b64 v[0:1], v0
	s_waitcnt vmcnt(0) lgkmcnt(0)
	flat_load_dword v0, v[0:1] sc0 sc1
	s_waitcnt vmcnt(0) lgkmcnt(0)
	buffer_inv sc0 sc1
	v_cmp_ne_u32_e32 vcc, 0, v0
	s_and_saveexec_b64 s[62:63], vcc
	s_cbranch_execz .LBB5_1123
; %bb.1129:                             ;   in Loop: Header=BB5_1126 Depth=2
	v_or_b32_e32 v62, 64, v62
	s_xor_b64 s[60:61], exec, -1
	ds_write_b32 v0, v0
	s_trap 2
	s_branch .LBB5_1123
.LBB5_1130:                             ;   in Loop: Header=BB5_47 Depth=1
	s_or_b64 exec, exec, s[24:25]
	s_xor_b64 s[24:25], s[26:27], -1
	s_and_saveexec_b64 s[26:27], s[24:25]
	s_cbranch_execz .LBB5_1146
.LBB5_1131:                             ;   in Loop: Header=BB5_47 Depth=1
	v_and_b32_e32 v0, 0x100, v62
	v_cmp_ne_u32_e32 vcc, 0, v0
	v_and_b32_e32 v0, 7, v20
	s_mov_b64 s[24:25], -1
                                        ; implicit-def: $vgpr4_vgpr5
	s_and_saveexec_b64 s[30:31], vcc
	s_cbranch_execz .LBB5_1135
; %bb.1132:                             ;   in Loop: Header=BB5_47 Depth=1
	s_waitcnt lgkmcnt(0)
	v_mad_u64_u32 v[8:9], s[24:25], v0, 24, v[52:53]
	flat_load_dword v1, v[8:9]
                                        ; implicit-def: $vgpr4_vgpr5
	s_waitcnt vmcnt(0) lgkmcnt(0)
	v_cmp_ne_u32_e32 vcc, 1, v1
	v_cmp_eq_u32_e64 s[24:25], 1, v1
	s_and_saveexec_b64 s[54:55], s[24:25]
	s_cbranch_execz .LBB5_1134
; %bb.1133:                             ;   in Loop: Header=BB5_47 Depth=1
	flat_load_dword v4, v[8:9] offset:4 sc0 sc1
	s_waitcnt vmcnt(0) lgkmcnt(0)
	v_ashrrev_i32_e32 v5, 31, v4
	v_lshrrev_b64 v[4:5], 1, v[4:5]
.LBB5_1134:                             ;   in Loop: Header=BB5_47 Depth=1
	s_or_b64 exec, exec, s[54:55]
	s_orn2_b64 s[24:25], vcc, exec
.LBB5_1135:                             ;   in Loop: Header=BB5_47 Depth=1
	s_or_b64 exec, exec, s[30:31]
	s_and_saveexec_b64 vcc, s[24:25]
; %bb.1136:                             ;   in Loop: Header=BB5_47 Depth=1
	v_accvgpr_read_b32 v2, a32
	v_mad_i64_i32 v[4:5], s[24:25], v0, v2, 0
; %bb.1137:                             ;   in Loop: Header=BB5_47 Depth=1
	s_or_b64 exec, exec, vcc
	v_lshl_add_u64 v[0:1], v[4:5], 1, v[60:61]
	ds_write_b64 v0, v[0:1] offset:720
	v_and_b32_e32 v0, 0x2000, v62
	v_cmp_ne_u32_e32 vcc, 0, v0
	s_and_saveexec_b64 s[24:25], vcc
	s_cbranch_execz .LBB5_1139
; %bb.1138:                             ;   in Loop: Header=BB5_47 Depth=1
	ds_read_b64 v[0:1], v0 offset:584
	s_waitcnt lgkmcnt(0)
	v_lshl_add_u64 v[0:1], v[0:1], 0, 1
	ds_write_b64 v0, v[0:1] offset:584
.LBB5_1139:                             ;   in Loop: Header=BB5_47 Depth=1
	s_or_b64 exec, exec, s[24:25]
	v_lshl_add_u64 v[20:21], v[20:21], 0, 4
	s_or_b64 exec, exec, s[26:27]
	s_and_saveexec_b64 s[24:25], s[6:7]
	s_cbranch_execnz .LBB5_1147
.LBB5_1140:                             ;   in Loop: Header=BB5_47 Depth=1
	s_or_b64 exec, exec, s[24:25]
	s_and_saveexec_b64 s[24:25], s[22:23]
	s_xor_b64 s[24:25], exec, s[24:25]
	s_cbranch_execz .LBB5_1165
.LBB5_1141:                             ;   in Loop: Header=BB5_47 Depth=1
	s_trap 2
	ds_read_b32 v0, v0
	v_sub_u32_e32 v1, v18, v10
	v_min_i32_e32 v1, v19, v1
	v_cmp_lt_i32_e32 vcc, 0, v1
	s_waitcnt lgkmcnt(0)
	v_readfirstlane_b32 s26, v0
	s_cmp_eq_u32 s26, 0
	s_cselect_b64 s[26:27], -1, 0
	v_and_b32_e32 v0, 16, v62
	s_and_b64 s[26:27], vcc, s[26:27]
	v_cmp_ne_u32_e32 vcc, 0, v0
	s_and_b64 vcc, vcc, s[26:27]
	s_and_saveexec_b64 s[26:27], vcc
	s_cbranch_execz .LBB5_1143
; %bb.1142:                             ;   in Loop: Header=BB5_47 Depth=1
	buffer_wbl2 sc1
	s_waitcnt vmcnt(0)
	buffer_inv sc1
.LBB5_1143:                             ;   in Loop: Header=BB5_47 Depth=1
	s_or_b64 exec, exec, s[26:27]
	s_andn2_saveexec_b64 s[24:25], s[24:25]
	s_cbranch_execz .LBB5_1184
	s_branch .LBB5_1166
.LBB5_1144:                             ;   in Loop: Header=BB5_47 Depth=1
	s_or_b64 exec, exec, s[30:31]
	v_and_b32_e32 v0, 4, v62
.LBB5_1145:                             ;   in Loop: Header=BB5_47 Depth=1
	s_or_b64 exec, exec, s[26:27]
	v_cmp_eq_u32_e32 vcc, 0, v0
	s_orn2_b64 s[26:27], vcc, exec
	;;#ASMSTART
	s_wakeup
	;;#ASMEND
	s_or_b64 exec, exec, s[24:25]
	s_xor_b64 s[24:25], s[26:27], -1
	s_and_saveexec_b64 s[26:27], s[24:25]
	s_cbranch_execnz .LBB5_1131
.LBB5_1146:                             ;   in Loop: Header=BB5_47 Depth=1
	s_or_b64 exec, exec, s[26:27]
	s_and_saveexec_b64 s[24:25], s[6:7]
	s_cbranch_execz .LBB5_1140
.LBB5_1147:                             ;   in Loop: Header=BB5_47 Depth=1
	s_and_saveexec_b64 s[26:27], s[40:41]
	s_xor_b64 s[26:27], exec, s[26:27]
	s_cbranch_execz .LBB5_1162
; %bb.1148:                             ;   in Loop: Header=BB5_47 Depth=1
	s_and_saveexec_b64 s[30:31], s[14:15]
	s_cbranch_execz .LBB5_1161
; %bb.1149:                             ;   in Loop: Header=BB5_47 Depth=1
	s_mov_b64 s[56:57], exec
	v_mbcnt_lo_u32_b32 v0, s56, 0
	v_mbcnt_hi_u32_b32 v0, s57, v0
	v_cmp_eq_u32_e32 vcc, 0, v0
	s_waitcnt lgkmcnt(0)
	s_and_saveexec_b64 s[54:55], vcc
	s_cbranch_execz .LBB5_1151
; %bb.1150:                             ;   in Loop: Header=BB5_47 Depth=1
	s_bcnt1_i32_b64 vcc_lo, s[56:57]
	v_mov_b32_e32 v2, vcc_lo
	ds_add_u64 v0, v[2:3]
	s_trap 2
.LBB5_1151:                             ;   in Loop: Header=BB5_47 Depth=1
	s_or_b64 exec, exec, s[54:55]
	s_trap 2
	ds_read_b64 v[0:1], v0
	v_lshl_add_u64 v[12:13], v[12:13], 0, v[34:35]
	s_waitcnt lgkmcnt(0)
	v_cmp_lt_u64_e32 vcc, v[0:1], v[12:13]
	s_and_saveexec_b64 s[54:55], vcc
	s_cbranch_execz .LBB5_1160
; %bb.1152:                             ;   in Loop: Header=BB5_47 Depth=1
	s_mov_b32 s66, 0
	s_mov_b64 s[56:57], 0
                                        ; implicit-def: $sgpr58_sgpr59
                                        ; implicit-def: $sgpr60_sgpr61
	s_branch .LBB5_1154
.LBB5_1153:                             ;   in Loop: Header=BB5_1154 Depth=2
	s_or_b64 exec, exec, s[64:65]
	s_and_b64 vcc, exec, vcc
	s_or_b64 s[56:57], vcc, s[56:57]
	s_andn2_b64 vcc, s[58:59], exec
	s_and_b64 s[58:59], s[60:61], exec
	s_or_b64 s[58:59], vcc, s[58:59]
	s_andn2_b64 exec, exec, s[56:57]
	s_cbranch_execz .LBB5_1158
.LBB5_1154:                             ;   Parent Loop BB5_47 Depth=1
                                        ; =>  This Inner Loop Header: Depth=2
	s_add_i32 s66, s66, 1
	s_cmpk_lg_i32 s66, 0x2710
	s_cselect_b64 s[62:63], -1, 0
	s_and_b64 vcc, exec, s[62:63]
                                        ; implicit-def: $sgpr64_sgpr65
	s_cbranch_vccnz .LBB5_1156
; %bb.1155:                             ;   in Loop: Header=BB5_1154 Depth=2
	s_trap 2
	ds_read_b64 v[0:1], v0
	s_andn2_b64 s[62:63], s[62:63], exec
	s_mov_b32 s66, 0
	s_mov_b64 s[64:65], -1
	s_waitcnt vmcnt(0) lgkmcnt(0)
	flat_load_dword v0, v[0:1] sc0 sc1
	s_waitcnt vmcnt(0) lgkmcnt(0)
	buffer_inv sc0 sc1
	v_cmp_eq_u32_e32 vcc, 0, v0
	s_and_b64 vcc, vcc, exec
	s_or_b64 s[62:63], s[62:63], vcc
.LBB5_1156:                             ;   in Loop: Header=BB5_1154 Depth=2
	s_andn2_b64 s[60:61], s[60:61], exec
	s_and_b64 s[64:65], s[64:65], exec
	s_mov_b64 vcc, -1
	s_or_b64 s[60:61], s[60:61], s[64:65]
	s_and_saveexec_b64 s[64:65], s[62:63]
	s_cbranch_execz .LBB5_1153
; %bb.1157:                             ;   in Loop: Header=BB5_1154 Depth=2
	s_sleep 1
	s_trap 2
	ds_read_b64 v[0:1], v0
	s_andn2_b64 s[60:61], s[60:61], exec
	s_waitcnt lgkmcnt(0)
	v_cmp_ge_u64_e32 vcc, v[0:1], v[12:13]
	s_orn2_b64 vcc, vcc, exec
	s_branch .LBB5_1153
.LBB5_1158:                             ;   in Loop: Header=BB5_47 Depth=1
	s_or_b64 exec, exec, s[56:57]
	s_and_saveexec_b64 vcc, s[58:59]
	s_xor_b64 vcc, exec, vcc
	s_cbranch_execz .LBB5_1160
; %bb.1159:                             ;   in Loop: Header=BB5_47 Depth=1
	ds_write_b32 v0, v25
	s_trap 2
.LBB5_1160:                             ;   in Loop: Header=BB5_47 Depth=1
	s_or_b64 exec, exec, s[54:55]
	;;#ASMSTART
	s_wakeup
	;;#ASMEND
.LBB5_1161:                             ;   in Loop: Header=BB5_47 Depth=1
	s_or_b64 exec, exec, s[30:31]
.LBB5_1162:                             ;   in Loop: Header=BB5_47 Depth=1
	s_andn2_saveexec_b64 s[26:27], s[26:27]
	s_cbranch_execz .LBB5_1164
; %bb.1163:                             ;   in Loop: Header=BB5_47 Depth=1
	s_waitcnt lgkmcnt(0)
	s_barrier
.LBB5_1164:                             ;   in Loop: Header=BB5_47 Depth=1
	s_or_b64 exec, exec, s[26:27]
	s_or_b64 exec, exec, s[24:25]
	s_and_saveexec_b64 s[24:25], s[22:23]
	s_xor_b64 s[24:25], exec, s[24:25]
	s_cbranch_execnz .LBB5_1141
.LBB5_1165:                             ;   in Loop: Header=BB5_47 Depth=1
	s_andn2_saveexec_b64 s[24:25], s[24:25]
	s_cbranch_execz .LBB5_1184
.LBB5_1166:                             ;   in Loop: Header=BB5_47 Depth=1
	s_and_saveexec_b64 s[26:27], s[40:41]
	s_xor_b64 s[26:27], exec, s[26:27]
	s_cbranch_execz .LBB5_1181
; %bb.1167:                             ;   in Loop: Header=BB5_47 Depth=1
	s_and_saveexec_b64 s[30:31], s[14:15]
	s_cbranch_execz .LBB5_1180
; %bb.1168:                             ;   in Loop: Header=BB5_47 Depth=1
	s_mov_b64 s[56:57], exec
	v_mbcnt_lo_u32_b32 v0, s56, 0
	v_mbcnt_hi_u32_b32 v0, s57, v0
	v_cmp_eq_u32_e32 vcc, 0, v0
	;;#ASMSTART
	s_waitcnt lgkmcnt(0) vmcnt(0)
	;;#ASMEND
	s_and_saveexec_b64 s[54:55], vcc
	s_cbranch_execz .LBB5_1170
; %bb.1169:                             ;   in Loop: Header=BB5_47 Depth=1
	s_bcnt1_i32_b64 vcc_lo, s[56:57]
	v_mov_b32_e32 v2, vcc_lo
	ds_add_u64 v0, v[2:3]
	s_trap 2
.LBB5_1170:                             ;   in Loop: Header=BB5_47 Depth=1
	s_or_b64 exec, exec, s[54:55]
	s_trap 2
	ds_read_b64 v[0:1], v0
	v_lshl_add_u64 v[12:13], v[12:13], 0, v[34:35]
	s_waitcnt lgkmcnt(0)
	v_cmp_lt_u64_e32 vcc, v[0:1], v[12:13]
	s_and_saveexec_b64 s[54:55], vcc
	s_cbranch_execz .LBB5_1179
; %bb.1171:                             ;   in Loop: Header=BB5_47 Depth=1
	s_mov_b32 s66, 0
	s_mov_b64 s[56:57], 0
                                        ; implicit-def: $sgpr58_sgpr59
                                        ; implicit-def: $sgpr60_sgpr61
	s_branch .LBB5_1173
.LBB5_1172:                             ;   in Loop: Header=BB5_1173 Depth=2
	s_or_b64 exec, exec, s[64:65]
	s_and_b64 vcc, exec, vcc
	s_or_b64 s[56:57], vcc, s[56:57]
	s_andn2_b64 vcc, s[58:59], exec
	s_and_b64 s[58:59], s[60:61], exec
	s_or_b64 s[58:59], vcc, s[58:59]
	s_andn2_b64 exec, exec, s[56:57]
	s_cbranch_execz .LBB5_1177
.LBB5_1173:                             ;   Parent Loop BB5_47 Depth=1
                                        ; =>  This Inner Loop Header: Depth=2
	s_add_i32 s66, s66, 1
	s_cmpk_lg_i32 s66, 0x2710
	s_cselect_b64 s[62:63], -1, 0
	s_and_b64 vcc, exec, s[62:63]
                                        ; implicit-def: $sgpr64_sgpr65
	s_cbranch_vccnz .LBB5_1175
; %bb.1174:                             ;   in Loop: Header=BB5_1173 Depth=2
	s_trap 2
	ds_read_b64 v[0:1], v0
	s_andn2_b64 s[62:63], s[62:63], exec
	s_mov_b32 s66, 0
	s_mov_b64 s[64:65], -1
	s_waitcnt vmcnt(0) lgkmcnt(0)
	flat_load_dword v0, v[0:1] sc0 sc1
	s_waitcnt vmcnt(0) lgkmcnt(0)
	buffer_inv sc0 sc1
	v_cmp_eq_u32_e32 vcc, 0, v0
	s_and_b64 vcc, vcc, exec
	s_or_b64 s[62:63], s[62:63], vcc
.LBB5_1175:                             ;   in Loop: Header=BB5_1173 Depth=2
	s_andn2_b64 s[60:61], s[60:61], exec
	s_and_b64 s[64:65], s[64:65], exec
	s_mov_b64 vcc, -1
	s_or_b64 s[60:61], s[60:61], s[64:65]
	s_and_saveexec_b64 s[64:65], s[62:63]
	s_cbranch_execz .LBB5_1172
; %bb.1176:                             ;   in Loop: Header=BB5_1173 Depth=2
	s_sleep 1
	s_trap 2
	ds_read_b64 v[0:1], v0
	s_andn2_b64 s[60:61], s[60:61], exec
	s_waitcnt lgkmcnt(0)
	v_cmp_ge_u64_e32 vcc, v[0:1], v[12:13]
	s_orn2_b64 vcc, vcc, exec
	s_branch .LBB5_1172
.LBB5_1177:                             ;   in Loop: Header=BB5_47 Depth=1
	s_or_b64 exec, exec, s[56:57]
	s_and_saveexec_b64 vcc, s[58:59]
	s_xor_b64 vcc, exec, vcc
	s_cbranch_execz .LBB5_1179
; %bb.1178:                             ;   in Loop: Header=BB5_47 Depth=1
	ds_write_b32 v0, v25
	s_trap 2
.LBB5_1179:                             ;   in Loop: Header=BB5_47 Depth=1
	s_or_b64 exec, exec, s[54:55]
	;;#ASMSTART
	s_wakeup
	;;#ASMEND
.LBB5_1180:                             ;   in Loop: Header=BB5_47 Depth=1
	s_or_b64 exec, exec, s[30:31]
.LBB5_1181:                             ;   in Loop: Header=BB5_47 Depth=1
	s_andn2_saveexec_b64 s[26:27], s[26:27]
	s_cbranch_execz .LBB5_1183
; %bb.1182:                             ;   in Loop: Header=BB5_47 Depth=1
	;;#ASMSTART
	s_waitcnt lgkmcnt(0) vmcnt(0)
	;;#ASMEND
	s_barrier
.LBB5_1183:                             ;   in Loop: Header=BB5_47 Depth=1
	s_or_b64 exec, exec, s[26:27]
.LBB5_1184:                             ;   in Loop: Header=BB5_47 Depth=1
	s_or_b64 exec, exec, s[24:25]
	v_and_b32_e32 v0, 32, v62
	v_cmp_ne_u32_e32 vcc, 0, v0
	s_and_saveexec_b64 s[24:25], vcc
	s_cbranch_execz .LBB5_45
; %bb.1185:                             ;   in Loop: Header=BB5_47 Depth=1
	v_lshl_add_u64 v[20:21], v[20:21], 0, 4
	flat_store_dwordx2 v[22:23], v[20:21] sc0 sc1
	s_branch .LBB5_45
.LBB5_1186:
	s_or_b64 exec, exec, s[38:39]
	v_accvgpr_read_b32 v29, a11
	s_waitcnt lgkmcnt(0)
	v_accvgpr_read_b32 v31, a0
	v_accvgpr_read_b32 v1, a1
	v_accvgpr_read_b32 v14, a2
	v_accvgpr_read_b32 v28, a10
.LBB5_1187:
	s_or_b64 exec, exec, s[36:37]
	v_and_b32_e32 v0, 0x800, v62
	v_cmp_eq_u32_e32 vcc, 0, v0
	s_and_saveexec_b64 s[0:1], vcc
	s_cbranch_execz .LBB5_1222
; %bb.1188:
	v_and_b32_e32 v0, 48, v62
	v_cmp_ne_u32_e32 vcc, 0, v0
	s_and_saveexec_b64 s[2:3], vcc
	s_cbranch_execz .LBB5_1190
; %bb.1189:
	flat_store_dwordx2 v[28:29], v[20:21] offset:104
.LBB5_1190:
	s_or_b64 exec, exec, s[2:3]
	s_movk_i32 s2, 0x88
	v_and_b32_e32 v0, 0x88, v62
	v_cmp_eq_u32_e32 vcc, s2, v0
	s_and_saveexec_b64 s[2:3], vcc
	s_cbranch_execz .LBB5_1202
; %bb.1191:
	v_and_b32_e32 v0, 7, v20
	v_xor_b32_e32 v0, 4, v0
	v_mad_u64_u32 v[2:3], s[4:5], v0, 24, v[52:53]
	v_lshl_add_u64 v[2:3], v[2:3], 0, 8
	s_mov_b64 s[4:5], 0
	v_mov_b32_e32 v0, 0
	s_movk_i32 s20, 0x270e
                                        ; implicit-def: $sgpr6_sgpr7
	s_branch .LBB5_1196
.LBB5_1192:                             ;   in Loop: Header=BB5_1196 Depth=1
	s_or_b64 exec, exec, s[18:19]
	v_mov_b32_e32 v4, 0
	s_orn2_b64 s[16:17], s[16:17], exec
.LBB5_1193:                             ;   in Loop: Header=BB5_1196 Depth=1
	s_or_b64 exec, exec, s[14:15]
	s_and_b64 s[14:15], s[16:17], exec
	v_mov_b32_e32 v0, v4
.LBB5_1194:                             ;   in Loop: Header=BB5_1196 Depth=1
	s_or_b64 exec, exec, s[12:13]
	s_xor_b64 s[12:13], s[14:15], -1
	s_andn2_b64 s[6:7], s[6:7], exec
	s_and_b64 s[12:13], s[12:13], exec
	s_or_b64 s[6:7], s[6:7], s[12:13]
.LBB5_1195:                             ;   in Loop: Header=BB5_1196 Depth=1
	s_or_b64 exec, exec, s[10:11]
	s_and_b64 s[10:11], exec, s[6:7]
	s_or_b64 s[4:5], s[10:11], s[4:5]
	s_andn2_b64 exec, exec, s[4:5]
	s_cbranch_execz .LBB5_1201
.LBB5_1196:                             ; =>This Inner Loop Header: Depth=1
	flat_load_dwordx2 v[4:5], v[2:3] sc0 sc1
	s_waitcnt vmcnt(0)
	s_or_b64 s[6:7], s[6:7], exec
	s_waitcnt lgkmcnt(0)
	v_cmp_ne_u64_e32 vcc, -1, v[4:5]
	s_and_saveexec_b64 s[10:11], vcc
	s_cbranch_execz .LBB5_1195
; %bb.1197:                             ;   in Loop: Header=BB5_1196 Depth=1
	v_and_b32_e32 v4, 64, v62
	v_cmp_eq_u32_e32 vcc, 0, v4
	s_mov_b64 s[14:15], 0
	s_and_saveexec_b64 s[12:13], vcc
	s_cbranch_execz .LBB5_1194
; %bb.1198:                             ;   in Loop: Header=BB5_1196 Depth=1
	v_add_u32_e32 v4, 1, v0
	v_cmp_lt_i32_e32 vcc, s20, v0
	s_mov_b64 s[16:17], -1
	s_and_saveexec_b64 s[14:15], vcc
	s_cbranch_execz .LBB5_1193
; %bb.1199:                             ;   in Loop: Header=BB5_1196 Depth=1
	s_trap 2
	ds_read_b64 v[4:5], v0
	s_waitcnt lgkmcnt(0)
	flat_load_dword v0, v[4:5] sc0 sc1
	s_waitcnt vmcnt(0) lgkmcnt(0)
	buffer_inv sc0 sc1
	v_cmp_ne_u32_e32 vcc, 0, v0
	s_and_saveexec_b64 s[18:19], vcc
	s_cbranch_execz .LBB5_1192
; %bb.1200:                             ;   in Loop: Header=BB5_1196 Depth=1
	v_or_b32_e32 v62, 64, v62
	s_xor_b64 s[16:17], exec, -1
	ds_write_b32 v0, v0
	s_trap 2
	s_branch .LBB5_1192
.LBB5_1201:
	s_or_b64 exec, exec, s[4:5]
.LBB5_1202:
	s_or_b64 exec, exec, s[2:3]
	v_and_b32_e32 v0, 0x2000, v62
	v_cmp_ne_u32_e32 vcc, 0, v0
	s_and_saveexec_b64 s[2:3], vcc
	s_cbranch_execz .LBB5_1204
; %bb.1203:
	s_trap 2
	ds_read_b64 v[2:3], v0
	v_accvgpr_read_b32 v4, a8
	v_accvgpr_read_b32 v5, a9
	s_waitcnt lgkmcnt(0)
	flat_store_dwordx2 v[4:5], v[2:3] offset:16
.LBB5_1204:
	s_or_b64 exec, exec, s[2:3]
	v_cmp_ne_u32_e32 vcc, 64, v1
	s_and_b64 exec, exec, vcc
	s_cbranch_execz .LBB5_1222
; %bb.1205:
	v_cmp_ne_u32_sdwa s[2:3], v14, v1 src0_sel:WORD_0 src1_sel:DWORD
	s_and_saveexec_b64 s[4:5], s[2:3]
	s_xor_b64 s[2:3], exec, s[4:5]
	s_cbranch_execz .LBB5_1220
; %bb.1206:
	v_and_b32_e32 v0, 63, v31
	v_cmp_eq_u32_e32 vcc, 0, v0
	s_and_saveexec_b64 s[4:5], vcc
	s_cbranch_execz .LBB5_1219
; %bb.1207:
	s_mov_b64 s[10:11], exec
	v_mbcnt_lo_u32_b32 v0, s10, 0
	v_mbcnt_hi_u32_b32 v0, s11, v0
	v_cmp_eq_u32_e32 vcc, 0, v0
	s_waitcnt lgkmcnt(0)
	s_and_saveexec_b64 s[6:7], vcc
	s_cbranch_execz .LBB5_1209
; %bb.1208:
	s_bcnt1_i32_b64 s10, s[10:11]
	v_mov_b32_e32 v2, s10
	v_mov_b32_e32 v3, 0
	ds_add_u64 v0, v[2:3]
	s_trap 2
.LBB5_1209:
	s_or_b64 exec, exec, s[6:7]
	v_ashrrev_i32_e32 v0, 31, v1
	v_lshrrev_b32_e32 v0, 26, v0
	s_trap 2
	ds_read_b64 v[2:3], v0
	v_add_u32_e32 v0, v1, v0
	v_ashrrev_i32_e32 v0, 6, v0
	v_ashrrev_i32_e32 v1, 31, v0
	v_lshl_add_u64 v[0:1], v[12:13], 0, v[0:1]
	s_waitcnt lgkmcnt(0)
	v_cmp_lt_u64_e32 vcc, v[2:3], v[0:1]
	s_and_saveexec_b64 s[6:7], vcc
	s_cbranch_execz .LBB5_1218
; %bb.1210:
	s_mov_b32 s22, 0
	s_mov_b64 s[10:11], 0
                                        ; implicit-def: $sgpr12_sgpr13
                                        ; implicit-def: $sgpr14_sgpr15
	s_branch .LBB5_1212
.LBB5_1211:                             ;   in Loop: Header=BB5_1212 Depth=1
	s_or_b64 exec, exec, s[20:21]
	s_and_b64 s[16:17], exec, s[18:19]
	s_or_b64 s[10:11], s[16:17], s[10:11]
	s_andn2_b64 s[12:13], s[12:13], exec
	s_and_b64 s[16:17], s[14:15], exec
	s_or_b64 s[12:13], s[12:13], s[16:17]
	s_andn2_b64 exec, exec, s[10:11]
	s_cbranch_execz .LBB5_1216
.LBB5_1212:                             ; =>This Inner Loop Header: Depth=1
	s_add_i32 s22, s22, 1
	s_cmpk_lg_i32 s22, 0x2710
	s_cselect_b64 s[16:17], -1, 0
	s_and_b64 vcc, exec, s[16:17]
                                        ; implicit-def: $sgpr20_sgpr21
	s_cbranch_vccnz .LBB5_1214
; %bb.1213:                             ;   in Loop: Header=BB5_1212 Depth=1
	s_trap 2
	ds_read_b64 v[2:3], v0
	s_andn2_b64 s[16:17], s[16:17], exec
	s_mov_b32 s22, 0
	s_mov_b64 s[20:21], -1
	s_waitcnt vmcnt(0) lgkmcnt(0)
	flat_load_dword v2, v[2:3] sc0 sc1
	s_waitcnt vmcnt(0) lgkmcnt(0)
	buffer_inv sc0 sc1
	v_cmp_eq_u32_e32 vcc, 0, v2
	s_and_b64 s[18:19], vcc, exec
	s_or_b64 s[16:17], s[16:17], s[18:19]
.LBB5_1214:                             ;   in Loop: Header=BB5_1212 Depth=1
	s_andn2_b64 s[14:15], s[14:15], exec
	s_and_b64 s[20:21], s[20:21], exec
	s_mov_b64 s[18:19], -1
	s_or_b64 s[14:15], s[14:15], s[20:21]
	s_and_saveexec_b64 s[20:21], s[16:17]
	s_cbranch_execz .LBB5_1211
; %bb.1215:                             ;   in Loop: Header=BB5_1212 Depth=1
	s_sleep 1
	s_trap 2
	ds_read_b64 v[2:3], v0
	s_andn2_b64 s[14:15], s[14:15], exec
	s_waitcnt lgkmcnt(0)
	v_cmp_ge_u64_e32 vcc, v[2:3], v[0:1]
	s_orn2_b64 s[18:19], vcc, exec
	s_branch .LBB5_1211
.LBB5_1216:
	s_or_b64 exec, exec, s[10:11]
	s_and_saveexec_b64 s[10:11], s[12:13]
	s_xor_b64 s[10:11], exec, s[10:11]
	s_cbranch_execz .LBB5_1218
; %bb.1217:
	v_mov_b32_e32 v0, 1
	ds_write_b32 v0, v0
	s_trap 2
.LBB5_1218:
	s_or_b64 exec, exec, s[6:7]
	;;#ASMSTART
	s_wakeup
	;;#ASMEND
.LBB5_1219:
	s_or_b64 exec, exec, s[4:5]
.LBB5_1220:
	s_andn2_saveexec_b64 s[2:3], s[2:3]
	s_cbranch_execz .LBB5_1222
; %bb.1221:
	s_waitcnt lgkmcnt(0)
	s_barrier
.LBB5_1222:
	s_or_b64 exec, exec, s[0:1]
.LBB5_1223:
	s_andn2_saveexec_b64 s[22:23], s[34:35]
	s_cbranch_execz .LBB5_1225
; %bb.1224:
	s_getpc_b64 s[0:1]
	s_add_u32 s0, s0, __PRETTY_FUNCTION__._ZN10PrimitivesI6__half8FuncProdIS0_E12FanSymmetricILi1EELi0E11ProtoSimpleILi1ELi4ELi1ELi1ELi0ELi0EELi0ELb0ELi0ELi0ELi1EEC2EiiPKiS9_PKvPvmhhhP15ncclDevWorkCollP14ncclDevWorkP2pii@rel32@lo+4
	s_addc_u32 s1, s1, __PRETTY_FUNCTION__._ZN10PrimitivesI6__half8FuncProdIS0_E12FanSymmetricILi1EELi0E11ProtoSimpleILi1ELi4ELi1ELi1ELi0ELi0EELi0ELb0ELi0ELi0ELi1EEC2EiiPKiS9_PKvPvmhhhP15ncclDevWorkCollP14ncclDevWorkP2pii@rel32@hi+12
	v_mov_b32_e32 v0, s0
	v_mov_b32_e32 v1, s1
	s_getpc_b64 s[2:3]
	s_add_u32 s2, s2, __assert_fail@rel32@lo+4
	s_addc_u32 s3, s3, __assert_fail@rel32@hi+12
	s_swappc_b64 s[30:31], s[2:3]
	; divergent unreachable
.LBB5_1225:
	s_or_b64 exec, exec, s[22:23]
	scratch_load_dword a47, off, s33        ; 4-byte Folded Reload
	scratch_load_dword a46, off, s33 offset:4 ; 4-byte Folded Reload
	scratch_load_dword a45, off, s33 offset:8 ; 4-byte Folded Reload
	;; [unrolled: 1-line block ×16, first 2 shown]
	s_waitcnt lgkmcnt(0)
	scratch_load_dword v61, off, s33 offset:68 ; 4-byte Folded Reload
	scratch_load_dword v60, off, s33 offset:72 ; 4-byte Folded Reload
	;; [unrolled: 1-line block ×14, first 2 shown]
	v_readlane_b32 s30, v63, 52
	v_readlane_b32 s31, v63, 53
	;; [unrolled: 1-line block ×55, first 2 shown]
	s_or_saveexec_b64 s[2:3], -1
	scratch_load_dword v63, off, s33 offset:124 ; 4-byte Folded Reload
	s_mov_b64 exec, s[2:3]
	s_addk_i32 s32, 0xff70
	s_mov_b32 s33, s0
	s_waitcnt vmcnt(0)
	s_setpc_b64 s[30:31]
.Lfunc_end5:
	.size	_ZN12_GLOBAL__N_17runRingI6__half8FuncProdIS1_E11ProtoSimpleILi1ELi4ELi1ELi1ELi0ELi0EELi0ELi1ELi1ELi0EEEviiP15ncclDevWorkColl, .Lfunc_end5-_ZN12_GLOBAL__N_17runRingI6__half8FuncProdIS1_E11ProtoSimpleILi1ELi4ELi1ELi1ELi0ELi0EELi0ELi1ELi1ELi0EEEviiP15ncclDevWorkColl
                                        ; -- End function
	.section	.AMDGPU.csdata,"",@progbits
; Function info:
; codeLenInByte = 40400
; NumSgprs: 92
; NumVgprs: 64
; NumAgprs: 48
; TotalNumVgprs: 112
; ScratchSize: 208
; MemoryBound: 1
	.text
	.p2align	2                               ; -- Begin function _ZN12_GLOBAL__N_17runRingI6__half8FuncProdIS1_E11ProtoSimpleILi2ELi2ELi1ELi1ELi0ELi0EELi0ELi1ELi1ELi0EEEviiP15ncclDevWorkColl
	.type	_ZN12_GLOBAL__N_17runRingI6__half8FuncProdIS1_E11ProtoSimpleILi2ELi2ELi1ELi1ELi0ELi0EELi0ELi1ELi1ELi0EEEviiP15ncclDevWorkColl,@function
_ZN12_GLOBAL__N_17runRingI6__half8FuncProdIS1_E11ProtoSimpleILi2ELi2ELi1ELi1ELi0ELi0EELi0ELi1ELi1ELi0EEEviiP15ncclDevWorkColl: ; @_ZN12_GLOBAL__N_17runRingI6__half8FuncProdIS1_E11ProtoSimpleILi2ELi2ELi1ELi1ELi0ELi0EELi0ELi1ELi1ELi0EEEviiP15ncclDevWorkColl
; %bb.0:
	s_waitcnt vmcnt(0) expcnt(0) lgkmcnt(0)
	s_mov_b32 s0, s33
	s_mov_b32 s33, s32
	s_or_saveexec_b64 s[2:3], -1
	scratch_store_dword off, v63, s33 offset:136 ; 4-byte Folded Spill
	s_mov_b64 exec, s[2:3]
	v_writelane_b32 v63, s0, 55
	s_addk_i32 s32, 0x90
	scratch_store_dword off, v40, s33 offset:132 ; 4-byte Folded Spill
	scratch_store_dword off, v41, s33 offset:128 ; 4-byte Folded Spill
	scratch_store_dword off, v42, s33 offset:124 ; 4-byte Folded Spill
	scratch_store_dword off, v43, s33 offset:120 ; 4-byte Folded Spill
	scratch_store_dword off, v44, s33 offset:116 ; 4-byte Folded Spill
	scratch_store_dword off, v45, s33 offset:112 ; 4-byte Folded Spill
	scratch_store_dword off, v46, s33 offset:108 ; 4-byte Folded Spill
	scratch_store_dword off, v47, s33 offset:104 ; 4-byte Folded Spill
	scratch_store_dword off, v56, s33 offset:100 ; 4-byte Folded Spill
	scratch_store_dword off, v57, s33 offset:96 ; 4-byte Folded Spill
	scratch_store_dword off, v58, s33 offset:92 ; 4-byte Folded Spill
	scratch_store_dword off, v59, s33 offset:88 ; 4-byte Folded Spill
	scratch_store_dword off, v60, s33 offset:84 ; 4-byte Folded Spill
	scratch_store_dword off, v61, s33 offset:80 ; 4-byte Folded Spill
	scratch_store_dword off, v62, s33 offset:76 ; 4-byte Folded Spill
	scratch_store_dword off, a32, s33 offset:72 ; 4-byte Folded Spill
	scratch_store_dword off, a33, s33 offset:68 ; 4-byte Folded Spill
	scratch_store_dword off, a34, s33 offset:64 ; 4-byte Folded Spill
	scratch_store_dword off, a35, s33 offset:60 ; 4-byte Folded Spill
	scratch_store_dword off, a36, s33 offset:56 ; 4-byte Folded Spill
	scratch_store_dword off, a37, s33 offset:52 ; 4-byte Folded Spill
	scratch_store_dword off, a38, s33 offset:48 ; 4-byte Folded Spill
	scratch_store_dword off, a39, s33 offset:44 ; 4-byte Folded Spill
	scratch_store_dword off, a40, s33 offset:40 ; 4-byte Folded Spill
	scratch_store_dword off, a41, s33 offset:36 ; 4-byte Folded Spill
	scratch_store_dword off, a42, s33 offset:32 ; 4-byte Folded Spill
	scratch_store_dword off, a43, s33 offset:28 ; 4-byte Folded Spill
	scratch_store_dword off, a44, s33 offset:24 ; 4-byte Folded Spill
	scratch_store_dword off, a45, s33 offset:20 ; 4-byte Folded Spill
	scratch_store_dword off, a46, s33 offset:16 ; 4-byte Folded Spill
	scratch_store_dword off, a47, s33 offset:12 ; 4-byte Folded Spill
	scratch_store_dword off, a48, s33 offset:8 ; 4-byte Folded Spill
	scratch_store_dword off, a49, s33 offset:4 ; 4-byte Folded Spill
	scratch_store_dword off, a50, s33       ; 4-byte Folded Spill
	v_writelane_b32 v63, s34, 0
	v_writelane_b32 v63, s35, 1
	;; [unrolled: 1-line block ×54, first 2 shown]
	s_nop 1
	v_writelane_b32 v63, s31, 54
	v_mov_b32_e32 v18, v1
	s_trap 2
	flat_load_dword v1, v[2:3]
	ds_read_b32 v4, v0
	v_accvgpr_write_b32 a36, v0
                                        ; implicit-def: $vgpr14_vgpr15
                                        ; implicit-def: $agpr4_agpr5
                                        ; implicit-def: $agpr6_agpr7
	s_waitcnt lgkmcnt(0)
	v_readfirstlane_b32 s72, v4
	s_waitcnt vmcnt(0)
	v_cmp_ne_u32_sdwa s[0:1], v1, v4 src0_sel:BYTE_0 src1_sel:DWORD
	s_and_saveexec_b64 s[2:3], s[0:1]
	s_xor_b64 s[0:1], exec, s[2:3]
	s_cbranch_execz .LBB6_6
; %bb.1:
	v_not_b32_sdwa v0, v1 dst_sel:DWORD dst_unused:UNUSED_PAD src0_sel:BYTE_0
	v_cmp_ne_u32_sdwa s[2:3], v1, v4 src0_sel:BYTE_1 src1_sel:DWORD
                                        ; implicit-def: $vgpr14_vgpr15
                                        ; implicit-def: $agpr4_agpr5
                                        ; implicit-def: $agpr6_agpr7
	s_and_saveexec_b64 s[4:5], s[2:3]
	s_xor_b64 s[2:3], exec, s[4:5]
	s_cbranch_execz .LBB6_3
; %bb.2:
	flat_load_dwordx4 v[6:9], v[2:3] offset:72
	flat_load_dwordx2 v[10:11], v[2:3] offset:96
	v_add_u32_e32 v0, v4, v0
	v_ashrrev_i32_e32 v1, 31, v0
	s_waitcnt vmcnt(0) lgkmcnt(0)
	v_mul_lo_u32 v1, v8, v1
	v_mad_u64_u32 v[4:5], s[4:5], v8, v0, v[6:7]
	v_mul_lo_u32 v0, v9, v0
	v_add3_u32 v5, v0, v5, v1
	v_accvgpr_write_b32 a4, v4
	v_accvgpr_write_b32 a6, v8
	v_lshrrev_b64 v[14:15], 13, v[10:11]
	v_accvgpr_write_b32 a5, v5
	v_accvgpr_write_b32 a7, v9
                                        ; implicit-def: $vgpr1
                                        ; implicit-def: $vgpr0
.LBB6_3:
	s_andn2_saveexec_b64 s[2:3], s[2:3]
	s_cbranch_execz .LBB6_5
; %bb.4:
	flat_load_dwordx4 v[4:7], v[2:3] offset:72
	flat_load_dwordx4 v[8:11], v[2:3] offset:88
	v_add_u32_sdwa v0, v1, v0 dst_sel:DWORD dst_unused:UNUSED_PAD src0_sel:BYTE_1 src1_sel:DWORD
	v_ashrrev_i32_e32 v1, 31, v0
	s_waitcnt vmcnt(0) lgkmcnt(0)
	v_mul_lo_u32 v1, v6, v1
	v_mad_u64_u32 v[4:5], s[4:5], v6, v0, v[4:5]
	v_mul_lo_u32 v0, v7, v0
	v_add3_u32 v5, v0, v5, v1
	v_accvgpr_write_b32 a4, v4
	v_accvgpr_write_b32 a6, v8
	;; [unrolled: 1-line block ×4, first 2 shown]
	v_lshrrev_b32_e32 v14, 2, v11
.LBB6_5:
	s_or_b64 exec, exec, s[2:3]
.LBB6_6:
	s_andn2_saveexec_b64 s[0:1], s[0:1]
	s_cbranch_execz .LBB6_8
; %bb.7:
	flat_load_dwordx2 v[0:1], v[2:3] offset:96
	flat_load_dwordx2 a[6:7], v[2:3] offset:72
	s_waitcnt vmcnt(0) lgkmcnt(0)
	v_lshlrev_b64 v[14:15], 8, v[0:1]
	v_mov_b64_e32 v[0:1], 0
	v_accvgpr_write_b32 a5, v1
	v_accvgpr_write_b32 a4, v0
.LBB6_8:
	s_or_b64 exec, exec, s[0:1]
	s_trap 2
	ds_read_b64 v[4:5], v0
	s_waitcnt lgkmcnt(0)
	v_cmp_ne_u32_e32 vcc, -1, v4
	s_nop 1
	v_cndmask_b32_e64 v1, 0, 1, vcc
	v_cmp_ne_u32_e32 vcc, -1, v5
	s_nop 1
	v_addc_co_u32_e64 v0, s[0:1], 0, v1, vcc
	v_lshlrev_b32_e32 v4, 1, v0
	v_cmp_le_i32_e64 s[0:1], v4, v18
	s_and_saveexec_b64 s[2:3], s[0:1]
	s_xor_b64 s[30:31], exec, s[2:3]
	s_cbranch_execz .LBB6_1248
; %bb.9:
	flat_load_dwordx2 v[16:17], v[2:3] offset:104
	flat_load_dwordx4 v[10:13], v[2:3] offset:16
	flat_load_ushort v5, v[2:3] offset:8
	flat_load_dword v4, v[2:3] offset:4
	s_trap 2
	s_load_dword s0, s[8:9], 0x0
	v_mov_b32_e32 v6, 0
	v_mov_b32_e32 v59, 4
	s_waitcnt lgkmcnt(0)
	s_cmp_lt_u32 s12, s0
	s_cselect_b32 s0, 12, 18
	s_add_u32 s0, s8, s0
	s_addc_u32 s1, s9, 0
	global_load_ushort v15, v6, s[0:1]
	ds_read_b32 v6, v0
	s_waitcnt lgkmcnt(0)
	v_readfirstlane_b32 s14, v6
	v_accvgpr_read_b32 v6, a36
	v_cmp_ge_i32_e64 s[0:1], v6, v1
	s_and_saveexec_b64 s[2:3], s[0:1]
	s_cbranch_execz .LBB6_19
; %bb.10:
	v_accvgpr_read_b32 v6, a36
	v_cmp_le_u32_e64 s[0:1], v0, v6
                                        ; implicit-def: $vgpr59
	s_and_saveexec_b64 s[4:5], s[0:1]
	s_xor_b64 s[0:1], exec, s[4:5]
	s_cbranch_execz .LBB6_16
; %bb.11:
	v_cndmask_b32_e64 v6, 0, 1, vcc
	v_sub_u32_e32 v6, v18, v6
	v_accvgpr_read_b32 v7, a36
	v_cmp_ge_u32_e32 vcc, v7, v6
                                        ; implicit-def: $sgpr6
	s_and_saveexec_b64 s[4:5], vcc
	s_xor_b64 s[4:5], exec, s[4:5]
; %bb.12:
	s_mov_b32 s6, 16
                                        ; implicit-def: $vgpr0
; %bb.13:
	s_or_saveexec_b64 s[4:5], s[4:5]
	v_mov_b32_e32 v59, s6
	s_xor_b64 exec, exec, s[4:5]
; %bb.14:
	v_sub_u32_e32 v0, v18, v0
	v_accvgpr_read_b32 v6, a36
	v_cmp_ge_i32_e32 vcc, v6, v0
	s_nop 1
	v_cndmask_b32_e64 v0, 0, 1, vcc
	v_lshlrev_b32_e32 v59, 5, v0
; %bb.15:
	s_or_b64 exec, exec, s[4:5]
.LBB6_16:
	s_andn2_saveexec_b64 s[0:1], s[0:1]
; %bb.17:
	v_mov_b32_e32 v59, 8
; %bb.18:
	s_or_b64 exec, exec, s[0:1]
.LBB6_19:
	s_or_b64 exec, exec, s[2:3]
	v_and_b32_e32 v0, 36, v59
	v_cmp_ne_u32_e32 vcc, 0, v0
	v_mov_b32_e32 v8, -1
	s_and_saveexec_b64 s[0:1], vcc
	s_cbranch_execz .LBB6_21
; %bb.20:
	s_trap 2
	ds_read_b32 v8, v0
.LBB6_21:
	s_or_b64 exec, exec, s[0:1]
	v_and_b32_e32 v0, 24, v59
	v_cmp_ne_u32_e64 s[0:1], 0, v0
	s_and_saveexec_b64 s[2:3], s[0:1]
	s_cbranch_execz .LBB6_23
; %bb.22:
	s_trap 2
	s_waitcnt lgkmcnt(0)
	ds_read_b32 v8, v0
.LBB6_23:
	s_or_b64 exec, exec, s[2:3]
	s_waitcnt vmcnt(0)
	v_lshrrev_b64 v[4:5], 31, v[4:5]
	v_mov_b64_e32 v[24:25], 0
	v_and_b32_e32 v0, 3, v4
	v_mov_b64_e32 v[48:49], v[24:25]
                                        ; implicit-def: $agpr8_agpr9
                                        ; implicit-def: $vgpr56
                                        ; implicit-def: $vgpr20_vgpr21
                                        ; implicit-def: $vgpr46_vgpr47
                                        ; implicit-def: $vgpr32_vgpr33
                                        ; implicit-def: $vgpr22_vgpr23
	s_and_saveexec_b64 s[0:1], vcc
	s_cbranch_execz .LBB6_33
; %bb.24:
	s_trap 2
	ds_read_b64 v[4:5], v0
	s_waitcnt lgkmcnt(1)
	v_ashrrev_i32_e32 v9, 31, v8
	v_and_b32_e32 v6, 0xffff, v0
	s_movk_i32 s2, 0xa8
                                        ; implicit-def: $agpr8_agpr9
	s_waitcnt lgkmcnt(0)
	v_lshl_add_u64 v[4:5], v[8:9], 3, v[4:5]
	flat_load_dwordx2 v[4:5], v[4:5]
	s_waitcnt vmcnt(0) lgkmcnt(0)
	v_mad_u64_u32 v[4:5], s[2:3], v6, s2, v[4:5]
	flat_load_dword v6, v[4:5] offset:640
	s_mov_b64 s[2:3], 0x1f8
	v_lshl_add_u64 v[24:25], v[4:5], 0, s[2:3]
	s_waitcnt vmcnt(0) lgkmcnt(0)
	v_cmp_eq_u32_e32 vcc, 1, v6
	s_and_saveexec_b64 s[2:3], vcc
	s_cbranch_execz .LBB6_26
; %bb.25:
	flat_load_dwordx2 v[6:7], v[24:25] offset:144
	v_or_b32_e32 v59, 0x2000, v59
	s_waitcnt vmcnt(0) lgkmcnt(0)
	flat_load_dwordx2 v[4:5], v[6:7]
	s_trap 2
	v_accvgpr_write_b32 a9, v7
	v_accvgpr_write_b32 a8, v6
	s_waitcnt vmcnt(0) lgkmcnt(0)
	ds_write_b64 v0, v[4:5]
	flat_load_dwordx2 v[4:5], v[6:7] offset:8
	s_waitcnt vmcnt(0) lgkmcnt(0)
	ds_write_b64 v0, v[4:5]
	flat_load_dwordx2 v[4:5], v[6:7] offset:16
	s_waitcnt vmcnt(0) lgkmcnt(0)
	ds_write_b64 v0, v[4:5]
.LBB6_26:
	s_or_b64 exec, exec, s[2:3]
	flat_load_dwordx2 v[4:5], v[24:25] offset:104
	v_and_b32_e32 v6, 32, v59
	v_cmp_ne_u32_e32 vcc, 0, v6
                                        ; implicit-def: $vgpr22_vgpr23
	s_waitcnt vmcnt(0) lgkmcnt(0)
	v_lshl_add_u64 v[20:21], v[4:5], 0, 3
	v_and_b32_e32 v20, -4, v20
	s_and_saveexec_b64 s[2:3], vcc
	s_cbranch_execz .LBB6_28
; %bb.27:
	flat_load_dwordx2 v[22:23], v[24:25] offset:56
	s_waitcnt vmcnt(0) lgkmcnt(0)
	flat_store_dwordx2 v[22:23], v[20:21] sc0 sc1
.LBB6_28:
	s_or_b64 exec, exec, s[2:3]
	v_and_b32_e32 v4, 4, v59
	v_cmp_ne_u32_e32 vcc, 0, v4
	v_mov_b64_e32 v[48:49], 0
                                        ; implicit-def: $vgpr56
                                        ; implicit-def: $vgpr46_vgpr47
                                        ; implicit-def: $vgpr32_vgpr33
	s_and_saveexec_b64 s[2:3], vcc
	s_cbranch_execz .LBB6_32
; %bb.29:
	v_and_b32_e32 v4, 0x800, v59
	v_cmp_eq_u32_e32 vcc, 0, v4
	s_and_saveexec_b64 s[4:5], vcc
	s_cbranch_execz .LBB6_31
; %bb.30:
	s_trap 2
	ds_write_b64 v0, v[24:25]
.LBB6_31:
	s_or_b64 exec, exec, s[4:5]
	flat_load_dwordx2 v[22:23], v[24:25] offset:48
	v_or_b32_e32 v5, 0x100, v59
	s_waitcnt vmcnt(0) lgkmcnt(0)
	flat_load_dwordx2 v[32:33], v[22:23] sc0 sc1
	flat_load_dword v4, v[24:25] offset:72
	flat_load_dwordx2 v[48:49], v[24:25] offset:96
	flat_load_dwordx2 v[46:47], v[24:25] offset:16
	s_waitcnt vmcnt(0) lgkmcnt(0)
	v_ashrrev_i32_e32 v56, 1, v4
	v_cmp_eq_u64_e32 vcc, 0, v[48:49]
	s_nop 1
	v_cndmask_b32_e32 v59, v5, v59, vcc
.LBB6_32:
	s_or_b64 exec, exec, s[2:3]
.LBB6_33:
	s_or_b64 exec, exec, s[0:1]
	v_and_b32_e32 v4, 24, v59
	v_cmp_ne_u32_e32 vcc, 0, v4
                                        ; implicit-def: $vgpr54_vgpr55
	s_and_saveexec_b64 s[0:1], vcc
	s_cbranch_execz .LBB6_41
; %bb.34:
	s_trap 2
	ds_read_b64 v[4:5], v0
	s_waitcnt lgkmcnt(0)
	v_ashrrev_i32_e32 v9, 31, v8
	v_and_b32_e32 v0, 0xffff, v0
	s_movk_i32 s2, 0xa8
                                        ; implicit-def: $vgpr54_vgpr55
	v_lshl_add_u64 v[4:5], v[8:9], 3, v[4:5]
	flat_load_dwordx2 v[4:5], v[4:5]
	s_waitcnt vmcnt(0) lgkmcnt(0)
	v_mad_u64_u32 v[24:25], s[2:3], v0, s2, v[4:5]
	flat_load_dwordx4 v[48:51], v[24:25] offset:96
	v_or_b32_e32 v0, 0x100, v59
	s_waitcnt vmcnt(0) lgkmcnt(0)
	v_cmp_eq_u64_e32 vcc, 0, v[48:49]
	s_nop 1
	v_cndmask_b32_e32 v59, v0, v59, vcc
	v_and_b32_e32 v0, 16, v59
	v_cmp_ne_u32_e32 vcc, 0, v0
	s_and_saveexec_b64 s[2:3], vcc
	s_cbranch_execz .LBB6_36
; %bb.35:
	flat_load_dwordx2 v[54:55], v[24:25] offset:120
	flat_load_dwordx2 v[22:23], v[24:25] offset:48
	;; [unrolled: 1-line block ×3, first 2 shown]
.LBB6_36:
	s_or_b64 exec, exec, s[2:3]
	v_lshl_add_u64 v[20:21], v[50:51], 0, 3
	v_and_b32_e32 v0, 8, v59
	v_and_b32_e32 v20, -4, v20
	v_cmp_ne_u32_e32 vcc, 0, v0
	s_and_saveexec_b64 s[2:3], vcc
	s_cbranch_execz .LBB6_40
; %bb.37:
	v_and_b32_e32 v0, 0x800, v59
	v_cmp_eq_u32_e32 vcc, 0, v0
	s_and_saveexec_b64 s[4:5], vcc
	s_cbranch_execz .LBB6_39
; %bb.38:
	s_trap 2
	ds_write_b64 v0, v[24:25]
.LBB6_39:
	s_or_b64 exec, exec, s[4:5]
	s_waitcnt vmcnt(0) lgkmcnt(0)
	flat_load_dwordx2 v[22:23], v[24:25] offset:56
	s_waitcnt vmcnt(0) lgkmcnt(0)
	flat_load_dwordx2 v[32:33], v[22:23] sc0 sc1
	flat_load_dword v0, v[24:25] offset:72
	flat_load_dwordx2 v[46:47], v[24:25] offset:16
	s_waitcnt vmcnt(0) lgkmcnt(0)
	v_ashrrev_i32_e32 v56, 1, v0
.LBB6_40:
	s_or_b64 exec, exec, s[2:3]
.LBB6_41:
	s_or_b64 exec, exec, s[0:1]
	v_accvgpr_read_b32 v0, a36
	v_cmp_eq_u32_e64 s[0:1], 0, v0
	s_and_saveexec_b64 s[2:3], s[0:1]
	s_cbranch_execz .LBB6_43
; %bb.42:
	flat_load_dwordx2 v[4:5], v[2:3] offset:32
	v_mov_b32_e32 v6, v12
	v_mov_b32_e32 v7, v13
	s_waitcnt lgkmcnt(0)
	v_mov_b32_e32 v8, v10
	v_mov_b32_e32 v9, v11
	ds_write2_b64 v0, v[6:7], v[8:9] offset1:1
	s_trap 2
	s_waitcnt vmcnt(0)
	ds_write_b64 v0, v[4:5]
	ds_write_b64 v0, v[16:17]
.LBB6_43:
	s_or_b64 exec, exec, s[2:3]
	v_accvgpr_read_b32 v4, a6
	v_accvgpr_read_b32 v5, a7
	s_mov_b64 s[36:37], 0
	v_cmp_lt_i64_e32 vcc, 0, v[4:5]
	v_mov_b64_e32 v[12:13], 0
	s_and_saveexec_b64 s[34:35], vcc
	s_cbranch_execz .LBB6_1212
; %bb.44:
	flat_load_dword v0, v[2:3] offset:4
	s_ashr_i32 s15, s14, 31
	s_lshr_b32 s15, s15, 29
	s_add_i32 s20, s14, s15
	s_ashr_i32 s73, s72, 31
	s_ashr_i32 s21, s20, 4
	s_add_u32 s44, s72, -1
	s_addc_u32 s45, s73, -1
	s_add_i32 s75, s72, s72
	s_not_b32 s22, s72
	v_accvgpr_read_b32 v16, a36
	s_cmp_gt_i32 s72, 0
	s_waitcnt lgkmcnt(0)
	v_lshlrev_b32_e32 v8, 4, v16
	s_cselect_b32 s22, s22, -1
	s_ashr_i32 s20, s20, 31
	v_and_b32_e32 v2, 0x1fffff00, v14
	v_ashrrev_i32_e32 v5, 31, v16
	v_ashrrev_i32_e32 v9, 31, v8
	s_lshr_b32 s20, s20, 28
	v_and_b32_e32 v4, 63, v31
	v_accvgpr_write_b32 a2, v15
	v_cmp_ne_u32_sdwa s[38:39], v15, v18 src0_sel:WORD_0 src1_sel:DWORD
	v_lshrrev_b32_e32 v34, 6, v18
	v_mov_b32_e32 v6, 0xfffff800
	v_mad_i64_i32 v[14:15], s[12:13], v2, s72, 0
	v_lshrrev_b32_e32 v5, 26, v5
	v_accvgpr_write_b32 a21, v9
	s_add_i32 s76, s22, s75
	s_add_i32 s21, s21, s20
	v_cmp_eq_u32_e64 s[12:13], 0, v4
	v_lshl_add_u32 v4, v34, 11, v6
	v_accvgpr_write_b32 a20, v8
	v_add_u32_e32 v8, v16, v5
	s_ashr_i32 s77, s76, 31
	s_ashr_i32 s78, s21, 4
	s_mov_b64 s[16:17], 0x800
	v_mov_b32_e32 v7, 0xfffffe00
	v_ashrrev_i32_e32 v5, 31, v4
	v_ashrrev_i32_e32 v58, 6, v8
	v_and_b32_e32 v8, 0xffffffc0, v8
	s_cmp_gt_i32 s72, 2
	v_lshl_add_u32 v6, v34, 9, v7
	v_lshl_add_u64 v[26:27], v[4:5], 0, s[16:17]
	v_sub_u32_e32 v5, v16, v8
	v_lshlrev_b32_e32 v4, 11, v58
	s_cselect_b64 s[46:47], -1, 0
	s_add_i32 s22, s72, 1
	s_mov_b64 s[18:19], 0x200
	v_lshlrev_b32_e32 v62, 10, v34
	v_lshlrev_b32_e32 v57, 7, v34
	v_ashrrev_i32_e32 v7, 31, v6
	v_lshl_add_u32 v4, v5, 4, v4
	v_mov_b32_e32 v3, 0
	v_add_u32_e32 v50, 0xfffffc00, v62
	v_add_u32_e32 v52, 0xffffff80, v57
	v_lshl_add_u64 v[40:41], v[6:7], 0, s[18:19]
	v_cmp_gt_i32_e64 s[14:15], 1, v5
	v_cmp_lt_i32_e64 s[16:17], v5, v1
	v_accvgpr_write_b32 a32, v5
	v_cmp_le_i32_e64 s[18:19], v5, v1
	v_ashrrev_i32_e32 v5, 31, v4
	v_accvgpr_write_b32 a10, v24
	v_cmp_ge_i32_e32 vcc, v16, v18
	v_ashrrev_i32_e32 v39, 31, v56
	s_mov_b64 s[40:41], 0x400
	s_mov_b64 s[42:43], 0x80
	v_mov_b64_e32 v[10:11], 0
	v_ashrrev_i32_e32 v51, 31, v50
	v_ashrrev_i32_e32 v53, 31, v52
	v_sub_u32_e32 v61, 0, v58
	v_accvgpr_write_b32 a35, v5
	v_accvgpr_write_b32 a39, v3
	;; [unrolled: 1-line block ×3, first 2 shown]
	s_waitcnt vmcnt(0)
	v_accvgpr_write_b32 a16, v46
	v_accvgpr_write_b32 a18, v54
	v_accvgpr_write_b32 a25, v15
	v_accvgpr_write_b32 a28, v52
	v_accvgpr_write_b32 a11, v25
	v_accvgpr_write_b32 a1, v31
	v_and_b32_e32 v0, 1, v0
	v_cmp_eq_u32_e64 s[20:21], 1, v0
	s_xor_b64 s[48:49], s[20:21], -1
	s_cmp_le_i32 s72, s22
	s_cselect_b32 s23, s72, 0
	s_sub_i32 s80, s22, s23
	v_accvgpr_read_b32 v0, a6
	v_cmp_eq_u32_e64 s[2:3], 64, v18
	v_cmp_ne_u32_e64 s[4:5], 64, v18
	v_accvgpr_write_b32 a0, v18
	s_movk_i32 s74, 0xff80
	v_cmp_eq_u64_e64 s[6:7], 0, v[54:55]
	v_cmp_ne_u64_e64 s[10:11], 0, v[54:55]
	v_mov_b32_e32 v35, v3
	v_lshl_add_u64 v[42:43], v[50:51], 0, s[40:41]
	v_lshl_add_u64 v[44:45], v[52:53], 0, s[42:43]
	v_accvgpr_write_b32 a34, v4
	s_add_i32 s79, s72, -2
	s_xor_b64 s[50:51], vcc, -1
	s_ashr_i32 s81, s80, 31
	s_movk_i32 s82, 0x270e
	v_mov_b32_e32 v38, 1
	s_movk_i32 s83, 0x108
	s_mov_b64 s[52:53], 0x180
	v_accvgpr_write_b32 a38, v2
	v_mov_b64_e32 v[12:13], v[10:11]
	v_accvgpr_mov_b32 a3, a36
	v_accvgpr_read_b32 v1, a7
	v_accvgpr_write_b32 a13, v49
	v_accvgpr_write_b32 a17, v47
	;; [unrolled: 1-line block ×9, first 2 shown]
	s_trap 2
	s_branch .LBB6_47
.LBB6_45:                               ;   in Loop: Header=BB6_47 Depth=1
	s_or_b64 exec, exec, s[26:27]
.LBB6_46:                               ;   in Loop: Header=BB6_47 Depth=1
	s_or_b64 exec, exec, s[24:25]
	v_accvgpr_read_b32 v10, a22
	s_waitcnt lgkmcnt(0)
	v_accvgpr_read_b32 v14, a24
	v_accvgpr_read_b32 v11, a23
	;; [unrolled: 1-line block ×4, first 2 shown]
	v_lshl_add_u64 v[10:11], v[10:11], 0, v[14:15]
	v_accvgpr_read_b32 v1, a7
	v_cmp_ge_i64_e32 vcc, v[10:11], v[0:1]
	s_or_b64 s[36:37], vcc, s[36:37]
	s_andn2_b64 exec, exec, s[36:37]
	s_cbranch_execz .LBB6_1211
.LBB6_47:                               ; =>This Loop Header: Depth=1
                                        ;     Child Loop BB6_57 Depth 2
                                        ;       Child Loop BB6_65 Depth 3
                                        ;       Child Loop BB6_89 Depth 3
	;; [unrolled: 1-line block ×9, first 2 shown]
                                        ;     Child Loop BB6_199 Depth 2
                                        ;       Child Loop BB6_205 Depth 3
                                        ;       Child Loop BB6_234 Depth 3
	;; [unrolled: 1-line block ×3, first 2 shown]
                                        ;     Child Loop BB6_271 Depth 2
                                        ;       Child Loop BB6_274 Depth 3
                                        ;         Child Loop BB6_282 Depth 4
                                        ;         Child Loop BB6_308 Depth 4
	;; [unrolled: 1-line block ×9, first 2 shown]
                                        ;       Child Loop BB6_418 Depth 3
                                        ;         Child Loop BB6_424 Depth 4
                                        ;         Child Loop BB6_462 Depth 4
	;; [unrolled: 1-line block ×3, first 2 shown]
                                        ;     Child Loop BB6_491 Depth 2
                                        ;       Child Loop BB6_499 Depth 3
                                        ;       Child Loop BB6_525 Depth 3
                                        ;       Child Loop BB6_544 Depth 3
                                        ;       Child Loop BB6_618 Depth 3
                                        ;       Child Loop BB6_623 Depth 3
                                        ;       Child Loop BB6_631 Depth 3
                                        ;       Child Loop BB6_636 Depth 3
                                        ;       Child Loop BB6_579 Depth 3
                                        ;         Child Loop BB6_580 Depth 4
                                        ;       Child Loop BB6_586 Depth 3
                                        ;         Child Loop BB6_587 Depth 4
                                        ;       Child Loop BB6_596 Depth 3
                                        ;       Child Loop BB6_601 Depth 3
                                        ;         Child Loop BB6_602 Depth 4
                                        ;       Child Loop BB6_572 Depth 3
                                        ;       Child Loop BB6_653 Depth 3
                                        ;     Child Loop BB6_671 Depth 2
                                        ;       Child Loop BB6_677 Depth 3
                                        ;       Child Loop BB6_707 Depth 3
	;; [unrolled: 1-line block ×3, first 2 shown]
                                        ;     Child Loop BB6_745 Depth 2
                                        ;       Child Loop BB6_748 Depth 3
                                        ;         Child Loop BB6_756 Depth 4
                                        ;         Child Loop BB6_782 Depth 4
	;; [unrolled: 1-line block ×8, first 2 shown]
                                        ;           Child Loop BB6_837 Depth 5
                                        ;         Child Loop BB6_843 Depth 4
                                        ;           Child Loop BB6_844 Depth 5
                                        ;         Child Loop BB6_853 Depth 4
                                        ;         Child Loop BB6_858 Depth 4
                                        ;           Child Loop BB6_859 Depth 5
                                        ;         Child Loop BB6_829 Depth 4
                                        ;         Child Loop BB6_910 Depth 4
                                        ;       Child Loop BB6_928 Depth 3
                                        ;         Child Loop BB6_934 Depth 4
                                        ;         Child Loop BB6_964 Depth 4
	;; [unrolled: 1-line block ×3, first 2 shown]
                                        ;     Child Loop BB6_1005 Depth 2
                                        ;       Child Loop BB6_1013 Depth 3
                                        ;       Child Loop BB6_1037 Depth 3
	;; [unrolled: 1-line block ×9, first 2 shown]
                                        ;     Child Loop BB6_1145 Depth 2
                                        ;       Child Loop BB6_1151 Depth 3
                                        ;       Child Loop BB6_1175 Depth 3
	;; [unrolled: 1-line block ×3, first 2 shown]
	v_sub_co_u32_e32 v0, vcc, v0, v10
	s_nop 1
	v_subb_co_u32_e32 v1, vcc, v1, v11, vcc
	v_accvgpr_write_b32 a41, v1
	v_accvgpr_write_b32 a40, v0
	v_cmp_lt_i64_e32 vcc, v[0:1], v[14:15]
	s_mov_b64 s[24:25], exec
	v_accvgpr_write_b32 a23, v11
	s_and_b64 s[22:23], s[24:25], vcc
	v_accvgpr_write_b32 a22, v10
	s_mov_b64 exec, s[22:23]
	s_cbranch_execz .LBB6_53
; %bb.48:                               ;   in Loop: Header=BB6_47 Depth=1
	v_accvgpr_read_b32 v0, a40
	v_accvgpr_read_b32 v1, a41
	v_lshl_add_u64 v[4:5], s[44:45], 0, v[0:1]
	v_or_b32_e32 v1, s73, v5
	v_mov_b32_e32 v0, v3
	v_cmp_ne_u64_e32 vcc, 0, v[0:1]
                                        ; implicit-def: $vgpr8_vgpr9
	s_and_saveexec_b64 s[22:23], vcc
	s_xor_b64 s[26:27], exec, s[22:23]
	s_cbranch_execz .LBB6_50
; %bb.49:                               ;   in Loop: Header=BB6_47 Depth=1
	s_add_u32 s22, s72, s73
	s_mov_b32 s28, s73
	s_mov_b32 s29, s73
	s_addc_u32 s23, s73, s73
	s_xor_b64 s[54:55], s[22:23], s[28:29]
	v_cvt_f32_u32_e32 v0, s54
	v_cvt_f32_u32_e32 v1, s55
	s_sub_u32 s22, 0, s54
	s_subb_u32 s23, 0, s55
	v_fmac_f32_e32 v0, 0x4f800000, v1
	v_rcp_f32_e32 v0, v0
	s_nop 0
	v_mul_f32_e32 v0, 0x5f7ffffc, v0
	v_mul_f32_e32 v1, 0x2f800000, v0
	v_trunc_f32_e32 v1, v1
	v_fmac_f32_e32 v0, 0xcf800000, v1
	v_cvt_u32_f32_e32 v6, v1
	v_cvt_u32_f32_e32 v7, v0
	v_mul_lo_u32 v0, s22, v6
	v_mul_hi_u32 v2, s22, v7
	v_mul_lo_u32 v1, s23, v7
	v_add_u32_e32 v0, v2, v0
	v_mul_lo_u32 v8, s22, v7
	v_add_u32_e32 v9, v0, v1
	v_mul_hi_u32 v1, v7, v9
	v_mul_lo_u32 v0, v7, v9
	v_mul_hi_u32 v2, v7, v8
	v_lshl_add_u64 v[0:1], v[2:3], 0, v[0:1]
	v_mul_hi_u32 v2, v6, v8
	v_mul_lo_u32 v8, v6, v8
	v_add_co_u32_e32 v0, vcc, v0, v8
	v_mul_hi_u32 v10, v6, v9
	s_nop 0
	v_addc_co_u32_e32 v2, vcc, v1, v2, vcc
	v_mul_lo_u32 v0, v6, v9
	s_nop 0
	v_addc_co_u32_e32 v1, vcc, 0, v10, vcc
	v_lshl_add_u64 v[0:1], v[2:3], 0, v[0:1]
	v_add_co_u32_e32 v7, vcc, v7, v0
	v_mul_lo_u32 v2, s22, v7
	s_nop 0
	v_addc_co_u32_e32 v6, vcc, v6, v1, vcc
	v_mul_lo_u32 v0, s22, v6
	v_mul_hi_u32 v1, s22, v7
	v_add_u32_e32 v0, v1, v0
	v_mul_lo_u32 v1, s23, v7
	v_add_u32_e32 v8, v0, v1
	v_mul_hi_u32 v10, v6, v2
	v_mul_lo_u32 v11, v6, v2
	v_mul_hi_u32 v1, v7, v8
	v_mul_lo_u32 v0, v7, v8
	v_mul_hi_u32 v2, v7, v2
	v_lshl_add_u64 v[0:1], v[2:3], 0, v[0:1]
	v_add_co_u32_e32 v0, vcc, v0, v11
	v_mul_hi_u32 v9, v6, v8
	s_nop 0
	v_addc_co_u32_e32 v2, vcc, v1, v10, vcc
	v_mul_lo_u32 v0, v6, v8
	s_nop 0
	v_addc_co_u32_e32 v1, vcc, 0, v9, vcc
	v_lshl_add_u64 v[0:1], v[2:3], 0, v[0:1]
	v_ashrrev_i32_e32 v8, 31, v5
	v_add_co_u32_e32 v7, vcc, v7, v0
	v_mov_b32_e32 v9, v8
	s_nop 0
	v_addc_co_u32_e32 v6, vcc, v6, v1, vcc
	v_lshl_add_u64 v[0:1], v[4:5], 0, v[8:9]
	v_xor_b32_e32 v10, v0, v8
	v_xor_b32_e32 v9, v1, v8
	v_mad_u64_u32 v[0:1], s[22:23], v10, v6, 0
	v_mul_hi_u32 v2, v10, v7
	v_lshl_add_u64 v[0:1], v[2:3], 0, v[0:1]
	v_mad_u64_u32 v[4:5], s[22:23], v9, v6, 0
	v_mad_u64_u32 v[6:7], s[22:23], v9, v7, 0
	v_add_co_u32_e32 v0, vcc, v0, v6
	s_nop 1
	v_addc_co_u32_e32 v2, vcc, v1, v7, vcc
	s_nop 1
	v_addc_co_u32_e32 v5, vcc, 0, v5, vcc
	v_lshl_add_u64 v[0:1], v[2:3], 0, v[4:5]
	v_mul_lo_u32 v2, s55, v0
	v_mul_lo_u32 v6, s54, v1
	v_mad_u64_u32 v[4:5], s[22:23], s54, v0, 0
	v_add3_u32 v2, v5, v6, v2
	v_sub_u32_e32 v5, v9, v2
	v_mov_b32_e32 v6, s55
	v_sub_co_u32_e32 v10, vcc, v10, v4
	s_nop 1
	v_subb_co_u32_e64 v4, s[22:23], v5, v6, vcc
	v_subrev_co_u32_e64 v5, s[22:23], s54, v10
	v_subb_co_u32_e32 v2, vcc, v9, v2, vcc
	s_nop 0
	v_subbrev_co_u32_e64 v4, s[22:23], 0, v4, s[22:23]
	v_cmp_le_u32_e64 s[22:23], s55, v4
	v_cmp_le_u32_e32 vcc, s55, v2
	s_nop 0
	v_cndmask_b32_e64 v6, 0, -1, s[22:23]
	v_cmp_le_u32_e64 s[22:23], s54, v5
	s_nop 1
	v_cndmask_b32_e64 v5, 0, -1, s[22:23]
	v_cmp_eq_u32_e64 s[22:23], s55, v4
	s_nop 1
	v_cndmask_b32_e64 v11, v6, v5, s[22:23]
	v_lshl_add_u64 v[4:5], v[0:1], 0, 2
	v_lshl_add_u64 v[6:7], v[0:1], 0, 1
	v_cmp_ne_u32_e64 s[22:23], 0, v11
	s_nop 1
	v_cndmask_b32_e64 v5, v7, v5, s[22:23]
	v_cndmask_b32_e64 v7, 0, -1, vcc
	v_cmp_le_u32_e32 vcc, s54, v10
	s_nop 1
	v_cndmask_b32_e64 v9, 0, -1, vcc
	v_cmp_eq_u32_e32 vcc, s55, v2
	s_nop 1
	v_cndmask_b32_e32 v2, v7, v9, vcc
	v_cmp_ne_u32_e32 vcc, 0, v2
	v_cndmask_b32_e64 v2, v6, v4, s[22:23]
	v_xor_b32_e32 v4, s28, v8
	v_cndmask_b32_e32 v0, v0, v2, vcc
	v_cndmask_b32_e32 v1, v1, v5, vcc
	v_xor_b32_e32 v2, s29, v8
	v_xor_b32_e32 v0, v0, v4
	;; [unrolled: 1-line block ×3, first 2 shown]
	v_sub_co_u32_e32 v8, vcc, v0, v4
                                        ; implicit-def: $vgpr4_vgpr5
	s_nop 1
	v_subb_co_u32_e32 v9, vcc, v1, v2, vcc
.LBB6_50:                               ;   in Loop: Header=BB6_47 Depth=1
	s_andn2_saveexec_b64 s[22:23], s[26:27]
	s_cbranch_execz .LBB6_52
; %bb.51:                               ;   in Loop: Header=BB6_47 Depth=1
	v_cvt_f32_u32_e32 v0, s72
	s_sub_i32 s26, 0, s72
	v_rcp_iflag_f32_e32 v0, v0
	s_nop 0
	v_mul_f32_e32 v0, 0x4f7ffffe, v0
	v_cvt_u32_f32_e32 v0, v0
	v_mul_lo_u32 v1, s26, v0
	v_mul_hi_u32 v1, v0, v1
	v_add_u32_e32 v0, v0, v1
	v_mul_hi_u32 v0, v4, v0
	v_mul_lo_u32 v1, v0, s72
	v_sub_u32_e32 v1, v4, v1
	v_add_u32_e32 v2, 1, v0
	v_subrev_u32_e32 v4, s72, v1
	v_cmp_le_u32_e32 vcc, s72, v1
	s_nop 1
	v_cndmask_b32_e32 v1, v1, v4, vcc
	v_cndmask_b32_e32 v0, v0, v2, vcc
	v_add_u32_e32 v2, 1, v0
	v_cmp_le_u32_e32 vcc, s72, v1
	s_nop 1
	v_cndmask_b32_e32 v2, v0, v2, vcc
	v_mov_b64_e32 v[8:9], v[2:3]
.LBB6_52:                               ;   in Loop: Header=BB6_47 Depth=1
	s_or_b64 exec, exec, s[22:23]
	v_lshl_add_u64 v[0:1], v[8:9], 0, 7
	v_and_b32_e32 v0, -8, v0
	v_accvgpr_write_b32 a39, v1
	v_accvgpr_write_b32 a38, v0
.LBB6_53:                               ;   in Loop: Header=BB6_47 Depth=1
	s_or_b64 exec, exec, s[24:25]
	v_accvgpr_read_b32 v6, a38
	v_accvgpr_read_b32 v7, a39
	v_mul_lo_u32 v0, v7, s76
	v_mul_lo_u32 v1, v6, s77
	v_mad_u64_u32 v[16:17], s[22:23], v6, s76, 0
	v_add3_u32 v17, v17, v1, v0
	v_accvgpr_read_b32 v0, a4
	v_accvgpr_read_b32 v4, a22
	v_accvgpr_read_b32 v1, a5
	v_accvgpr_read_b32 v5, a23
	v_lshl_add_u64 v[0:1], v[4:5], 0, v[0:1]
	v_accvgpr_write_b32 a43, v1
	v_accvgpr_write_b32 a42, v0
	v_accvgpr_read_b32 v0, a40
	v_accvgpr_read_b32 v1, a41
	v_sub_co_u32_e32 v0, vcc, v0, v16
	v_accvgpr_write_b32 a31, v27
	s_nop 0
	v_subb_co_u32_e32 v1, vcc, v1, v17, vcc
	v_cmp_lt_i64_e32 vcc, v[6:7], v[0:1]
	v_accvgpr_write_b32 a30, v26
	v_mov_b32_e32 v10, 0
	v_cndmask_b32_e32 v0, v0, v6, vcc
	v_max_i32_e32 v30, 0, v0
	v_add_u32_e32 v1, 31, v30
	v_ashrrev_i32_e32 v2, 31, v1
	v_lshrrev_b32_e32 v2, 27, v2
	v_add_u32_e32 v1, v1, v2
	v_ashrrev_i32_e32 v1, 5, v1
	v_lshlrev_b32_e32 v1, 4, v1
	v_cmp_lt_i32_e32 vcc, 0, v0
	v_max_i32_e32 v8, s78, v1
	s_and_b64 s[22:23], s[50:51], vcc
	v_mov_b32_e32 v0, 0
	s_and_saveexec_b64 s[24:25], s[22:23]
	s_cbranch_execz .LBB6_195
; %bb.54:                               ;   in Loop: Header=BB6_47 Depth=1
	s_mov_b32 s70, 1
	s_mov_b64 s[28:29], -1
	s_mov_b64 s[26:27], 0
	v_mov_b32_e32 v10, 0
	s_branch .LBB6_57
.LBB6_55:                               ;   in Loop: Header=BB6_57 Depth=2
	s_or_b64 exec, exec, vcc
	v_lshl_add_u64 v[20:21], v[20:21], 0, 2
	flat_store_dwordx2 v[22:23], v[20:21] sc0 sc1
.LBB6_56:                               ;   in Loop: Header=BB6_57 Depth=2
	s_or_b64 exec, exec, s[22:23]
	v_add_u32_e32 v10, v8, v10
	v_cmp_ge_i32_e32 vcc, v10, v30
	s_xor_b64 s[22:23], s[28:29], -1
	s_or_b64 s[22:23], s[22:23], vcc
	s_and_b64 s[22:23], exec, s[22:23]
	s_or_b64 s[26:27], s[22:23], s[26:27]
	s_mov_b64 s[28:29], 0
	v_mov_b32_e32 v0, s70
	s_mov_b32 s70, 2
	s_andn2_b64 exec, exec, s[26:27]
	s_cbranch_execz .LBB6_194
.LBB6_57:                               ;   Parent Loop BB6_47 Depth=1
                                        ; =>  This Loop Header: Depth=2
                                        ;       Child Loop BB6_65 Depth 3
                                        ;       Child Loop BB6_89 Depth 3
	;; [unrolled: 1-line block ×9, first 2 shown]
	s_and_saveexec_b64 s[22:23], s[0:1]
	s_cbranch_execz .LBB6_59
; %bb.58:                               ;   in Loop: Header=BB6_57 Depth=2
	s_trap 2
	ds_read_b64 v[0:1], v0
	v_accvgpr_read_b32 v4, a42
	v_accvgpr_read_b32 v5, a43
	v_ashrrev_i32_e32 v11, 31, v10
	v_mov_b32_e32 v2, v3
	s_waitcnt lgkmcnt(0)
	v_lshl_add_u64 v[0:1], v[4:5], 1, v[0:1]
	v_lshl_add_u64 v[0:1], v[16:17], 1, v[0:1]
	;; [unrolled: 1-line block ×3, first 2 shown]
	ds_write_b64 v0, v[0:1]
	ds_write_b64 v0, v[2:3]
.LBB6_59:                               ;   in Loop: Header=BB6_57 Depth=2
	s_or_b64 exec, exec, s[22:23]
	v_and_b32_e32 v0, 8, v59
	v_cmp_ne_u32_e32 vcc, 0, v0
	s_mov_b64 s[54:55], -1
	s_and_saveexec_b64 s[22:23], vcc
	s_cbranch_execz .LBB6_71
; %bb.60:                               ;   in Loop: Header=BB6_57 Depth=2
	v_lshl_add_u64 v[0:1], v[32:33], 0, 8
	v_lshl_add_u64 v[4:5], v[20:21], 0, 2
	v_cmp_lt_u64_e32 vcc, v[0:1], v[4:5]
	v_mov_b32_e32 v0, 1
	s_and_saveexec_b64 s[54:55], vcc
	s_cbranch_execz .LBB6_70
; %bb.61:                               ;   in Loop: Header=BB6_57 Depth=2
	s_mov_b64 s[56:57], 0
	v_mov_b32_e32 v0, 0
                                        ; implicit-def: $sgpr58_sgpr59
	s_branch .LBB6_65
.LBB6_62:                               ;   in Loop: Header=BB6_65 Depth=3
	s_or_b64 exec, exec, s[66:67]
	v_mov_b32_e32 v1, 0
	s_orn2_b64 s[64:65], s[64:65], exec
.LBB6_63:                               ;   in Loop: Header=BB6_65 Depth=3
	s_or_b64 exec, exec, s[62:63]
	s_andn2_b64 vcc, s[58:59], exec
	s_and_b64 s[58:59], s[64:65], exec
	s_or_b64 s[58:59], vcc, s[58:59]
	v_mov_b32_e32 v0, v1
.LBB6_64:                               ;   in Loop: Header=BB6_65 Depth=3
	s_or_b64 exec, exec, s[60:61]
	s_waitcnt vmcnt(0) lgkmcnt(0)
	v_lshl_add_u64 v[6:7], v[32:33], 0, 8
	v_cmp_ge_u64_e32 vcc, v[6:7], v[4:5]
	s_xor_b64 s[60:61], s[58:59], -1
	s_or_b64 vcc, s[60:61], vcc
	s_and_b64 vcc, exec, vcc
	s_or_b64 s[56:57], vcc, s[56:57]
	s_andn2_b64 exec, exec, s[56:57]
	s_cbranch_execz .LBB6_69
.LBB6_65:                               ;   Parent Loop BB6_47 Depth=1
                                        ;     Parent Loop BB6_57 Depth=2
                                        ; =>    This Inner Loop Header: Depth=3
	s_sleep 1
	flat_load_dwordx2 v[32:33], v[22:23] sc0 sc1
	v_and_b32_e32 v1, 64, v59
	v_cmp_eq_u32_e32 vcc, 0, v1
	s_andn2_b64 s[58:59], s[58:59], exec
	s_and_saveexec_b64 s[60:61], vcc
	s_cbranch_execz .LBB6_64
; %bb.66:                               ;   in Loop: Header=BB6_65 Depth=3
	v_add_u32_e32 v1, 1, v0
	v_cmp_lt_i32_e32 vcc, s82, v0
	s_mov_b64 s[64:65], -1
	s_and_saveexec_b64 s[62:63], vcc
	s_cbranch_execz .LBB6_63
; %bb.67:                               ;   in Loop: Header=BB6_65 Depth=3
	s_trap 2
	ds_read_b64 v[0:1], v0
	s_waitcnt vmcnt(0) lgkmcnt(0)
	flat_load_dword v0, v[0:1] sc0 sc1
	s_waitcnt vmcnt(0) lgkmcnt(0)
	buffer_inv sc0 sc1
	v_cmp_ne_u32_e32 vcc, 0, v0
	s_and_saveexec_b64 s[66:67], vcc
	s_cbranch_execz .LBB6_62
; %bb.68:                               ;   in Loop: Header=BB6_65 Depth=3
	v_or_b32_e32 v59, 64, v59
	s_xor_b64 s[64:65], exec, -1
	ds_write_b32 v0, v0
	s_trap 2
	s_branch .LBB6_62
.LBB6_69:                               ;   in Loop: Header=BB6_57 Depth=2
	s_or_b64 exec, exec, s[56:57]
	v_and_b32_e32 v0, 8, v59
.LBB6_70:                               ;   in Loop: Header=BB6_57 Depth=2
	s_or_b64 exec, exec, s[54:55]
	v_cmp_eq_u32_e32 vcc, 0, v0
	s_orn2_b64 s[54:55], vcc, exec
	;;#ASMSTART
	s_wakeup
	;;#ASMEND
.LBB6_71:                               ;   in Loop: Header=BB6_57 Depth=2
	s_or_b64 exec, exec, s[22:23]
	v_sub_u32_e32 v0, v30, v10
	s_xor_b64 s[22:23], s[54:55], -1
	v_min_i32_e32 v8, v8, v0
	s_and_saveexec_b64 s[54:55], s[22:23]
	s_cbranch_execz .LBB6_81
; %bb.72:                               ;   in Loop: Header=BB6_57 Depth=2
	v_and_b32_e32 v0, 0x100, v59
	v_cmp_ne_u32_e32 vcc, 0, v0
	v_and_b32_e32 v0, 7, v20
	s_mov_b64 s[22:23], -1
                                        ; implicit-def: $vgpr4_vgpr5
	s_and_saveexec_b64 s[56:57], vcc
	s_cbranch_execz .LBB6_76
; %bb.73:                               ;   in Loop: Header=BB6_57 Depth=2
	v_mad_u64_u32 v[14:15], s[22:23], v0, 24, v[48:49]
	flat_load_dword v1, v[14:15]
	v_ashrrev_i32_e32 v9, 31, v8
	v_lshlrev_b64 v[4:5], 1, v[8:9]
	flat_store_dwordx2 v[14:15], v[4:5] offset:8
                                        ; implicit-def: $vgpr4_vgpr5
	s_waitcnt vmcnt(0) lgkmcnt(0)
	v_cmp_ne_u32_e32 vcc, 1, v1
	v_cmp_eq_u32_e64 s[22:23], 1, v1
	s_and_saveexec_b64 s[58:59], s[22:23]
	s_cbranch_execz .LBB6_75
; %bb.74:                               ;   in Loop: Header=BB6_57 Depth=2
	flat_load_dword v4, v[14:15] offset:4 sc0 sc1
	s_waitcnt vmcnt(0) lgkmcnt(0)
	v_ashrrev_i32_e32 v5, 31, v4
	v_lshrrev_b64 v[4:5], 1, v[4:5]
.LBB6_75:                               ;   in Loop: Header=BB6_57 Depth=2
	s_or_b64 exec, exec, s[58:59]
	s_orn2_b64 s[22:23], vcc, exec
.LBB6_76:                               ;   in Loop: Header=BB6_57 Depth=2
	s_or_b64 exec, exec, s[56:57]
	s_and_saveexec_b64 vcc, s[22:23]
; %bb.77:                               ;   in Loop: Header=BB6_57 Depth=2
	v_mad_i64_i32 v[4:5], s[22:23], v0, v56, 0
; %bb.78:                               ;   in Loop: Header=BB6_57 Depth=2
	s_or_b64 exec, exec, vcc
	v_lshl_add_u64 v[0:1], v[4:5], 1, v[46:47]
	ds_write_b64 v0, v[0:1] offset:784
	v_and_b32_e32 v0, 0x2000, v59
	v_cmp_ne_u32_e32 vcc, 0, v0
	s_and_saveexec_b64 s[22:23], vcc
	s_cbranch_execz .LBB6_80
; %bb.79:                               ;   in Loop: Header=BB6_57 Depth=2
	ds_read_b64 v[0:1], v0 offset:584
	s_waitcnt lgkmcnt(0)
	v_lshl_add_u64 v[0:1], v[0:1], 0, 1
	ds_write_b64 v0, v[0:1] offset:584
.LBB6_80:                               ;   in Loop: Header=BB6_57 Depth=2
	s_or_b64 exec, exec, s[22:23]
	v_lshl_add_u64 v[20:21], v[20:21], 0, 2
.LBB6_81:                               ;   in Loop: Header=BB6_57 Depth=2
	s_or_b64 exec, exec, s[54:55]
	s_and_saveexec_b64 s[22:23], s[4:5]
	s_cbranch_execz .LBB6_100
; %bb.82:                               ;   in Loop: Header=BB6_57 Depth=2
	s_and_saveexec_b64 vcc, s[38:39]
	s_xor_b64 s[54:55], exec, vcc
	s_cbranch_execz .LBB6_97
; %bb.83:                               ;   in Loop: Header=BB6_57 Depth=2
	s_and_saveexec_b64 s[56:57], s[12:13]
	s_cbranch_execz .LBB6_96
; %bb.84:                               ;   in Loop: Header=BB6_57 Depth=2
	s_mov_b64 s[60:61], exec
	v_mbcnt_lo_u32_b32 v0, s60, 0
	v_mbcnt_hi_u32_b32 v0, s61, v0
	v_cmp_eq_u32_e32 vcc, 0, v0
	s_waitcnt lgkmcnt(0)
	s_and_saveexec_b64 s[58:59], vcc
	s_cbranch_execz .LBB6_86
; %bb.85:                               ;   in Loop: Header=BB6_57 Depth=2
	s_bcnt1_i32_b64 vcc_lo, s[60:61]
	v_mov_b32_e32 v2, vcc_lo
	ds_add_u64 v0, v[2:3]
	s_trap 2
.LBB6_86:                               ;   in Loop: Header=BB6_57 Depth=2
	s_or_b64 exec, exec, s[58:59]
	s_trap 2
	ds_read_b64 v[0:1], v0
	v_lshl_add_u64 v[12:13], v[12:13], 0, v[34:35]
	s_waitcnt lgkmcnt(0)
	v_cmp_lt_u64_e32 vcc, v[0:1], v[12:13]
	s_and_saveexec_b64 s[58:59], vcc
	s_cbranch_execz .LBB6_95
; %bb.87:                               ;   in Loop: Header=BB6_57 Depth=2
	s_mov_b32 s71, 0
	s_mov_b64 s[60:61], 0
                                        ; implicit-def: $sgpr62_sgpr63
                                        ; implicit-def: $sgpr64_sgpr65
	s_branch .LBB6_89
.LBB6_88:                               ;   in Loop: Header=BB6_89 Depth=3
	s_or_b64 exec, exec, s[68:69]
	s_and_b64 vcc, exec, vcc
	s_or_b64 s[60:61], vcc, s[60:61]
	s_andn2_b64 vcc, s[62:63], exec
	s_and_b64 s[62:63], s[64:65], exec
	s_or_b64 s[62:63], vcc, s[62:63]
	s_andn2_b64 exec, exec, s[60:61]
	s_cbranch_execz .LBB6_93
.LBB6_89:                               ;   Parent Loop BB6_47 Depth=1
                                        ;     Parent Loop BB6_57 Depth=2
                                        ; =>    This Inner Loop Header: Depth=3
	s_add_i32 s71, s71, 1
	s_cmpk_lg_i32 s71, 0x2710
	s_cselect_b64 s[66:67], -1, 0
	s_and_b64 vcc, exec, s[66:67]
                                        ; implicit-def: $sgpr68_sgpr69
	s_cbranch_vccnz .LBB6_91
; %bb.90:                               ;   in Loop: Header=BB6_89 Depth=3
	s_trap 2
	ds_read_b64 v[0:1], v0
	s_andn2_b64 s[66:67], s[66:67], exec
	s_mov_b32 s71, 0
	s_mov_b64 s[68:69], -1
	s_waitcnt lgkmcnt(0)
	flat_load_dword v0, v[0:1] sc0 sc1
	s_waitcnt vmcnt(0) lgkmcnt(0)
	buffer_inv sc0 sc1
	v_cmp_eq_u32_e32 vcc, 0, v0
	s_and_b64 vcc, vcc, exec
	s_or_b64 s[66:67], s[66:67], vcc
.LBB6_91:                               ;   in Loop: Header=BB6_89 Depth=3
	s_andn2_b64 s[64:65], s[64:65], exec
	s_and_b64 s[68:69], s[68:69], exec
	s_mov_b64 vcc, -1
	s_or_b64 s[64:65], s[64:65], s[68:69]
	s_and_saveexec_b64 s[68:69], s[66:67]
	s_cbranch_execz .LBB6_88
; %bb.92:                               ;   in Loop: Header=BB6_89 Depth=3
	s_sleep 1
	s_trap 2
	ds_read_b64 v[0:1], v0
	s_andn2_b64 s[64:65], s[64:65], exec
	s_waitcnt lgkmcnt(0)
	v_cmp_ge_u64_e32 vcc, v[0:1], v[12:13]
	s_orn2_b64 vcc, vcc, exec
	s_branch .LBB6_88
.LBB6_93:                               ;   in Loop: Header=BB6_57 Depth=2
	s_or_b64 exec, exec, s[60:61]
	s_and_saveexec_b64 vcc, s[62:63]
	s_xor_b64 vcc, exec, vcc
	s_cbranch_execz .LBB6_95
; %bb.94:                               ;   in Loop: Header=BB6_57 Depth=2
	ds_write_b32 v0, v38
	s_trap 2
.LBB6_95:                               ;   in Loop: Header=BB6_57 Depth=2
	s_or_b64 exec, exec, s[58:59]
	;;#ASMSTART
	s_wakeup
	;;#ASMEND
.LBB6_96:                               ;   in Loop: Header=BB6_57 Depth=2
	s_or_b64 exec, exec, s[56:57]
.LBB6_97:                               ;   in Loop: Header=BB6_57 Depth=2
	s_andn2_saveexec_b64 vcc, s[54:55]
	s_cbranch_execz .LBB6_99
; %bb.98:                               ;   in Loop: Header=BB6_57 Depth=2
	s_waitcnt lgkmcnt(0)
	s_barrier
.LBB6_99:                               ;   in Loop: Header=BB6_57 Depth=2
	s_or_b64 exec, exec, vcc
.LBB6_100:                              ;   in Loop: Header=BB6_57 Depth=2
	s_or_b64 exec, exec, s[22:23]
	s_trap 2
	ds_read_b32 v4, v0
	v_and_b32_e32 v0, 0x4000, v59
	v_cmp_ne_u32_e32 vcc, 0, v0
	s_xor_b64 s[22:23], s[2:3], -1
	s_and_b64 vcc, s[22:23], vcc
	s_and_saveexec_b64 s[22:23], vcc
	s_cbranch_execz .LBB6_119
; %bb.101:                              ;   in Loop: Header=BB6_57 Depth=2
	s_and_saveexec_b64 vcc, s[38:39]
	s_xor_b64 s[54:55], exec, vcc
	s_cbranch_execz .LBB6_116
; %bb.102:                              ;   in Loop: Header=BB6_57 Depth=2
	s_and_saveexec_b64 s[56:57], s[12:13]
	s_cbranch_execz .LBB6_115
; %bb.103:                              ;   in Loop: Header=BB6_57 Depth=2
	s_mov_b64 s[60:61], exec
	v_mbcnt_lo_u32_b32 v0, s60, 0
	v_mbcnt_hi_u32_b32 v0, s61, v0
	v_cmp_eq_u32_e32 vcc, 0, v0
	s_waitcnt lgkmcnt(0)
	s_and_saveexec_b64 s[58:59], vcc
	s_cbranch_execz .LBB6_105
; %bb.104:                              ;   in Loop: Header=BB6_57 Depth=2
	s_bcnt1_i32_b64 vcc_lo, s[60:61]
	v_mov_b32_e32 v2, vcc_lo
	ds_add_u64 v0, v[2:3]
	s_trap 2
.LBB6_105:                              ;   in Loop: Header=BB6_57 Depth=2
	s_or_b64 exec, exec, s[58:59]
	s_trap 2
	ds_read_b64 v[0:1], v0
	v_lshl_add_u64 v[12:13], v[12:13], 0, v[34:35]
	s_waitcnt lgkmcnt(0)
	v_cmp_lt_u64_e32 vcc, v[0:1], v[12:13]
	s_and_saveexec_b64 s[58:59], vcc
	s_cbranch_execz .LBB6_114
; %bb.106:                              ;   in Loop: Header=BB6_57 Depth=2
	s_mov_b32 s71, 0
	s_mov_b64 s[60:61], 0
                                        ; implicit-def: $sgpr62_sgpr63
                                        ; implicit-def: $sgpr64_sgpr65
	s_branch .LBB6_108
.LBB6_107:                              ;   in Loop: Header=BB6_108 Depth=3
	s_or_b64 exec, exec, s[68:69]
	s_and_b64 vcc, exec, vcc
	s_or_b64 s[60:61], vcc, s[60:61]
	s_andn2_b64 vcc, s[62:63], exec
	s_and_b64 s[62:63], s[64:65], exec
	s_or_b64 s[62:63], vcc, s[62:63]
	s_andn2_b64 exec, exec, s[60:61]
	s_cbranch_execz .LBB6_112
.LBB6_108:                              ;   Parent Loop BB6_47 Depth=1
                                        ;     Parent Loop BB6_57 Depth=2
                                        ; =>    This Inner Loop Header: Depth=3
	s_add_i32 s71, s71, 1
	s_cmpk_lg_i32 s71, 0x2710
	s_cselect_b64 s[66:67], -1, 0
	s_and_b64 vcc, exec, s[66:67]
                                        ; implicit-def: $sgpr68_sgpr69
	s_cbranch_vccnz .LBB6_110
; %bb.109:                              ;   in Loop: Header=BB6_108 Depth=3
	s_trap 2
	ds_read_b64 v[0:1], v0
	s_andn2_b64 s[66:67], s[66:67], exec
	s_mov_b32 s71, 0
	s_mov_b64 s[68:69], -1
	s_waitcnt lgkmcnt(0)
	flat_load_dword v0, v[0:1] sc0 sc1
	s_waitcnt vmcnt(0) lgkmcnt(0)
	buffer_inv sc0 sc1
	v_cmp_eq_u32_e32 vcc, 0, v0
	s_and_b64 vcc, vcc, exec
	s_or_b64 s[66:67], s[66:67], vcc
.LBB6_110:                              ;   in Loop: Header=BB6_108 Depth=3
	s_andn2_b64 s[64:65], s[64:65], exec
	s_and_b64 s[68:69], s[68:69], exec
	s_mov_b64 vcc, -1
	s_or_b64 s[64:65], s[64:65], s[68:69]
	s_and_saveexec_b64 s[68:69], s[66:67]
	s_cbranch_execz .LBB6_107
; %bb.111:                              ;   in Loop: Header=BB6_108 Depth=3
	s_sleep 1
	s_trap 2
	ds_read_b64 v[0:1], v0
	s_andn2_b64 s[64:65], s[64:65], exec
	s_waitcnt lgkmcnt(0)
	v_cmp_ge_u64_e32 vcc, v[0:1], v[12:13]
	s_orn2_b64 vcc, vcc, exec
	s_branch .LBB6_107
.LBB6_112:                              ;   in Loop: Header=BB6_57 Depth=2
	s_or_b64 exec, exec, s[60:61]
	s_and_saveexec_b64 vcc, s[62:63]
	s_xor_b64 vcc, exec, vcc
	s_cbranch_execz .LBB6_114
; %bb.113:                              ;   in Loop: Header=BB6_57 Depth=2
	ds_write_b32 v0, v38
	s_trap 2
.LBB6_114:                              ;   in Loop: Header=BB6_57 Depth=2
	s_or_b64 exec, exec, s[58:59]
	;;#ASMSTART
	s_wakeup
	;;#ASMEND
.LBB6_115:                              ;   in Loop: Header=BB6_57 Depth=2
	s_or_b64 exec, exec, s[56:57]
.LBB6_116:                              ;   in Loop: Header=BB6_57 Depth=2
	s_andn2_saveexec_b64 vcc, s[54:55]
	s_cbranch_execz .LBB6_118
; %bb.117:                              ;   in Loop: Header=BB6_57 Depth=2
	s_waitcnt lgkmcnt(0)
	s_barrier
.LBB6_118:                              ;   in Loop: Header=BB6_57 Depth=2
	s_or_b64 exec, exec, vcc
.LBB6_119:                              ;   in Loop: Header=BB6_57 Depth=2
	s_or_b64 exec, exec, s[22:23]
	s_trap 2
	ds_read_b64 v[0:1], v0
	v_mov_b32_e32 v9, 0
	s_waitcnt lgkmcnt(0)
	v_readfirstlane_b32 s22, v0
	v_readfirstlane_b32 s23, v1
	s_cmp_eq_u64 s[22:23], 0
	s_cselect_b64 s[22:23], -1, 0
	s_or_b64 s[22:23], s[22:23], s[22:23]
	s_and_b64 vcc, exec, s[22:23]
	s_cbranch_vccnz .LBB6_140
; %bb.120:                              ;   in Loop: Header=BB6_57 Depth=2
	s_mov_b64 s[22:23], -1
	s_and_saveexec_b64 s[54:55], s[14:15]
	s_cbranch_execz .LBB6_122
; %bb.121:                              ;   in Loop: Header=BB6_57 Depth=2
	ds_read_b32 v0, v0 offset:720
	s_waitcnt lgkmcnt(0)
	v_and_b32_e32 v0, 15, v0
	v_cmp_eq_u32_e32 vcc, 0, v0
	s_orn2_b64 s[22:23], vcc, exec
.LBB6_122:                              ;   in Loop: Header=BB6_57 Depth=2
	s_or_b64 exec, exec, s[54:55]
	s_and_saveexec_b64 s[54:55], s[16:17]
	s_cbranch_execz .LBB6_124
; %bb.123:                              ;   in Loop: Header=BB6_57 Depth=2
	ds_read_b32 v0, v0 offset:784
	s_waitcnt lgkmcnt(0)
	v_and_b32_e32 v0, 15, v0
	v_cmp_eq_u32_e32 vcc, 0, v0
	s_and_b64 vcc, s[22:23], vcc
	s_andn2_b64 s[22:23], s[22:23], exec
	s_and_b64 vcc, vcc, exec
	s_or_b64 s[22:23], s[22:23], vcc
.LBB6_124:                              ;   in Loop: Header=BB6_57 Depth=2
	s_or_b64 exec, exec, s[54:55]
	v_cmp_eq_u32_e32 vcc, 0, v4
	s_xor_b64 s[22:23], s[22:23], -1
	v_cndmask_b32_e64 v1, 0, 1, s[22:23]
	v_cndmask_b32_e32 v9, 0, v8, vcc
	v_mov_b32_e32 v0, 0
	v_lshlrev_b32_e32 v2, 1, v9
	s_mov_b64 s[56:57], -1
	;;#ASMSTART
	;;#ASMEND
	s_nop 0
	v_cmp_ne_u32_e32 vcc, 0, v1
	s_cbranch_vccz .LBB6_141
; %bb.125:                              ;   in Loop: Header=BB6_57 Depth=2
	v_accvgpr_read_b32 v1, a36
	v_mov_b32_e32 v14, v58
	s_and_saveexec_b64 s[22:23], s[56:57]
	s_cbranch_execz .LBB6_154
.LBB6_126:                              ;   in Loop: Header=BB6_57 Depth=2
	v_ashrrev_i32_e32 v4, 31, v2
	v_lshrrev_b32_e32 v4, 23, v4
	v_add_u32_e32 v4, v2, v4
	v_ashrrev_i32_e32 v31, 9, v4
	v_sub_u32_e32 v11, v31, v14
	v_ashrrev_i32_e32 v4, 31, v1
	v_cmp_lt_i32_e32 vcc, 0, v11
	v_lshrrev_b32_e32 v25, 26, v4
	s_and_saveexec_b64 s[54:55], vcc
	s_cbranch_execz .LBB6_130
; %bb.127:                              ;   in Loop: Header=BB6_57 Depth=2
	s_trap 2
	ds_read_b64 v[4:5], v0
	v_add_u32_e32 v6, v1, v25
	v_and_b32_e32 v6, 0x7fffffc0, v6
	v_sub_u32_e32 v6, v1, v6
	v_lshlrev_b32_e32 v6, 1, v6
	v_lshlrev_b32_e32 v7, 9, v14
	v_add3_u32 v14, v6, v0, v7
	v_ashrrev_i32_e32 v15, 31, v14
	s_mov_b64 s[56:57], 0
	s_waitcnt lgkmcnt(0)
	v_mov_b64_e32 v[18:19], v[4:5]
.LBB6_128:                              ;   Parent Loop BB6_47 Depth=1
                                        ;     Parent Loop BB6_57 Depth=2
                                        ; =>    This Inner Loop Header: Depth=3
	v_lshl_add_u64 v[6:7], v[14:15], 0, v[18:19]
	flat_load_ushort v24, v[6:7] nt
	flat_load_ushort v26, v[6:7] offset:128 nt
	flat_load_ushort v27, v[6:7] offset:256 nt
	flat_load_ushort v28, v[6:7] offset:384 nt
	v_sub_u32_e32 v11, v11, v34
	v_cmp_gt_i32_e32 vcc, 1, v11
	v_lshl_add_u64 v[6:7], v[14:15], 0, v[4:5]
	v_lshl_add_u64 v[18:19], v[18:19], 0, v[40:41]
	;; [unrolled: 1-line block ×3, first 2 shown]
	s_or_b64 s[56:57], vcc, s[56:57]
	s_waitcnt vmcnt(0) lgkmcnt(0)
	flat_store_short v[6:7], v24 nt
	flat_store_short v[6:7], v26 offset:128 nt
	flat_store_short v[6:7], v27 offset:256 nt
	;; [unrolled: 1-line block ×3, first 2 shown]
	s_andn2_b64 exec, exec, s[56:57]
	s_cbranch_execnz .LBB6_128
; %bb.129:                              ;   in Loop: Header=BB6_57 Depth=2
	s_or_b64 exec, exec, s[56:57]
.LBB6_130:                              ;   in Loop: Header=BB6_57 Depth=2
	s_or_b64 exec, exec, s[54:55]
	v_lshlrev_b32_e32 v4, 9, v31
	v_cmp_ne_u32_e32 vcc, v2, v4
	s_and_saveexec_b64 s[54:55], vcc
	s_cbranch_execz .LBB6_134
; %bb.131:                              ;   in Loop: Header=BB6_57 Depth=2
	v_add_u32_e32 v5, v1, v25
	v_and_b32_e32 v5, 0xffffffc0, v5
	v_sub_u32_e32 v1, v1, v5
	v_lshlrev_b32_e32 v5, 6, v11
	v_sub_u32_e32 v1, v1, v5
	v_ashrrev_i32_e32 v5, 31, v1
	v_lshrrev_b32_e32 v5, 26, v5
	v_add_u32_e32 v5, v1, v5
	v_and_b32_e32 v6, 0x7fffffc0, v5
	v_sub_u32_e32 v1, v1, v6
	v_lshlrev_b32_e32 v5, 1, v5
	v_and_b32_e32 v5, 0xffffff80, v5
	v_lshlrev_b32_e32 v1, 1, v1
	v_add3_u32 v11, v5, v1, v4
	v_sub_u32_e32 v1, v2, v11
	v_cmp_lt_i32_e32 vcc, 1, v1
	s_and_b64 exec, exec, vcc
	s_cbranch_execz .LBB6_134
; %bb.132:                              ;   in Loop: Header=BB6_57 Depth=2
	s_trap 2
	ds_read_b64 v[4:5], v0
	v_add_u32_e32 v14, v11, v0
	v_ashrrev_i32_e32 v15, 31, v14
	s_mov_b64 s[56:57], 0
.LBB6_133:                              ;   Parent Loop BB6_47 Depth=1
                                        ;     Parent Loop BB6_57 Depth=2
                                        ; =>    This Inner Loop Header: Depth=3
	s_waitcnt lgkmcnt(0)
	v_lshl_add_u64 v[6:7], v[4:5], 0, v[14:15]
	flat_load_ushort v0, v[6:7] nt
	v_sub_u32_e32 v1, v1, v57
	v_cmp_gt_i32_e32 vcc, 2, v1
	v_lshl_add_u64 v[14:15], v[14:15], 0, v[44:45]
	s_or_b64 s[56:57], vcc, s[56:57]
	s_waitcnt vmcnt(0) lgkmcnt(0)
	flat_store_short v[6:7], v0 nt
	s_andn2_b64 exec, exec, s[56:57]
	s_cbranch_execnz .LBB6_133
.LBB6_134:                              ;   in Loop: Header=BB6_57 Depth=2
	s_or_b64 exec, exec, s[54:55]
	s_or_b64 exec, exec, s[22:23]
	s_and_saveexec_b64 s[22:23], s[4:5]
	s_cbranch_execnz .LBB6_155
.LBB6_135:                              ;   in Loop: Header=BB6_57 Depth=2
	s_or_b64 exec, exec, s[22:23]
                                        ; implicit-def: $vgpr0
	s_and_saveexec_b64 s[22:23], s[20:21]
	s_xor_b64 s[54:55], exec, s[22:23]
	s_cbranch_execz .LBB6_173
.LBB6_136:                              ;   in Loop: Header=BB6_57 Depth=2
	v_and_b32_e32 v1, 16, v59
	v_cmp_lt_i32_e32 vcc, 0, v9
	v_cmp_ne_u32_e64 s[22:23], 0, v1
	v_and_b32_e32 v0, 16, v59
	s_and_b64 vcc, s[22:23], vcc
	s_and_saveexec_b64 s[22:23], vcc
	s_cbranch_execz .LBB6_138
; %bb.137:                              ;   in Loop: Header=BB6_57 Depth=2
	v_mov_b32_e32 v0, 1
	buffer_wbl2 sc1
	s_waitcnt vmcnt(0) lgkmcnt(0)
	buffer_inv sc1
.LBB6_138:                              ;   in Loop: Header=BB6_57 Depth=2
	s_or_b64 exec, exec, s[22:23]
	s_andn2_saveexec_b64 s[22:23], s[54:55]
	s_cbranch_execnz .LBB6_174
.LBB6_139:                              ;   in Loop: Header=BB6_57 Depth=2
	s_or_b64 exec, exec, s[22:23]
	v_cmp_ne_u32_e32 vcc, 0, v0
	s_and_saveexec_b64 s[22:23], vcc
	s_cbranch_execz .LBB6_56
	s_branch .LBB6_192
.LBB6_140:                              ;   in Loop: Header=BB6_57 Depth=2
	s_and_saveexec_b64 s[22:23], s[4:5]
	s_cbranch_execnz .LBB6_155
	s_branch .LBB6_135
.LBB6_141:                              ;   in Loop: Header=BB6_57 Depth=2
	v_ashrrev_i32_e32 v0, 31, v2
	v_lshrrev_b32_e32 v0, 21, v0
	v_add_u32_e32 v0, v2, v0
	v_ashrrev_i32_e32 v0, 11, v0
	v_sub_u32_e32 v18, v0, v58
	v_cmp_lt_i32_e32 vcc, 0, v18
	s_and_saveexec_b64 s[22:23], vcc
	s_cbranch_execz .LBB6_145
; %bb.142:                              ;   in Loop: Header=BB6_57 Depth=2
	s_trap 2
	ds_read_b64 v[4:5], v0
	v_accvgpr_read_b32 v14, a34
	v_accvgpr_read_b32 v24, a30
	s_mov_b64 s[54:55], 0
	v_accvgpr_read_b32 v15, a35
	v_accvgpr_read_b32 v25, a31
.LBB6_143:                              ;   Parent Loop BB6_47 Depth=1
                                        ;     Parent Loop BB6_57 Depth=2
                                        ; =>    This Inner Loop Header: Depth=3
	s_waitcnt lgkmcnt(0)
	v_lshl_add_u64 v[6:7], v[4:5], 0, v[14:15]
	global_load_dwordx4 v[46:49], v[6:7], off nt
	global_load_dwordx4 v[52:55], v[6:7], off offset:1024 nt
	v_sub_u32_e32 v18, v18, v34
	v_cmp_gt_i32_e32 vcc, 1, v18
	v_lshl_add_u64 v[14:15], v[14:15], 0, v[24:25]
	s_or_b64 s[54:55], vcc, s[54:55]
	s_waitcnt vmcnt(0)
	global_store_dwordx4 v[6:7], v[46:49], off nt
	s_waitcnt vmcnt(1)
	global_store_dwordx4 v[6:7], v[52:55], off offset:1024 nt
	s_andn2_b64 exec, exec, s[54:55]
	s_cbranch_execnz .LBB6_143
; %bb.144:                              ;   in Loop: Header=BB6_57 Depth=2
	s_or_b64 exec, exec, s[54:55]
	v_accvgpr_read_b32 v49, a13
	v_accvgpr_read_b32 v47, a17
	;; [unrolled: 1-line block ×8, first 2 shown]
.LBB6_145:                              ;   in Loop: Header=BB6_57 Depth=2
	s_or_b64 exec, exec, s[22:23]
	v_lshlrev_b32_e32 v11, 11, v0
	v_cmp_ne_u32_e32 vcc, v2, v11
	s_mov_b64 s[56:57], 0
	v_mov_b32_e32 v0, 0
                                        ; implicit-def: $vgpr1
                                        ; implicit-def: $vgpr14
	s_and_saveexec_b64 s[54:55], vcc
	s_cbranch_execz .LBB6_153
; %bb.146:                              ;   in Loop: Header=BB6_57 Depth=2
	v_lshlrev_b32_e32 v0, 6, v18
	v_accvgpr_read_b32 v1, a32
	v_sub_u32_e32 v0, v1, v0
	v_sub_u32_e32 v4, v2, v11
	v_ashrrev_i32_e32 v1, 31, v0
	v_lshrrev_b32_e32 v1, 26, v1
	v_ashrrev_i32_e32 v6, 31, v4
	v_add_u32_e32 v1, v0, v1
	v_lshrrev_b32_e32 v6, 22, v6
	v_ashrrev_i32_e32 v5, 6, v1
	v_and_b32_e32 v1, 0xffffffc0, v1
	v_add_u32_e32 v6, v4, v6
	v_sub_u32_e32 v18, v0, v1
	v_and_b32_e32 v19, 0xfffffc00, v6
	v_lshlrev_b32_e32 v0, 4, v18
	v_sub_u32_e32 v31, v4, v19
	v_lshl_add_u32 v1, v5, 10, v0
	v_ashrrev_i32_e32 v7, 10, v6
	v_cmp_lt_i32_e32 vcc, 15, v31
	v_sub_u32_e32 v0, v4, v1
	s_nop 0
	v_addc_co_u32_e64 v4, s[22:23], 0, v7, vcc
	v_sub_u32_e32 v25, v4, v5
	v_cmp_lt_i32_e64 s[22:23], 15, v0
	s_and_saveexec_b64 s[56:57], s[22:23]
	s_cbranch_execz .LBB6_150
; %bb.147:                              ;   in Loop: Header=BB6_57 Depth=2
	s_trap 2
	ds_read_b64 v[4:5], v0
	v_add_u32_e32 v14, v1, v11
	v_ashrrev_i32_e32 v15, 31, v14
	s_mov_b64 s[58:59], 0
.LBB6_148:                              ;   Parent Loop BB6_47 Depth=1
                                        ;     Parent Loop BB6_57 Depth=2
                                        ; =>    This Inner Loop Header: Depth=3
	s_waitcnt lgkmcnt(0)
	v_lshl_add_u64 v[6:7], v[4:5], 0, v[14:15]
	global_load_dwordx4 v[52:55], v[6:7], off nt
	v_sub_u32_e32 v0, v0, v62
	v_cmp_gt_i32_e64 s[22:23], 16, v0
	v_sub_u32_e32 v25, v25, v34
	v_lshl_add_u64 v[14:15], v[14:15], 0, v[42:43]
	s_or_b64 s[58:59], s[22:23], s[58:59]
	s_waitcnt vmcnt(0)
	global_store_dwordx4 v[6:7], v[52:55], off nt
	s_andn2_b64 exec, exec, s[58:59]
	s_cbranch_execnz .LBB6_148
; %bb.149:                              ;   in Loop: Header=BB6_57 Depth=2
	s_or_b64 exec, exec, s[58:59]
	v_accvgpr_read_b32 v55, a19
	v_accvgpr_read_b32 v53, a29
	;; [unrolled: 1-line block ×4, first 2 shown]
.LBB6_150:                              ;   in Loop: Header=BB6_57 Depth=2
	s_or_b64 exec, exec, s[56:57]
	v_and_b32_e32 v4, 14, v2
	v_cndmask_b32_e32 v2, v31, v4, vcc
	v_cmp_ne_u32_e64 s[22:23], 0, v2
	s_mov_b64 s[56:57], 0
	v_mov_b32_e32 v0, 0
                                        ; implicit-def: $vgpr1
                                        ; implicit-def: $vgpr14
	s_and_saveexec_b64 s[58:59], s[22:23]
	s_cbranch_execz .LBB6_152
; %bb.151:                              ;   in Loop: Header=BB6_57 Depth=2
	v_sub_u32_e32 v0, v31, v4
	v_cndmask_b32_e32 v0, 0, v0, vcc
	v_cmp_lt_i32_e32 vcc, 0, v25
	s_mov_b64 s[56:57], exec
	v_add3_u32 v0, v19, v11, v0
	v_cndmask_b32_e32 v1, 0, v34, vcc
	v_sub_u32_e32 v1, v1, v25
	v_lshl_add_u32 v1, v1, 6, v18
	v_ashrrev_i32_e32 v4, 31, v1
	v_lshrrev_b32_e32 v4, 26, v4
	v_add_u32_e32 v4, v1, v4
	v_ashrrev_i32_e32 v14, 6, v4
.LBB6_152:                              ;   in Loop: Header=BB6_57 Depth=2
	s_or_b64 exec, exec, s[58:59]
	s_and_b64 s[56:57], s[56:57], exec
.LBB6_153:                              ;   in Loop: Header=BB6_57 Depth=2
	s_or_b64 exec, exec, s[54:55]
	s_and_saveexec_b64 s[22:23], s[56:57]
	s_cbranch_execnz .LBB6_126
.LBB6_154:                              ;   in Loop: Header=BB6_57 Depth=2
	s_or_b64 exec, exec, s[22:23]
	s_and_saveexec_b64 s[22:23], s[4:5]
	s_cbranch_execz .LBB6_135
.LBB6_155:                              ;   in Loop: Header=BB6_57 Depth=2
	s_and_saveexec_b64 vcc, s[38:39]
	s_xor_b64 s[54:55], exec, vcc
	s_cbranch_execz .LBB6_170
; %bb.156:                              ;   in Loop: Header=BB6_57 Depth=2
	s_and_saveexec_b64 s[56:57], s[12:13]
	s_cbranch_execz .LBB6_169
; %bb.157:                              ;   in Loop: Header=BB6_57 Depth=2
	s_mov_b64 s[60:61], exec
	v_mbcnt_lo_u32_b32 v0, s60, 0
	v_mbcnt_hi_u32_b32 v0, s61, v0
	v_cmp_eq_u32_e32 vcc, 0, v0
	s_waitcnt lgkmcnt(0)
	s_and_saveexec_b64 s[58:59], vcc
	s_cbranch_execz .LBB6_159
; %bb.158:                              ;   in Loop: Header=BB6_57 Depth=2
	s_bcnt1_i32_b64 vcc_lo, s[60:61]
	v_mov_b32_e32 v2, vcc_lo
	ds_add_u64 v0, v[2:3]
	s_trap 2
.LBB6_159:                              ;   in Loop: Header=BB6_57 Depth=2
	s_or_b64 exec, exec, s[58:59]
	s_trap 2
	ds_read_b64 v[0:1], v0
	v_lshl_add_u64 v[12:13], v[12:13], 0, v[34:35]
	s_waitcnt lgkmcnt(0)
	v_cmp_lt_u64_e32 vcc, v[0:1], v[12:13]
	s_and_saveexec_b64 s[58:59], vcc
	s_cbranch_execz .LBB6_168
; %bb.160:                              ;   in Loop: Header=BB6_57 Depth=2
	s_mov_b32 s71, 0
	s_mov_b64 s[60:61], 0
                                        ; implicit-def: $sgpr62_sgpr63
                                        ; implicit-def: $sgpr64_sgpr65
	s_branch .LBB6_162
.LBB6_161:                              ;   in Loop: Header=BB6_162 Depth=3
	s_or_b64 exec, exec, s[68:69]
	s_and_b64 vcc, exec, vcc
	s_or_b64 s[60:61], vcc, s[60:61]
	s_andn2_b64 vcc, s[62:63], exec
	s_and_b64 s[62:63], s[64:65], exec
	s_or_b64 s[62:63], vcc, s[62:63]
	s_andn2_b64 exec, exec, s[60:61]
	s_cbranch_execz .LBB6_166
.LBB6_162:                              ;   Parent Loop BB6_47 Depth=1
                                        ;     Parent Loop BB6_57 Depth=2
                                        ; =>    This Inner Loop Header: Depth=3
	s_add_i32 s71, s71, 1
	s_cmpk_lg_i32 s71, 0x2710
	s_cselect_b64 s[66:67], -1, 0
	s_and_b64 vcc, exec, s[66:67]
                                        ; implicit-def: $sgpr68_sgpr69
	s_cbranch_vccnz .LBB6_164
; %bb.163:                              ;   in Loop: Header=BB6_162 Depth=3
	s_trap 2
	ds_read_b64 v[0:1], v0
	s_andn2_b64 s[66:67], s[66:67], exec
	s_mov_b32 s71, 0
	s_mov_b64 s[68:69], -1
	s_waitcnt vmcnt(0) lgkmcnt(0)
	flat_load_dword v0, v[0:1] sc0 sc1
	s_waitcnt vmcnt(0) lgkmcnt(0)
	buffer_inv sc0 sc1
	v_cmp_eq_u32_e32 vcc, 0, v0
	s_and_b64 vcc, vcc, exec
	s_or_b64 s[66:67], s[66:67], vcc
.LBB6_164:                              ;   in Loop: Header=BB6_162 Depth=3
	s_andn2_b64 s[64:65], s[64:65], exec
	s_and_b64 s[68:69], s[68:69], exec
	s_mov_b64 vcc, -1
	s_or_b64 s[64:65], s[64:65], s[68:69]
	s_and_saveexec_b64 s[68:69], s[66:67]
	s_cbranch_execz .LBB6_161
; %bb.165:                              ;   in Loop: Header=BB6_162 Depth=3
	s_sleep 1
	s_trap 2
	ds_read_b64 v[0:1], v0
	s_andn2_b64 s[64:65], s[64:65], exec
	s_waitcnt lgkmcnt(0)
	v_cmp_ge_u64_e32 vcc, v[0:1], v[12:13]
	s_orn2_b64 vcc, vcc, exec
	s_branch .LBB6_161
.LBB6_166:                              ;   in Loop: Header=BB6_57 Depth=2
	s_or_b64 exec, exec, s[60:61]
	s_and_saveexec_b64 vcc, s[62:63]
	s_xor_b64 vcc, exec, vcc
	s_cbranch_execz .LBB6_168
; %bb.167:                              ;   in Loop: Header=BB6_57 Depth=2
	ds_write_b32 v0, v38
	s_trap 2
.LBB6_168:                              ;   in Loop: Header=BB6_57 Depth=2
	s_or_b64 exec, exec, s[58:59]
	;;#ASMSTART
	s_wakeup
	;;#ASMEND
.LBB6_169:                              ;   in Loop: Header=BB6_57 Depth=2
	s_or_b64 exec, exec, s[56:57]
.LBB6_170:                              ;   in Loop: Header=BB6_57 Depth=2
	s_andn2_saveexec_b64 vcc, s[54:55]
	s_cbranch_execz .LBB6_172
; %bb.171:                              ;   in Loop: Header=BB6_57 Depth=2
	s_waitcnt lgkmcnt(0)
	s_barrier
.LBB6_172:                              ;   in Loop: Header=BB6_57 Depth=2
	s_or_b64 exec, exec, vcc
	s_or_b64 exec, exec, s[22:23]
                                        ; implicit-def: $vgpr0
	s_and_saveexec_b64 s[22:23], s[20:21]
	s_xor_b64 s[54:55], exec, s[22:23]
	s_cbranch_execnz .LBB6_136
.LBB6_173:                              ;   in Loop: Header=BB6_57 Depth=2
	s_andn2_saveexec_b64 s[22:23], s[54:55]
	s_cbranch_execz .LBB6_139
.LBB6_174:                              ;   in Loop: Header=BB6_57 Depth=2
	s_and_saveexec_b64 vcc, s[38:39]
	s_xor_b64 s[54:55], exec, vcc
	s_cbranch_execz .LBB6_189
; %bb.175:                              ;   in Loop: Header=BB6_57 Depth=2
	s_and_saveexec_b64 s[56:57], s[12:13]
	s_cbranch_execz .LBB6_188
; %bb.176:                              ;   in Loop: Header=BB6_57 Depth=2
	s_mov_b64 s[60:61], exec
	v_mbcnt_lo_u32_b32 v0, s60, 0
	v_mbcnt_hi_u32_b32 v0, s61, v0
	v_cmp_eq_u32_e32 vcc, 0, v0
	;;#ASMSTART
	s_waitcnt lgkmcnt(0) vmcnt(0)
	;;#ASMEND
	s_and_saveexec_b64 s[58:59], vcc
	s_cbranch_execz .LBB6_178
; %bb.177:                              ;   in Loop: Header=BB6_57 Depth=2
	s_bcnt1_i32_b64 vcc_lo, s[60:61]
	v_mov_b32_e32 v2, vcc_lo
	ds_add_u64 v0, v[2:3]
	s_trap 2
.LBB6_178:                              ;   in Loop: Header=BB6_57 Depth=2
	s_or_b64 exec, exec, s[58:59]
	s_trap 2
	ds_read_b64 v[0:1], v0
	v_lshl_add_u64 v[12:13], v[12:13], 0, v[34:35]
	s_waitcnt lgkmcnt(0)
	v_cmp_lt_u64_e32 vcc, v[0:1], v[12:13]
	s_and_saveexec_b64 s[58:59], vcc
	s_cbranch_execz .LBB6_187
; %bb.179:                              ;   in Loop: Header=BB6_57 Depth=2
	s_mov_b32 s71, 0
	s_mov_b64 s[60:61], 0
                                        ; implicit-def: $sgpr62_sgpr63
                                        ; implicit-def: $sgpr64_sgpr65
	s_branch .LBB6_181
.LBB6_180:                              ;   in Loop: Header=BB6_181 Depth=3
	s_or_b64 exec, exec, s[68:69]
	s_and_b64 vcc, exec, vcc
	s_or_b64 s[60:61], vcc, s[60:61]
	s_andn2_b64 vcc, s[62:63], exec
	s_and_b64 s[62:63], s[64:65], exec
	s_or_b64 s[62:63], vcc, s[62:63]
	s_andn2_b64 exec, exec, s[60:61]
	s_cbranch_execz .LBB6_185
.LBB6_181:                              ;   Parent Loop BB6_47 Depth=1
                                        ;     Parent Loop BB6_57 Depth=2
                                        ; =>    This Inner Loop Header: Depth=3
	s_add_i32 s71, s71, 1
	s_cmpk_lg_i32 s71, 0x2710
	s_cselect_b64 s[66:67], -1, 0
	s_and_b64 vcc, exec, s[66:67]
                                        ; implicit-def: $sgpr68_sgpr69
	s_cbranch_vccnz .LBB6_183
; %bb.182:                              ;   in Loop: Header=BB6_181 Depth=3
	s_trap 2
	ds_read_b64 v[0:1], v0
	s_andn2_b64 s[66:67], s[66:67], exec
	s_mov_b32 s71, 0
	s_mov_b64 s[68:69], -1
	s_waitcnt vmcnt(0) lgkmcnt(0)
	flat_load_dword v0, v[0:1] sc0 sc1
	s_waitcnt vmcnt(0) lgkmcnt(0)
	buffer_inv sc0 sc1
	v_cmp_eq_u32_e32 vcc, 0, v0
	s_and_b64 vcc, vcc, exec
	s_or_b64 s[66:67], s[66:67], vcc
.LBB6_183:                              ;   in Loop: Header=BB6_181 Depth=3
	s_andn2_b64 s[64:65], s[64:65], exec
	s_and_b64 s[68:69], s[68:69], exec
	s_mov_b64 vcc, -1
	s_or_b64 s[64:65], s[64:65], s[68:69]
	s_and_saveexec_b64 s[68:69], s[66:67]
	s_cbranch_execz .LBB6_180
; %bb.184:                              ;   in Loop: Header=BB6_181 Depth=3
	s_sleep 1
	s_trap 2
	ds_read_b64 v[0:1], v0
	s_andn2_b64 s[64:65], s[64:65], exec
	s_waitcnt lgkmcnt(0)
	v_cmp_ge_u64_e32 vcc, v[0:1], v[12:13]
	s_orn2_b64 vcc, vcc, exec
	s_branch .LBB6_180
.LBB6_185:                              ;   in Loop: Header=BB6_57 Depth=2
	s_or_b64 exec, exec, s[60:61]
	s_and_saveexec_b64 vcc, s[62:63]
	s_xor_b64 vcc, exec, vcc
	s_cbranch_execz .LBB6_187
; %bb.186:                              ;   in Loop: Header=BB6_57 Depth=2
	ds_write_b32 v0, v38
	s_trap 2
.LBB6_187:                              ;   in Loop: Header=BB6_57 Depth=2
	s_or_b64 exec, exec, s[58:59]
	;;#ASMSTART
	s_wakeup
	;;#ASMEND
.LBB6_188:                              ;   in Loop: Header=BB6_57 Depth=2
	s_or_b64 exec, exec, s[56:57]
.LBB6_189:                              ;   in Loop: Header=BB6_57 Depth=2
	s_andn2_saveexec_b64 vcc, s[54:55]
	s_cbranch_execz .LBB6_191
; %bb.190:                              ;   in Loop: Header=BB6_57 Depth=2
	;;#ASMSTART
	s_waitcnt lgkmcnt(0) vmcnt(0)
	;;#ASMEND
	s_barrier
.LBB6_191:                              ;   in Loop: Header=BB6_57 Depth=2
	s_or_b64 exec, exec, vcc
	v_and_b32_e32 v0, 16, v59
	s_or_b64 exec, exec, s[22:23]
	v_cmp_ne_u32_e32 vcc, 0, v0
	s_and_saveexec_b64 s[22:23], vcc
	s_cbranch_execz .LBB6_56
.LBB6_192:                              ;   in Loop: Header=BB6_57 Depth=2
	s_and_saveexec_b64 vcc, s[10:11]
	s_cbranch_execz .LBB6_55
; %bb.193:                              ;   in Loop: Header=BB6_57 Depth=2
	flat_store_dword v[54:55], v38 sc0 sc1
	s_branch .LBB6_55
.LBB6_194:                              ;   in Loop: Header=BB6_47 Depth=1
	s_or_b64 exec, exec, s[26:27]
.LBB6_195:                              ;   in Loop: Header=BB6_47 Depth=1
	s_or_b64 exec, exec, s[24:25]
	v_cmp_gt_i32_e32 vcc, 2, v0
	s_and_saveexec_b64 s[24:25], vcc
	s_cbranch_execz .LBB6_267
; %bb.196:                              ;   in Loop: Header=BB6_47 Depth=1
	v_cmp_eq_u32_e64 s[22:23], 0, v0
	s_mov_b64 s[26:27], 0
	s_branch .LBB6_199
.LBB6_197:                              ;   in Loop: Header=BB6_199 Depth=2
	s_or_b64 exec, exec, s[28:29]
	v_lshl_add_u64 v[20:21], v[20:21], 0, 2
	flat_store_dwordx2 v[22:23], v[20:21] sc0 sc1
.LBB6_198:                              ;   in Loop: Header=BB6_199 Depth=2
	s_or_b64 exec, exec, s[22:23]
	v_add_u32_e32 v10, v8, v10
	s_mov_b64 s[22:23], 0
	s_andn2_b64 exec, exec, s[26:27]
	s_cbranch_execz .LBB6_266
.LBB6_199:                              ;   Parent Loop BB6_47 Depth=1
                                        ; =>  This Loop Header: Depth=2
                                        ;       Child Loop BB6_205 Depth 3
                                        ;       Child Loop BB6_234 Depth 3
	;; [unrolled: 1-line block ×3, first 2 shown]
	v_and_b32_e32 v0, 8, v59
	s_mov_b64 s[54:55], -1
	v_cmp_ne_u32_e32 vcc, 0, v0
	s_and_saveexec_b64 s[28:29], vcc
	s_cbranch_execz .LBB6_211
; %bb.200:                              ;   in Loop: Header=BB6_199 Depth=2
	v_lshl_add_u64 v[0:1], v[32:33], 0, 8
	v_lshl_add_u64 v[4:5], v[20:21], 0, 2
	v_cmp_lt_u64_e32 vcc, v[0:1], v[4:5]
	v_mov_b32_e32 v0, 1
	s_and_saveexec_b64 s[54:55], vcc
	s_cbranch_execz .LBB6_210
; %bb.201:                              ;   in Loop: Header=BB6_199 Depth=2
	s_mov_b64 s[56:57], 0
	v_mov_b32_e32 v0, 0
                                        ; implicit-def: $sgpr58_sgpr59
	s_branch .LBB6_205
.LBB6_202:                              ;   in Loop: Header=BB6_205 Depth=3
	s_or_b64 exec, exec, s[66:67]
	v_mov_b32_e32 v1, 0
	s_orn2_b64 s[64:65], s[64:65], exec
.LBB6_203:                              ;   in Loop: Header=BB6_205 Depth=3
	s_or_b64 exec, exec, s[62:63]
	s_andn2_b64 vcc, s[58:59], exec
	s_and_b64 s[58:59], s[64:65], exec
	s_or_b64 s[58:59], vcc, s[58:59]
	v_mov_b32_e32 v0, v1
.LBB6_204:                              ;   in Loop: Header=BB6_205 Depth=3
	s_or_b64 exec, exec, s[60:61]
	s_waitcnt vmcnt(0) lgkmcnt(0)
	v_lshl_add_u64 v[6:7], v[32:33], 0, 8
	v_cmp_ge_u64_e32 vcc, v[6:7], v[4:5]
	s_xor_b64 s[60:61], s[58:59], -1
	s_or_b64 vcc, s[60:61], vcc
	s_and_b64 vcc, exec, vcc
	s_or_b64 s[56:57], vcc, s[56:57]
	s_andn2_b64 exec, exec, s[56:57]
	s_cbranch_execz .LBB6_209
.LBB6_205:                              ;   Parent Loop BB6_47 Depth=1
                                        ;     Parent Loop BB6_199 Depth=2
                                        ; =>    This Inner Loop Header: Depth=3
	s_sleep 1
	flat_load_dwordx2 v[32:33], v[22:23] sc0 sc1
	v_and_b32_e32 v1, 64, v59
	v_cmp_eq_u32_e32 vcc, 0, v1
	s_andn2_b64 s[58:59], s[58:59], exec
	s_and_saveexec_b64 s[60:61], vcc
	s_cbranch_execz .LBB6_204
; %bb.206:                              ;   in Loop: Header=BB6_205 Depth=3
	v_add_u32_e32 v1, 1, v0
	v_cmp_lt_i32_e32 vcc, s82, v0
	s_mov_b64 s[64:65], -1
	s_and_saveexec_b64 s[62:63], vcc
	s_cbranch_execz .LBB6_203
; %bb.207:                              ;   in Loop: Header=BB6_205 Depth=3
	s_trap 2
	ds_read_b64 v[0:1], v0
	s_waitcnt vmcnt(0) lgkmcnt(0)
	flat_load_dword v0, v[0:1] sc0 sc1
	s_waitcnt vmcnt(0) lgkmcnt(0)
	buffer_inv sc0 sc1
	v_cmp_ne_u32_e32 vcc, 0, v0
	s_and_saveexec_b64 s[66:67], vcc
	s_cbranch_execz .LBB6_202
; %bb.208:                              ;   in Loop: Header=BB6_205 Depth=3
	v_or_b32_e32 v59, 64, v59
	s_xor_b64 s[64:65], exec, -1
	ds_write_b32 v0, v0
	s_trap 2
	s_branch .LBB6_202
.LBB6_209:                              ;   in Loop: Header=BB6_199 Depth=2
	s_or_b64 exec, exec, s[56:57]
	v_and_b32_e32 v0, 8, v59
.LBB6_210:                              ;   in Loop: Header=BB6_199 Depth=2
	s_or_b64 exec, exec, s[54:55]
	v_cmp_eq_u32_e32 vcc, 0, v0
	s_orn2_b64 s[54:55], vcc, exec
	;;#ASMSTART
	s_wakeup
	;;#ASMEND
.LBB6_211:                              ;   in Loop: Header=BB6_199 Depth=2
	s_or_b64 exec, exec, s[28:29]
	s_xor_b64 s[22:23], s[22:23], -1
	s_and_b64 s[22:23], exec, s[22:23]
	s_or_b64 s[26:27], s[22:23], s[26:27]
	v_sub_u32_e32 v0, v30, v10
	s_xor_b64 s[22:23], s[54:55], -1
	v_min_i32_e32 v8, v8, v0
	s_and_saveexec_b64 s[28:29], s[22:23]
	s_cbranch_execz .LBB6_226
; %bb.212:                              ;   in Loop: Header=BB6_199 Depth=2
	v_and_b32_e32 v0, 0x100, v59
	v_cmp_ne_u32_e32 vcc, 0, v0
	v_and_b32_e32 v0, 7, v20
	s_mov_b64 s[22:23], -1
                                        ; implicit-def: $vgpr4_vgpr5
	s_and_saveexec_b64 s[54:55], vcc
	s_cbranch_execz .LBB6_216
; %bb.213:                              ;   in Loop: Header=BB6_199 Depth=2
	v_mad_u64_u32 v[14:15], s[22:23], v0, 24, v[48:49]
	flat_load_dword v1, v[14:15]
	v_ashrrev_i32_e32 v9, 31, v8
	v_lshlrev_b64 v[4:5], 1, v[8:9]
	flat_store_dwordx2 v[14:15], v[4:5] offset:8
                                        ; implicit-def: $vgpr4_vgpr5
	s_waitcnt vmcnt(0) lgkmcnt(0)
	v_cmp_ne_u32_e32 vcc, 1, v1
	v_cmp_eq_u32_e64 s[22:23], 1, v1
	s_and_saveexec_b64 s[56:57], s[22:23]
	s_cbranch_execz .LBB6_215
; %bb.214:                              ;   in Loop: Header=BB6_199 Depth=2
	flat_load_dword v4, v[14:15] offset:4 sc0 sc1
	s_waitcnt vmcnt(0) lgkmcnt(0)
	v_ashrrev_i32_e32 v5, 31, v4
	v_lshrrev_b64 v[4:5], 1, v[4:5]
.LBB6_215:                              ;   in Loop: Header=BB6_199 Depth=2
	s_or_b64 exec, exec, s[56:57]
	s_orn2_b64 s[22:23], vcc, exec
.LBB6_216:                              ;   in Loop: Header=BB6_199 Depth=2
	s_or_b64 exec, exec, s[54:55]
	s_and_saveexec_b64 vcc, s[22:23]
; %bb.217:                              ;   in Loop: Header=BB6_199 Depth=2
	v_mad_i64_i32 v[4:5], s[22:23], v0, v56, 0
; %bb.218:                              ;   in Loop: Header=BB6_199 Depth=2
	s_or_b64 exec, exec, vcc
	v_lshl_add_u64 v[0:1], v[4:5], 1, v[46:47]
	ds_write_b64 v0, v[0:1] offset:784
	v_and_b32_e32 v0, 0x2000, v59
	v_cmp_ne_u32_e32 vcc, 0, v0
	s_and_saveexec_b64 s[22:23], vcc
	s_cbranch_execz .LBB6_220
; %bb.219:                              ;   in Loop: Header=BB6_199 Depth=2
	ds_read_b64 v[0:1], v0 offset:584
	s_waitcnt lgkmcnt(0)
	v_lshl_add_u64 v[0:1], v[0:1], 0, 1
	ds_write_b64 v0, v[0:1] offset:584
.LBB6_220:                              ;   in Loop: Header=BB6_199 Depth=2
	s_or_b64 exec, exec, s[22:23]
	v_lshl_add_u64 v[20:21], v[20:21], 0, 2
	s_or_b64 exec, exec, s[28:29]
	s_and_saveexec_b64 s[22:23], s[4:5]
	s_cbranch_execnz .LBB6_227
.LBB6_221:                              ;   in Loop: Header=BB6_199 Depth=2
	s_or_b64 exec, exec, s[22:23]
                                        ; implicit-def: $vgpr0
	s_and_saveexec_b64 s[22:23], s[20:21]
	s_xor_b64 s[22:23], exec, s[22:23]
	s_cbranch_execz .LBB6_245
.LBB6_222:                              ;   in Loop: Header=BB6_199 Depth=2
	s_trap 2
	ds_read_b32 v1, v0
	v_cmp_lt_i32_e32 vcc, 0, v8
	v_and_b32_e32 v2, 16, v59
	v_and_b32_e32 v0, 16, v59
	s_waitcnt lgkmcnt(0)
	v_readfirstlane_b32 s28, v1
	s_cmp_eq_u32 s28, 0
	s_cselect_b64 s[28:29], -1, 0
	s_and_b64 s[28:29], vcc, s[28:29]
	v_cmp_ne_u32_e32 vcc, 0, v2
	s_and_b64 vcc, vcc, s[28:29]
	s_and_saveexec_b64 s[28:29], vcc
	s_cbranch_execz .LBB6_224
; %bb.223:                              ;   in Loop: Header=BB6_199 Depth=2
	v_mov_b32_e32 v0, 1
	buffer_wbl2 sc1
	s_waitcnt vmcnt(0)
	buffer_inv sc1
.LBB6_224:                              ;   in Loop: Header=BB6_199 Depth=2
	s_or_b64 exec, exec, s[28:29]
	s_andn2_saveexec_b64 s[22:23], s[22:23]
	s_cbranch_execnz .LBB6_246
.LBB6_225:                              ;   in Loop: Header=BB6_199 Depth=2
	s_or_b64 exec, exec, s[22:23]
	v_cmp_ne_u32_e32 vcc, 0, v0
	s_and_saveexec_b64 s[22:23], vcc
	s_cbranch_execz .LBB6_198
	s_branch .LBB6_264
.LBB6_226:                              ;   in Loop: Header=BB6_199 Depth=2
	s_or_b64 exec, exec, s[28:29]
	s_and_saveexec_b64 s[22:23], s[4:5]
	s_cbranch_execz .LBB6_221
.LBB6_227:                              ;   in Loop: Header=BB6_199 Depth=2
	s_and_saveexec_b64 s[28:29], s[38:39]
	s_xor_b64 s[28:29], exec, s[28:29]
	s_cbranch_execz .LBB6_242
; %bb.228:                              ;   in Loop: Header=BB6_199 Depth=2
	s_and_saveexec_b64 s[54:55], s[12:13]
	s_cbranch_execz .LBB6_241
; %bb.229:                              ;   in Loop: Header=BB6_199 Depth=2
	s_mov_b64 s[58:59], exec
	v_mbcnt_lo_u32_b32 v0, s58, 0
	v_mbcnt_hi_u32_b32 v0, s59, v0
	v_cmp_eq_u32_e32 vcc, 0, v0
	s_waitcnt lgkmcnt(0)
	s_and_saveexec_b64 s[56:57], vcc
	s_cbranch_execz .LBB6_231
; %bb.230:                              ;   in Loop: Header=BB6_199 Depth=2
	s_bcnt1_i32_b64 vcc_lo, s[58:59]
	v_mov_b32_e32 v2, vcc_lo
	ds_add_u64 v0, v[2:3]
	s_trap 2
.LBB6_231:                              ;   in Loop: Header=BB6_199 Depth=2
	s_or_b64 exec, exec, s[56:57]
	s_trap 2
	ds_read_b64 v[0:1], v0
	v_lshl_add_u64 v[12:13], v[12:13], 0, v[34:35]
	s_waitcnt lgkmcnt(0)
	v_cmp_lt_u64_e32 vcc, v[0:1], v[12:13]
	s_and_saveexec_b64 s[56:57], vcc
	s_cbranch_execz .LBB6_240
; %bb.232:                              ;   in Loop: Header=BB6_199 Depth=2
	s_mov_b32 s68, 0
	s_mov_b64 s[58:59], 0
                                        ; implicit-def: $sgpr60_sgpr61
                                        ; implicit-def: $sgpr62_sgpr63
	s_branch .LBB6_234
.LBB6_233:                              ;   in Loop: Header=BB6_234 Depth=3
	s_or_b64 exec, exec, s[66:67]
	s_and_b64 vcc, exec, vcc
	s_or_b64 s[58:59], vcc, s[58:59]
	s_andn2_b64 vcc, s[60:61], exec
	s_and_b64 s[60:61], s[62:63], exec
	s_or_b64 s[60:61], vcc, s[60:61]
	s_andn2_b64 exec, exec, s[58:59]
	s_cbranch_execz .LBB6_238
.LBB6_234:                              ;   Parent Loop BB6_47 Depth=1
                                        ;     Parent Loop BB6_199 Depth=2
                                        ; =>    This Inner Loop Header: Depth=3
	s_add_i32 s68, s68, 1
	s_cmpk_lg_i32 s68, 0x2710
	s_cselect_b64 s[64:65], -1, 0
	s_and_b64 vcc, exec, s[64:65]
                                        ; implicit-def: $sgpr66_sgpr67
	s_cbranch_vccnz .LBB6_236
; %bb.235:                              ;   in Loop: Header=BB6_234 Depth=3
	s_trap 2
	ds_read_b64 v[0:1], v0
	s_andn2_b64 s[64:65], s[64:65], exec
	s_mov_b32 s68, 0
	s_mov_b64 s[66:67], -1
	s_waitcnt vmcnt(0) lgkmcnt(0)
	flat_load_dword v0, v[0:1] sc0 sc1
	s_waitcnt vmcnt(0) lgkmcnt(0)
	buffer_inv sc0 sc1
	v_cmp_eq_u32_e32 vcc, 0, v0
	s_and_b64 vcc, vcc, exec
	s_or_b64 s[64:65], s[64:65], vcc
.LBB6_236:                              ;   in Loop: Header=BB6_234 Depth=3
	s_andn2_b64 s[62:63], s[62:63], exec
	s_and_b64 s[66:67], s[66:67], exec
	s_mov_b64 vcc, -1
	s_or_b64 s[62:63], s[62:63], s[66:67]
	s_and_saveexec_b64 s[66:67], s[64:65]
	s_cbranch_execz .LBB6_233
; %bb.237:                              ;   in Loop: Header=BB6_234 Depth=3
	s_sleep 1
	s_trap 2
	ds_read_b64 v[0:1], v0
	s_andn2_b64 s[62:63], s[62:63], exec
	s_waitcnt lgkmcnt(0)
	v_cmp_ge_u64_e32 vcc, v[0:1], v[12:13]
	s_orn2_b64 vcc, vcc, exec
	s_branch .LBB6_233
.LBB6_238:                              ;   in Loop: Header=BB6_199 Depth=2
	s_or_b64 exec, exec, s[58:59]
	s_and_saveexec_b64 vcc, s[60:61]
	s_xor_b64 vcc, exec, vcc
	s_cbranch_execz .LBB6_240
; %bb.239:                              ;   in Loop: Header=BB6_199 Depth=2
	ds_write_b32 v0, v38
	s_trap 2
.LBB6_240:                              ;   in Loop: Header=BB6_199 Depth=2
	s_or_b64 exec, exec, s[56:57]
	;;#ASMSTART
	s_wakeup
	;;#ASMEND
.LBB6_241:                              ;   in Loop: Header=BB6_199 Depth=2
	s_or_b64 exec, exec, s[54:55]
.LBB6_242:                              ;   in Loop: Header=BB6_199 Depth=2
	s_andn2_saveexec_b64 s[28:29], s[28:29]
	s_cbranch_execz .LBB6_244
; %bb.243:                              ;   in Loop: Header=BB6_199 Depth=2
	s_waitcnt lgkmcnt(0)
	s_barrier
.LBB6_244:                              ;   in Loop: Header=BB6_199 Depth=2
	s_or_b64 exec, exec, s[28:29]
	s_or_b64 exec, exec, s[22:23]
                                        ; implicit-def: $vgpr0
	s_and_saveexec_b64 s[22:23], s[20:21]
	s_xor_b64 s[22:23], exec, s[22:23]
	s_cbranch_execnz .LBB6_222
.LBB6_245:                              ;   in Loop: Header=BB6_199 Depth=2
	s_andn2_saveexec_b64 s[22:23], s[22:23]
	s_cbranch_execz .LBB6_225
.LBB6_246:                              ;   in Loop: Header=BB6_199 Depth=2
	s_and_saveexec_b64 s[28:29], s[38:39]
	s_xor_b64 s[28:29], exec, s[28:29]
	s_cbranch_execz .LBB6_261
; %bb.247:                              ;   in Loop: Header=BB6_199 Depth=2
	s_and_saveexec_b64 s[54:55], s[12:13]
	s_cbranch_execz .LBB6_260
; %bb.248:                              ;   in Loop: Header=BB6_199 Depth=2
	s_mov_b64 s[58:59], exec
	v_mbcnt_lo_u32_b32 v0, s58, 0
	v_mbcnt_hi_u32_b32 v0, s59, v0
	v_cmp_eq_u32_e32 vcc, 0, v0
	;;#ASMSTART
	s_waitcnt lgkmcnt(0) vmcnt(0)
	;;#ASMEND
	s_and_saveexec_b64 s[56:57], vcc
	s_cbranch_execz .LBB6_250
; %bb.249:                              ;   in Loop: Header=BB6_199 Depth=2
	s_bcnt1_i32_b64 vcc_lo, s[58:59]
	v_mov_b32_e32 v2, vcc_lo
	ds_add_u64 v0, v[2:3]
	s_trap 2
.LBB6_250:                              ;   in Loop: Header=BB6_199 Depth=2
	s_or_b64 exec, exec, s[56:57]
	s_trap 2
	ds_read_b64 v[0:1], v0
	v_lshl_add_u64 v[12:13], v[12:13], 0, v[34:35]
	s_waitcnt lgkmcnt(0)
	v_cmp_lt_u64_e32 vcc, v[0:1], v[12:13]
	s_and_saveexec_b64 s[56:57], vcc
	s_cbranch_execz .LBB6_259
; %bb.251:                              ;   in Loop: Header=BB6_199 Depth=2
	s_mov_b32 s68, 0
	s_mov_b64 s[58:59], 0
                                        ; implicit-def: $sgpr60_sgpr61
                                        ; implicit-def: $sgpr62_sgpr63
	s_branch .LBB6_253
.LBB6_252:                              ;   in Loop: Header=BB6_253 Depth=3
	s_or_b64 exec, exec, s[66:67]
	s_and_b64 vcc, exec, vcc
	s_or_b64 s[58:59], vcc, s[58:59]
	s_andn2_b64 vcc, s[60:61], exec
	s_and_b64 s[60:61], s[62:63], exec
	s_or_b64 s[60:61], vcc, s[60:61]
	s_andn2_b64 exec, exec, s[58:59]
	s_cbranch_execz .LBB6_257
.LBB6_253:                              ;   Parent Loop BB6_47 Depth=1
                                        ;     Parent Loop BB6_199 Depth=2
                                        ; =>    This Inner Loop Header: Depth=3
	s_add_i32 s68, s68, 1
	s_cmpk_lg_i32 s68, 0x2710
	s_cselect_b64 s[64:65], -1, 0
	s_and_b64 vcc, exec, s[64:65]
                                        ; implicit-def: $sgpr66_sgpr67
	s_cbranch_vccnz .LBB6_255
; %bb.254:                              ;   in Loop: Header=BB6_253 Depth=3
	s_trap 2
	ds_read_b64 v[0:1], v0
	s_andn2_b64 s[64:65], s[64:65], exec
	s_mov_b32 s68, 0
	s_mov_b64 s[66:67], -1
	s_waitcnt vmcnt(0) lgkmcnt(0)
	flat_load_dword v0, v[0:1] sc0 sc1
	s_waitcnt vmcnt(0) lgkmcnt(0)
	buffer_inv sc0 sc1
	v_cmp_eq_u32_e32 vcc, 0, v0
	s_and_b64 vcc, vcc, exec
	s_or_b64 s[64:65], s[64:65], vcc
.LBB6_255:                              ;   in Loop: Header=BB6_253 Depth=3
	s_andn2_b64 s[62:63], s[62:63], exec
	s_and_b64 s[66:67], s[66:67], exec
	s_mov_b64 vcc, -1
	s_or_b64 s[62:63], s[62:63], s[66:67]
	s_and_saveexec_b64 s[66:67], s[64:65]
	s_cbranch_execz .LBB6_252
; %bb.256:                              ;   in Loop: Header=BB6_253 Depth=3
	s_sleep 1
	s_trap 2
	ds_read_b64 v[0:1], v0
	s_andn2_b64 s[62:63], s[62:63], exec
	s_waitcnt lgkmcnt(0)
	v_cmp_ge_u64_e32 vcc, v[0:1], v[12:13]
	s_orn2_b64 vcc, vcc, exec
	s_branch .LBB6_252
.LBB6_257:                              ;   in Loop: Header=BB6_199 Depth=2
	s_or_b64 exec, exec, s[58:59]
	s_and_saveexec_b64 vcc, s[60:61]
	s_xor_b64 vcc, exec, vcc
	s_cbranch_execz .LBB6_259
; %bb.258:                              ;   in Loop: Header=BB6_199 Depth=2
	ds_write_b32 v0, v38
	s_trap 2
.LBB6_259:                              ;   in Loop: Header=BB6_199 Depth=2
	s_or_b64 exec, exec, s[56:57]
	;;#ASMSTART
	s_wakeup
	;;#ASMEND
.LBB6_260:                              ;   in Loop: Header=BB6_199 Depth=2
	s_or_b64 exec, exec, s[54:55]
.LBB6_261:                              ;   in Loop: Header=BB6_199 Depth=2
	s_andn2_saveexec_b64 s[28:29], s[28:29]
	s_cbranch_execz .LBB6_263
; %bb.262:                              ;   in Loop: Header=BB6_199 Depth=2
	;;#ASMSTART
	s_waitcnt lgkmcnt(0) vmcnt(0)
	;;#ASMEND
	s_barrier
.LBB6_263:                              ;   in Loop: Header=BB6_199 Depth=2
	s_or_b64 exec, exec, s[28:29]
	v_and_b32_e32 v0, 16, v59
	s_or_b64 exec, exec, s[22:23]
	v_cmp_ne_u32_e32 vcc, 0, v0
	s_and_saveexec_b64 s[22:23], vcc
	s_cbranch_execz .LBB6_198
.LBB6_264:                              ;   in Loop: Header=BB6_199 Depth=2
	s_and_saveexec_b64 s[28:29], s[10:11]
	s_cbranch_execz .LBB6_197
; %bb.265:                              ;   in Loop: Header=BB6_199 Depth=2
	flat_store_dword v[54:55], v38 sc0 sc1
	s_branch .LBB6_197
.LBB6_266:                              ;   in Loop: Header=BB6_47 Depth=1
	s_or_b64 exec, exec, s[26:27]
.LBB6_267:                              ;   in Loop: Header=BB6_47 Depth=1
	s_or_b64 exec, exec, s[24:25]
	v_cndmask_b32_e64 v0, 0, 1, s[46:47]
	v_cmp_ne_u32_e64 s[22:23], 1, v0
	s_andn2_b64 vcc, exec, s[46:47]
	s_cbranch_vccnz .LBB6_488
; %bb.268:                              ;   in Loop: Header=BB6_47 Depth=1
	s_mov_b32 s84, 2
	s_branch .LBB6_271
.LBB6_269:                              ;   in Loop: Header=BB6_271 Depth=2
	s_or_b64 exec, exec, s[28:29]
.LBB6_270:                              ;   in Loop: Header=BB6_271 Depth=2
	s_or_b64 exec, exec, s[26:27]
	s_add_i32 s84, s84, 1
	s_cmp_eq_u32 s84, s72
	s_cbranch_scc1 .LBB6_488
.LBB6_271:                              ;   Parent Loop BB6_47 Depth=1
                                        ; =>  This Loop Header: Depth=2
                                        ;       Child Loop BB6_274 Depth 3
                                        ;         Child Loop BB6_282 Depth 4
                                        ;         Child Loop BB6_308 Depth 4
	;; [unrolled: 1-line block ×9, first 2 shown]
                                        ;       Child Loop BB6_418 Depth 3
                                        ;         Child Loop BB6_424 Depth 4
                                        ;         Child Loop BB6_462 Depth 4
	;; [unrolled: 1-line block ×3, first 2 shown]
	s_sub_i32 s24, s75, s84
	s_cmp_le_i32 s72, s24
	s_cselect_b32 s25, s72, 0
	s_sub_i32 s24, s24, s25
	v_accvgpr_read_b32 v4, a38
	s_ashr_i32 s25, s24, 31
	v_accvgpr_read_b32 v5, a39
	v_mul_lo_u32 v0, v4, s25
	v_mul_lo_u32 v1, v5, s24
	v_mad_u64_u32 v[16:17], s[24:25], v4, s24, 0
	v_add3_u32 v17, v17, v0, v1
	v_accvgpr_read_b32 v0, a40
	v_accvgpr_read_b32 v1, a41
	v_sub_co_u32_e32 v0, vcc, v0, v16
	v_mov_b32_e32 v10, 0
	s_nop 0
	v_subb_co_u32_e32 v1, vcc, v1, v17, vcc
	v_cmp_lt_i64_e32 vcc, v[4:5], v[0:1]
	s_nop 1
	v_cndmask_b32_e32 v0, v0, v4, vcc
	v_max_i32_e32 v30, 0, v0
	v_add_u32_e32 v1, 31, v30
	v_ashrrev_i32_e32 v2, 31, v1
	v_lshrrev_b32_e32 v2, 27, v2
	v_add_u32_e32 v1, v1, v2
	v_ashrrev_i32_e32 v1, 5, v1
	v_lshlrev_b32_e32 v1, 4, v1
	v_cmp_lt_i32_e32 vcc, 0, v0
	v_max_i32_e32 v8, s78, v1
	s_and_b64 s[24:25], s[50:51], vcc
	v_mov_b32_e32 v0, 0
	s_and_saveexec_b64 s[26:27], s[24:25]
	s_cbranch_execz .LBB6_415
; %bb.272:                              ;   in Loop: Header=BB6_271 Depth=2
	s_mov_b32 s85, 1
	s_mov_b64 s[54:55], -1
	s_mov_b64 s[28:29], 0
	v_mov_b32_e32 v10, 0
	s_branch .LBB6_274
.LBB6_273:                              ;   in Loop: Header=BB6_274 Depth=3
	s_or_b64 exec, exec, s[24:25]
	v_add_u32_e32 v10, v8, v10
	v_cmp_ge_i32_e32 vcc, v10, v30
	s_xor_b64 s[24:25], s[54:55], -1
	s_or_b64 s[24:25], s[24:25], vcc
	s_and_b64 s[24:25], exec, s[24:25]
	s_or_b64 s[28:29], s[24:25], s[28:29]
	s_mov_b64 s[54:55], 0
	v_mov_b32_e32 v0, s85
	s_mov_b32 s85, 2
	s_andn2_b64 exec, exec, s[28:29]
	s_cbranch_execz .LBB6_414
.LBB6_274:                              ;   Parent Loop BB6_47 Depth=1
                                        ;     Parent Loop BB6_271 Depth=2
                                        ; =>    This Loop Header: Depth=3
                                        ;         Child Loop BB6_282 Depth 4
                                        ;         Child Loop BB6_308 Depth 4
	;; [unrolled: 1-line block ×9, first 2 shown]
	s_and_saveexec_b64 s[24:25], s[0:1]
	s_cbranch_execz .LBB6_276
; %bb.275:                              ;   in Loop: Header=BB6_274 Depth=3
	s_trap 2
	ds_read_b64 v[0:1], v0
	v_accvgpr_read_b32 v4, a42
	v_accvgpr_read_b32 v5, a43
	v_ashrrev_i32_e32 v11, 31, v10
	v_mov_b32_e32 v2, v3
	s_waitcnt lgkmcnt(0)
	v_lshl_add_u64 v[0:1], v[4:5], 1, v[0:1]
	v_lshl_add_u64 v[0:1], v[16:17], 1, v[0:1]
	;; [unrolled: 1-line block ×3, first 2 shown]
	ds_write_b64 v0, v[0:1]
	ds_write_b64 v0, v[2:3]
.LBB6_276:                              ;   in Loop: Header=BB6_274 Depth=3
	s_or_b64 exec, exec, s[24:25]
	v_and_b32_e32 v0, 12, v59
	v_cmp_ne_u32_e32 vcc, 0, v0
	s_mov_b64 s[56:57], -1
	s_and_saveexec_b64 s[24:25], vcc
	s_cbranch_execz .LBB6_288
; %bb.277:                              ;   in Loop: Header=BB6_274 Depth=3
	v_and_b32_e32 v2, 8, v59
	v_lshl_add_u64 v[0:1], v[32:33], 0, v[2:3]
	v_lshl_add_u64 v[4:5], v[20:21], 0, 2
	v_cmp_lt_u64_e32 vcc, v[0:1], v[4:5]
	v_mov_b32_e32 v0, 1
	s_and_saveexec_b64 s[56:57], vcc
	s_cbranch_execz .LBB6_287
; %bb.278:                              ;   in Loop: Header=BB6_274 Depth=3
	s_mov_b64 s[58:59], 0
	v_mov_b32_e32 v0, 0
                                        ; implicit-def: $sgpr60_sgpr61
	s_branch .LBB6_282
.LBB6_279:                              ;   in Loop: Header=BB6_282 Depth=4
	s_or_b64 exec, exec, s[68:69]
	v_mov_b32_e32 v1, 0
	s_orn2_b64 s[66:67], s[66:67], exec
.LBB6_280:                              ;   in Loop: Header=BB6_282 Depth=4
	s_or_b64 exec, exec, s[64:65]
	s_andn2_b64 vcc, s[60:61], exec
	s_and_b64 s[60:61], s[66:67], exec
	s_or_b64 s[60:61], vcc, s[60:61]
	v_mov_b32_e32 v0, v1
.LBB6_281:                              ;   in Loop: Header=BB6_282 Depth=4
	s_or_b64 exec, exec, s[62:63]
	s_waitcnt vmcnt(0) lgkmcnt(0)
	v_lshl_add_u64 v[6:7], v[32:33], 0, v[2:3]
	v_cmp_ge_u64_e32 vcc, v[6:7], v[4:5]
	s_xor_b64 s[62:63], s[60:61], -1
	s_or_b64 vcc, s[62:63], vcc
	s_and_b64 vcc, exec, vcc
	s_or_b64 s[58:59], vcc, s[58:59]
	s_andn2_b64 exec, exec, s[58:59]
	s_cbranch_execz .LBB6_286
.LBB6_282:                              ;   Parent Loop BB6_47 Depth=1
                                        ;     Parent Loop BB6_271 Depth=2
                                        ;       Parent Loop BB6_274 Depth=3
                                        ; =>      This Inner Loop Header: Depth=4
	s_sleep 1
	flat_load_dwordx2 v[32:33], v[22:23] sc0 sc1
	v_and_b32_e32 v1, 64, v59
	v_cmp_eq_u32_e32 vcc, 0, v1
	s_andn2_b64 s[60:61], s[60:61], exec
	s_and_saveexec_b64 s[62:63], vcc
	s_cbranch_execz .LBB6_281
; %bb.283:                              ;   in Loop: Header=BB6_282 Depth=4
	v_add_u32_e32 v1, 1, v0
	v_cmp_lt_i32_e32 vcc, s82, v0
	s_mov_b64 s[66:67], -1
	s_and_saveexec_b64 s[64:65], vcc
	s_cbranch_execz .LBB6_280
; %bb.284:                              ;   in Loop: Header=BB6_282 Depth=4
	s_trap 2
	ds_read_b64 v[0:1], v0
	s_waitcnt vmcnt(0) lgkmcnt(0)
	flat_load_dword v0, v[0:1] sc0 sc1
	s_waitcnt vmcnt(0) lgkmcnt(0)
	buffer_inv sc0 sc1
	v_cmp_ne_u32_e32 vcc, 0, v0
	s_and_saveexec_b64 s[68:69], vcc
	s_cbranch_execz .LBB6_279
; %bb.285:                              ;   in Loop: Header=BB6_282 Depth=4
	v_or_b32_e32 v59, 64, v59
	s_xor_b64 s[66:67], exec, -1
	ds_write_b32 v0, v0
	s_trap 2
	s_branch .LBB6_279
.LBB6_286:                              ;   in Loop: Header=BB6_274 Depth=3
	s_or_b64 exec, exec, s[58:59]
	v_and_b32_e32 v0, 12, v59
.LBB6_287:                              ;   in Loop: Header=BB6_274 Depth=3
	s_or_b64 exec, exec, s[56:57]
	v_cmp_eq_u32_e32 vcc, 0, v0
	s_orn2_b64 s[56:57], vcc, exec
	;;#ASMSTART
	s_wakeup
	;;#ASMEND
.LBB6_288:                              ;   in Loop: Header=BB6_274 Depth=3
	s_or_b64 exec, exec, s[24:25]
	v_sub_u32_e32 v0, v30, v10
	s_xor_b64 s[24:25], s[56:57], -1
	v_min_i32_e32 v8, v8, v0
	s_and_saveexec_b64 s[56:57], s[24:25]
	s_cbranch_execz .LBB6_300
; %bb.289:                              ;   in Loop: Header=BB6_274 Depth=3
	v_and_b32_e32 v0, 0x108, v59
	v_cmp_ne_u32_e32 vcc, s83, v0
	v_and_b32_e32 v2, 7, v20
	s_and_saveexec_b64 s[24:25], vcc
	s_xor_b64 s[24:25], exec, s[24:25]
	s_andn2_saveexec_b64 s[24:25], s[24:25]
	s_cbranch_execz .LBB6_291
; %bb.290:                              ;   in Loop: Header=BB6_274 Depth=3
	v_ashrrev_i32_e32 v9, 31, v8
	v_mad_u64_u32 v[0:1], vcc, v2, 24, v[48:49]
	v_lshlrev_b64 v[4:5], 1, v[8:9]
	flat_store_dwordx2 v[0:1], v[4:5] offset:8
.LBB6_291:                              ;   in Loop: Header=BB6_274 Depth=3
	s_or_b64 exec, exec, s[24:25]
	v_and_b32_e32 v0, 0x100, v59
	v_cmp_ne_u32_e32 vcc, 0, v0
	s_mov_b64 s[24:25], -1
                                        ; implicit-def: $vgpr4_vgpr5
	s_and_saveexec_b64 s[58:59], vcc
	s_cbranch_execz .LBB6_295
; %bb.292:                              ;   in Loop: Header=BB6_274 Depth=3
	v_mad_u64_u32 v[14:15], s[24:25], v2, 24, v[48:49]
	v_mov_b32_e32 v0, v15
	v_mad_u64_u32 v[0:1], s[24:25], v3, 24, v[0:1]
	v_mov_b32_e32 v15, v0
	flat_load_dword v0, v[14:15]
                                        ; implicit-def: $vgpr4_vgpr5
	s_waitcnt vmcnt(0) lgkmcnt(0)
	v_cmp_ne_u32_e32 vcc, 1, v0
	v_cmp_eq_u32_e64 s[24:25], 1, v0
	s_and_saveexec_b64 s[60:61], s[24:25]
	s_cbranch_execz .LBB6_294
; %bb.293:                              ;   in Loop: Header=BB6_274 Depth=3
	flat_load_dword v0, v[14:15] offset:4 sc0 sc1
	s_waitcnt vmcnt(0) lgkmcnt(0)
	v_ashrrev_i32_e32 v1, 31, v0
	v_lshrrev_b64 v[4:5], 1, v[0:1]
.LBB6_294:                              ;   in Loop: Header=BB6_274 Depth=3
	s_or_b64 exec, exec, s[60:61]
	s_orn2_b64 s[24:25], vcc, exec
.LBB6_295:                              ;   in Loop: Header=BB6_274 Depth=3
	s_or_b64 exec, exec, s[58:59]
	s_and_saveexec_b64 vcc, s[24:25]
; %bb.296:                              ;   in Loop: Header=BB6_274 Depth=3
	v_mul_lo_u32 v0, v3, v56
	v_mul_lo_u32 v1, v2, v39
	v_mad_u64_u32 v[4:5], s[24:25], v2, v56, 0
	v_add3_u32 v5, v5, v1, v0
; %bb.297:                              ;   in Loop: Header=BB6_274 Depth=3
	s_or_b64 exec, exec, vcc
	v_lshl_add_u64 v[0:1], v[4:5], 1, v[46:47]
	s_trap 2
	ds_write_b64 v0, v[0:1]
	v_and_b32_e32 v0, 0x2000, v59
	v_cmp_ne_u32_e32 vcc, 0, v0
	s_and_saveexec_b64 s[24:25], vcc
	s_cbranch_execz .LBB6_299
; %bb.298:                              ;   in Loop: Header=BB6_274 Depth=3
	ds_read_b64 v[0:1], v0 offset:584
	s_waitcnt lgkmcnt(0)
	v_lshl_add_u64 v[0:1], v[0:1], 0, 1
	ds_write_b64 v0, v[0:1] offset:584
.LBB6_299:                              ;   in Loop: Header=BB6_274 Depth=3
	s_or_b64 exec, exec, s[24:25]
	v_lshl_add_u64 v[20:21], v[20:21], 0, 2
.LBB6_300:                              ;   in Loop: Header=BB6_274 Depth=3
	s_or_b64 exec, exec, s[56:57]
	s_and_saveexec_b64 s[24:25], s[4:5]
	s_cbranch_execz .LBB6_319
; %bb.301:                              ;   in Loop: Header=BB6_274 Depth=3
	s_and_saveexec_b64 vcc, s[38:39]
	s_xor_b64 s[56:57], exec, vcc
	s_cbranch_execz .LBB6_316
; %bb.302:                              ;   in Loop: Header=BB6_274 Depth=3
	s_and_saveexec_b64 s[58:59], s[12:13]
	s_cbranch_execz .LBB6_315
; %bb.303:                              ;   in Loop: Header=BB6_274 Depth=3
	s_mov_b64 s[62:63], exec
	v_mbcnt_lo_u32_b32 v0, s62, 0
	v_mbcnt_hi_u32_b32 v0, s63, v0
	v_cmp_eq_u32_e32 vcc, 0, v0
	s_waitcnt lgkmcnt(0)
	s_and_saveexec_b64 s[60:61], vcc
	s_cbranch_execz .LBB6_305
; %bb.304:                              ;   in Loop: Header=BB6_274 Depth=3
	s_bcnt1_i32_b64 vcc_lo, s[62:63]
	v_mov_b32_e32 v2, vcc_lo
	ds_add_u64 v0, v[2:3]
	s_trap 2
.LBB6_305:                              ;   in Loop: Header=BB6_274 Depth=3
	s_or_b64 exec, exec, s[60:61]
	s_trap 2
	ds_read_b64 v[0:1], v0
	v_lshl_add_u64 v[12:13], v[12:13], 0, v[34:35]
	s_waitcnt lgkmcnt(0)
	v_cmp_lt_u64_e32 vcc, v[0:1], v[12:13]
	s_and_saveexec_b64 s[60:61], vcc
	s_cbranch_execz .LBB6_314
; %bb.306:                              ;   in Loop: Header=BB6_274 Depth=3
	s_mov_b32 s86, 0
	s_mov_b64 s[62:63], 0
                                        ; implicit-def: $sgpr64_sgpr65
                                        ; implicit-def: $sgpr66_sgpr67
	s_branch .LBB6_308
.LBB6_307:                              ;   in Loop: Header=BB6_308 Depth=4
	s_or_b64 exec, exec, s[70:71]
	s_and_b64 vcc, exec, vcc
	s_or_b64 s[62:63], vcc, s[62:63]
	s_andn2_b64 vcc, s[64:65], exec
	s_and_b64 s[64:65], s[66:67], exec
	s_or_b64 s[64:65], vcc, s[64:65]
	s_andn2_b64 exec, exec, s[62:63]
	s_cbranch_execz .LBB6_312
.LBB6_308:                              ;   Parent Loop BB6_47 Depth=1
                                        ;     Parent Loop BB6_271 Depth=2
                                        ;       Parent Loop BB6_274 Depth=3
                                        ; =>      This Inner Loop Header: Depth=4
	s_add_i32 s86, s86, 1
	s_cmpk_lg_i32 s86, 0x2710
	s_cselect_b64 s[68:69], -1, 0
	s_and_b64 vcc, exec, s[68:69]
                                        ; implicit-def: $sgpr70_sgpr71
	s_cbranch_vccnz .LBB6_310
; %bb.309:                              ;   in Loop: Header=BB6_308 Depth=4
	s_trap 2
	ds_read_b64 v[0:1], v0
	s_andn2_b64 s[68:69], s[68:69], exec
	s_mov_b32 s86, 0
	s_mov_b64 s[70:71], -1
	s_waitcnt vmcnt(0) lgkmcnt(0)
	flat_load_dword v0, v[0:1] sc0 sc1
	s_waitcnt vmcnt(0) lgkmcnt(0)
	buffer_inv sc0 sc1
	v_cmp_eq_u32_e32 vcc, 0, v0
	s_and_b64 vcc, vcc, exec
	s_or_b64 s[68:69], s[68:69], vcc
.LBB6_310:                              ;   in Loop: Header=BB6_308 Depth=4
	s_andn2_b64 s[66:67], s[66:67], exec
	s_and_b64 s[70:71], s[70:71], exec
	s_mov_b64 vcc, -1
	s_or_b64 s[66:67], s[66:67], s[70:71]
	s_and_saveexec_b64 s[70:71], s[68:69]
	s_cbranch_execz .LBB6_307
; %bb.311:                              ;   in Loop: Header=BB6_308 Depth=4
	s_sleep 1
	s_trap 2
	ds_read_b64 v[0:1], v0
	s_andn2_b64 s[66:67], s[66:67], exec
	s_waitcnt lgkmcnt(0)
	v_cmp_ge_u64_e32 vcc, v[0:1], v[12:13]
	s_orn2_b64 vcc, vcc, exec
	s_branch .LBB6_307
.LBB6_312:                              ;   in Loop: Header=BB6_274 Depth=3
	s_or_b64 exec, exec, s[62:63]
	s_and_saveexec_b64 vcc, s[64:65]
	s_xor_b64 vcc, exec, vcc
	s_cbranch_execz .LBB6_314
; %bb.313:                              ;   in Loop: Header=BB6_274 Depth=3
	ds_write_b32 v0, v38
	s_trap 2
.LBB6_314:                              ;   in Loop: Header=BB6_274 Depth=3
	s_or_b64 exec, exec, s[60:61]
	;;#ASMSTART
	s_wakeup
	;;#ASMEND
.LBB6_315:                              ;   in Loop: Header=BB6_274 Depth=3
	s_or_b64 exec, exec, s[58:59]
.LBB6_316:                              ;   in Loop: Header=BB6_274 Depth=3
	s_andn2_saveexec_b64 vcc, s[56:57]
	s_cbranch_execz .LBB6_318
; %bb.317:                              ;   in Loop: Header=BB6_274 Depth=3
	s_waitcnt lgkmcnt(0)
	s_barrier
.LBB6_318:                              ;   in Loop: Header=BB6_274 Depth=3
	s_or_b64 exec, exec, vcc
.LBB6_319:                              ;   in Loop: Header=BB6_274 Depth=3
	s_or_b64 exec, exec, s[24:25]
	s_trap 2
	ds_read_b32 v4, v0
	v_and_b32_e32 v0, 0x4000, v59
	v_cmp_ne_u32_e32 vcc, 0, v0
	s_xor_b64 s[24:25], s[2:3], -1
	s_and_b64 vcc, s[24:25], vcc
	s_and_saveexec_b64 s[24:25], vcc
	s_cbranch_execz .LBB6_338
; %bb.320:                              ;   in Loop: Header=BB6_274 Depth=3
	s_and_saveexec_b64 vcc, s[38:39]
	s_xor_b64 s[56:57], exec, vcc
	s_cbranch_execz .LBB6_335
; %bb.321:                              ;   in Loop: Header=BB6_274 Depth=3
	s_and_saveexec_b64 s[58:59], s[12:13]
	s_cbranch_execz .LBB6_334
; %bb.322:                              ;   in Loop: Header=BB6_274 Depth=3
	s_mov_b64 s[62:63], exec
	v_mbcnt_lo_u32_b32 v0, s62, 0
	v_mbcnt_hi_u32_b32 v0, s63, v0
	v_cmp_eq_u32_e32 vcc, 0, v0
	s_waitcnt lgkmcnt(0)
	s_and_saveexec_b64 s[60:61], vcc
	s_cbranch_execz .LBB6_324
; %bb.323:                              ;   in Loop: Header=BB6_274 Depth=3
	s_bcnt1_i32_b64 vcc_lo, s[62:63]
	v_mov_b32_e32 v2, vcc_lo
	ds_add_u64 v0, v[2:3]
	s_trap 2
.LBB6_324:                              ;   in Loop: Header=BB6_274 Depth=3
	s_or_b64 exec, exec, s[60:61]
	s_trap 2
	ds_read_b64 v[0:1], v0
	v_lshl_add_u64 v[12:13], v[12:13], 0, v[34:35]
	s_waitcnt lgkmcnt(0)
	v_cmp_lt_u64_e32 vcc, v[0:1], v[12:13]
	s_and_saveexec_b64 s[60:61], vcc
	s_cbranch_execz .LBB6_333
; %bb.325:                              ;   in Loop: Header=BB6_274 Depth=3
	s_mov_b32 s86, 0
	s_mov_b64 s[62:63], 0
                                        ; implicit-def: $sgpr64_sgpr65
                                        ; implicit-def: $sgpr66_sgpr67
	s_branch .LBB6_327
.LBB6_326:                              ;   in Loop: Header=BB6_327 Depth=4
	s_or_b64 exec, exec, s[70:71]
	s_and_b64 vcc, exec, vcc
	s_or_b64 s[62:63], vcc, s[62:63]
	s_andn2_b64 vcc, s[64:65], exec
	s_and_b64 s[64:65], s[66:67], exec
	s_or_b64 s[64:65], vcc, s[64:65]
	s_andn2_b64 exec, exec, s[62:63]
	s_cbranch_execz .LBB6_331
.LBB6_327:                              ;   Parent Loop BB6_47 Depth=1
                                        ;     Parent Loop BB6_271 Depth=2
                                        ;       Parent Loop BB6_274 Depth=3
                                        ; =>      This Inner Loop Header: Depth=4
	s_add_i32 s86, s86, 1
	s_cmpk_lg_i32 s86, 0x2710
	s_cselect_b64 s[68:69], -1, 0
	s_and_b64 vcc, exec, s[68:69]
                                        ; implicit-def: $sgpr70_sgpr71
	s_cbranch_vccnz .LBB6_329
; %bb.328:                              ;   in Loop: Header=BB6_327 Depth=4
	s_trap 2
	ds_read_b64 v[0:1], v0
	s_andn2_b64 s[68:69], s[68:69], exec
	s_mov_b32 s86, 0
	s_mov_b64 s[70:71], -1
	s_waitcnt vmcnt(0) lgkmcnt(0)
	flat_load_dword v0, v[0:1] sc0 sc1
	s_waitcnt vmcnt(0) lgkmcnt(0)
	buffer_inv sc0 sc1
	v_cmp_eq_u32_e32 vcc, 0, v0
	s_and_b64 vcc, vcc, exec
	s_or_b64 s[68:69], s[68:69], vcc
.LBB6_329:                              ;   in Loop: Header=BB6_327 Depth=4
	s_andn2_b64 s[66:67], s[66:67], exec
	s_and_b64 s[70:71], s[70:71], exec
	s_mov_b64 vcc, -1
	s_or_b64 s[66:67], s[66:67], s[70:71]
	s_and_saveexec_b64 s[70:71], s[68:69]
	s_cbranch_execz .LBB6_326
; %bb.330:                              ;   in Loop: Header=BB6_327 Depth=4
	s_sleep 1
	s_trap 2
	ds_read_b64 v[0:1], v0
	s_andn2_b64 s[66:67], s[66:67], exec
	s_waitcnt lgkmcnt(0)
	v_cmp_ge_u64_e32 vcc, v[0:1], v[12:13]
	s_orn2_b64 vcc, vcc, exec
	s_branch .LBB6_326
.LBB6_331:                              ;   in Loop: Header=BB6_274 Depth=3
	s_or_b64 exec, exec, s[62:63]
	s_and_saveexec_b64 vcc, s[64:65]
	s_xor_b64 vcc, exec, vcc
	s_cbranch_execz .LBB6_333
; %bb.332:                              ;   in Loop: Header=BB6_274 Depth=3
	ds_write_b32 v0, v38
	s_trap 2
.LBB6_333:                              ;   in Loop: Header=BB6_274 Depth=3
	s_or_b64 exec, exec, s[60:61]
	;;#ASMSTART
	s_wakeup
	;;#ASMEND
.LBB6_334:                              ;   in Loop: Header=BB6_274 Depth=3
	s_or_b64 exec, exec, s[58:59]
.LBB6_335:                              ;   in Loop: Header=BB6_274 Depth=3
	s_andn2_saveexec_b64 vcc, s[56:57]
	s_cbranch_execz .LBB6_337
; %bb.336:                              ;   in Loop: Header=BB6_274 Depth=3
	s_waitcnt lgkmcnt(0)
	s_barrier
.LBB6_337:                              ;   in Loop: Header=BB6_274 Depth=3
	s_or_b64 exec, exec, vcc
.LBB6_338:                              ;   in Loop: Header=BB6_274 Depth=3
	s_or_b64 exec, exec, s[24:25]
	s_trap 2
	ds_read_b64 v[0:1], v0
	v_mov_b32_e32 v9, 0
	s_waitcnt lgkmcnt(0)
	v_readfirstlane_b32 s24, v0
	v_readfirstlane_b32 s25, v1
	s_cmp_eq_u64 s[24:25], 0
	s_cselect_b64 s[24:25], -1, 0
	s_or_b64 s[24:25], s[24:25], s[24:25]
	s_and_b64 vcc, exec, s[24:25]
	s_cbranch_vccnz .LBB6_358
; %bb.339:                              ;   in Loop: Header=BB6_274 Depth=3
	s_mov_b64 s[24:25], -1
	s_and_saveexec_b64 s[56:57], s[18:19]
	s_cbranch_execz .LBB6_341
; %bb.340:                              ;   in Loop: Header=BB6_274 Depth=3
	ds_read_b32 v0, v0 offset:720
	s_waitcnt lgkmcnt(0)
	v_and_b32_e32 v0, 15, v0
	v_cmp_eq_u32_e32 vcc, 0, v0
	s_orn2_b64 s[24:25], vcc, exec
.LBB6_341:                              ;   in Loop: Header=BB6_274 Depth=3
	s_or_b64 exec, exec, s[56:57]
	s_and_saveexec_b64 s[56:57], s[16:17]
	s_cbranch_execz .LBB6_343
; %bb.342:                              ;   in Loop: Header=BB6_274 Depth=3
	ds_read_b32 v0, v0 offset:784
	s_waitcnt lgkmcnt(0)
	v_and_b32_e32 v0, 15, v0
	v_cmp_eq_u32_e32 vcc, 0, v0
	s_and_b64 vcc, s[24:25], vcc
	s_andn2_b64 s[24:25], s[24:25], exec
	s_and_b64 vcc, vcc, exec
	s_or_b64 s[24:25], s[24:25], vcc
.LBB6_343:                              ;   in Loop: Header=BB6_274 Depth=3
	s_or_b64 exec, exec, s[56:57]
	v_cmp_eq_u32_e32 vcc, 0, v4
	s_xor_b64 s[24:25], s[24:25], -1
	v_cndmask_b32_e64 v0, 0, 1, s[24:25]
	v_cndmask_b32_e32 v9, 0, v8, vcc
	v_mov_b32_e32 v11, 0
	v_lshlrev_b32_e32 v2, 1, v9
	s_mov_b64 s[58:59], -1
	;;#ASMSTART
	;;#ASMEND
	s_nop 0
	v_cmp_ne_u32_e32 vcc, 0, v0
	s_cbranch_vccz .LBB6_359
; %bb.344:                              ;   in Loop: Header=BB6_274 Depth=3
	v_accvgpr_read_b32 v0, a36
	v_mov_b32_e32 v4, v58
	s_and_saveexec_b64 s[24:25], s[58:59]
	s_cbranch_execz .LBB6_372
.LBB6_345:                              ;   in Loop: Header=BB6_274 Depth=3
	v_ashrrev_i32_e32 v1, 31, v2
	v_lshrrev_b32_e32 v1, 23, v1
	v_add_u32_e32 v1, v2, v1
	v_ashrrev_i32_e32 v31, 9, v1
	v_sub_u32_e32 v1, v31, v4
	v_ashrrev_i32_e32 v5, 31, v0
	v_cmp_lt_i32_e32 vcc, 0, v1
	v_lshrrev_b32_e32 v25, 26, v5
	s_and_saveexec_b64 s[56:57], vcc
	s_cbranch_execz .LBB6_349
; %bb.346:                              ;   in Loop: Header=BB6_274 Depth=3
	v_add_u32_e32 v5, v0, v25
	s_trap 2
	v_and_b32_e32 v5, 0x7fffffc0, v5
	ds_read_b128 v[26:29], v0
	ds_read_b64 v[6:7], v0
	v_sub_u32_e32 v5, v0, v5
	v_lshlrev_b32_e32 v5, 1, v5
	v_lshlrev_b32_e32 v4, 9, v4
	v_add3_u32 v18, v5, v11, v4
	v_ashrrev_i32_e32 v19, 31, v18
	s_waitcnt lgkmcnt(0)
	v_lshl_add_u64 v[4:5], v[26:27], 0, v[18:19]
	v_lshl_add_u64 v[14:15], v[28:29], 0, v[18:19]
	;; [unrolled: 1-line block ×3, first 2 shown]
	s_mov_b64 s[58:59], 0
.LBB6_347:                              ;   Parent Loop BB6_47 Depth=1
                                        ;     Parent Loop BB6_271 Depth=2
                                        ;       Parent Loop BB6_274 Depth=3
                                        ; =>      This Inner Loop Header: Depth=4
	flat_load_ushort v6, v[4:5] nt
	flat_load_ushort v7, v[4:5] offset:128 nt
	flat_load_ushort v24, v[4:5] offset:256 nt
	;; [unrolled: 1-line block ×3, first 2 shown]
	flat_load_ushort v27, v[14:15] nt
	flat_load_ushort v28, v[14:15] offset:128 nt
	flat_load_ushort v29, v[14:15] offset:256 nt
	;; [unrolled: 1-line block ×3, first 2 shown]
	v_sub_u32_e32 v1, v1, v34
	v_cmp_gt_i32_e32 vcc, 1, v1
	v_lshl_add_u64 v[4:5], v[4:5], 0, v[40:41]
	v_lshl_add_u64 v[14:15], v[14:15], 0, v[40:41]
	s_or_b64 s[58:59], vcc, s[58:59]
	s_waitcnt vmcnt(0) lgkmcnt(0)
	v_mul_f16_e32 v6, v6, v27
	v_mul_f16_e32 v7, v7, v28
	;; [unrolled: 1-line block ×4, first 2 shown]
	flat_store_short v[18:19], v6 nt
	flat_store_short v[18:19], v7 offset:128 nt
	flat_store_short v[18:19], v24 offset:256 nt
	flat_store_short v[18:19], v26 offset:384 nt
	v_lshl_add_u64 v[18:19], v[18:19], 0, v[40:41]
	s_andn2_b64 exec, exec, s[58:59]
	s_cbranch_execnz .LBB6_347
; %bb.348:                              ;   in Loop: Header=BB6_274 Depth=3
	s_or_b64 exec, exec, s[58:59]
.LBB6_349:                              ;   in Loop: Header=BB6_274 Depth=3
	s_or_b64 exec, exec, s[56:57]
	v_lshlrev_b32_e32 v4, 9, v31
	v_cmp_ne_u32_e32 vcc, v2, v4
	s_and_saveexec_b64 s[56:57], vcc
	s_cbranch_execz .LBB6_353
; %bb.350:                              ;   in Loop: Header=BB6_274 Depth=3
	v_add_u32_e32 v5, v0, v25
	v_and_b32_e32 v5, 0xffffffc0, v5
	v_sub_u32_e32 v0, v0, v5
	v_lshlrev_b32_e32 v1, 6, v1
	v_sub_u32_e32 v0, v0, v1
	v_ashrrev_i32_e32 v1, 31, v0
	v_lshrrev_b32_e32 v1, 26, v1
	v_add_u32_e32 v1, v0, v1
	v_and_b32_e32 v5, 0x7fffffc0, v1
	v_sub_u32_e32 v0, v0, v5
	v_lshlrev_b32_e32 v1, 1, v1
	v_and_b32_e32 v1, 0xffffff80, v1
	v_lshlrev_b32_e32 v0, 1, v0
	v_add3_u32 v1, v1, v0, v4
	v_sub_u32_e32 v0, v2, v1
	v_cmp_lt_i32_e32 vcc, 1, v0
	s_and_b64 exec, exec, vcc
	s_cbranch_execz .LBB6_353
; %bb.351:                              ;   in Loop: Header=BB6_274 Depth=3
	s_trap 2
	ds_read_b128 v[4:7], v0
	ds_read_b64 v[18:19], v0
	v_add_u32_e32 v24, v1, v11
	v_ashrrev_i32_e32 v25, 31, v24
	s_mov_b64 s[58:59], 0
	s_waitcnt lgkmcnt(0)
	v_lshl_add_u64 v[4:5], v[4:5], 0, v[24:25]
	v_lshl_add_u64 v[14:15], v[6:7], 0, v[24:25]
	;; [unrolled: 1-line block ×3, first 2 shown]
.LBB6_352:                              ;   Parent Loop BB6_47 Depth=1
                                        ;     Parent Loop BB6_271 Depth=2
                                        ;       Parent Loop BB6_274 Depth=3
                                        ; =>      This Inner Loop Header: Depth=4
	flat_load_ushort v1, v[4:5] nt
	flat_load_ushort v2, v[14:15] nt
	v_sub_u32_e32 v0, v0, v57
	v_cmp_gt_i32_e32 vcc, 2, v0
	v_lshl_add_u64 v[4:5], v[4:5], 0, v[44:45]
	v_lshl_add_u64 v[14:15], v[14:15], 0, v[44:45]
	s_or_b64 s[58:59], vcc, s[58:59]
	s_waitcnt vmcnt(0) lgkmcnt(0)
	v_mul_f16_e32 v1, v1, v2
	flat_store_short v[18:19], v1 nt
	v_lshl_add_u64 v[18:19], v[18:19], 0, v[44:45]
	s_andn2_b64 exec, exec, s[58:59]
	s_cbranch_execnz .LBB6_352
.LBB6_353:                              ;   in Loop: Header=BB6_274 Depth=3
	s_or_b64 exec, exec, s[56:57]
	s_or_b64 exec, exec, s[24:25]
	s_and_saveexec_b64 s[24:25], s[4:5]
	s_cbranch_execnz .LBB6_373
.LBB6_354:                              ;   in Loop: Header=BB6_274 Depth=3
	s_or_b64 exec, exec, s[24:25]
                                        ; implicit-def: $vgpr0
	s_and_saveexec_b64 s[24:25], s[20:21]
	s_xor_b64 s[56:57], exec, s[24:25]
	s_cbranch_execz .LBB6_391
.LBB6_355:                              ;   in Loop: Header=BB6_274 Depth=3
	v_and_b32_e32 v1, 16, v59
	v_cmp_lt_i32_e32 vcc, 0, v9
	v_cmp_ne_u32_e64 s[24:25], 0, v1
	v_and_b32_e32 v0, 16, v59
	s_and_b64 vcc, s[24:25], vcc
	s_and_saveexec_b64 s[24:25], vcc
	s_cbranch_execz .LBB6_357
; %bb.356:                              ;   in Loop: Header=BB6_274 Depth=3
	v_mov_b32_e32 v0, 1
	buffer_wbl2 sc1
	s_waitcnt vmcnt(0) lgkmcnt(0)
	buffer_inv sc1
.LBB6_357:                              ;   in Loop: Header=BB6_274 Depth=3
	s_or_b64 exec, exec, s[24:25]
	s_andn2_saveexec_b64 s[24:25], s[56:57]
	s_cbranch_execz .LBB6_410
	s_branch .LBB6_392
.LBB6_358:                              ;   in Loop: Header=BB6_274 Depth=3
	s_and_saveexec_b64 s[24:25], s[4:5]
	s_cbranch_execnz .LBB6_373
	s_branch .LBB6_354
.LBB6_359:                              ;   in Loop: Header=BB6_274 Depth=3
	v_accvgpr_read_b32 v0, a20
	v_accvgpr_read_b32 v1, a21
	v_ashrrev_i32_e32 v1, 31, v2
	v_lshrrev_b32_e32 v1, 22, v1
	v_add_u32_e32 v1, v2, v1
	v_ashrrev_i32_e32 v4, 10, v1
	v_and_b32_e32 v1, 0xfffffc00, v1
	v_sub_u32_e32 v37, v2, v1
	v_cmp_lt_i32_e32 vcc, 15, v37
	v_sub_u32_e32 v0, v2, v0
	s_nop 0
	v_addc_co_u32_e64 v31, s[24:25], v4, v61, vcc
	v_cmp_lt_i32_e64 s[24:25], 15, v0
	s_and_saveexec_b64 s[56:57], s[24:25]
	s_cbranch_execz .LBB6_363
; %bb.360:                              ;   in Loop: Header=BB6_274 Depth=3
	s_trap 2
	ds_read_b128 v[4:7], v0
	ds_read_b64 v[18:19], v0
	v_accvgpr_read_b32 v25, a21
	v_accvgpr_read_b32 v24, a20
	s_mov_b64 s[58:59], 0
	s_waitcnt lgkmcnt(0)
	v_lshl_add_u64 v[4:5], v[4:5], 0, v[24:25]
	v_lshl_add_u64 v[14:15], v[6:7], 0, v[24:25]
	;; [unrolled: 1-line block ×3, first 2 shown]
.LBB6_361:                              ;   Parent Loop BB6_47 Depth=1
                                        ;     Parent Loop BB6_271 Depth=2
                                        ;       Parent Loop BB6_274 Depth=3
                                        ; =>      This Inner Loop Header: Depth=4
	global_load_dwordx4 v[24:27], v[4:5], off nt
	global_load_dwordx4 v[52:55], v[14:15], off nt
	v_sub_u32_e32 v0, v0, v62
	v_cmp_gt_i32_e64 s[24:25], 16, v0
	v_lshl_add_u64 v[4:5], v[4:5], 0, v[42:43]
	v_lshl_add_u64 v[14:15], v[14:15], 0, v[42:43]
	v_sub_u32_e32 v31, v31, v34
	s_or_b64 s[58:59], s[24:25], s[58:59]
	s_waitcnt vmcnt(0)
	v_mul_f16_e32 v6, v24, v52
	v_mul_f16_sdwa v7, v24, v52 dst_sel:WORD_1 dst_unused:UNUSED_PAD src0_sel:WORD_1 src1_sel:WORD_1
	v_mul_f16_e32 v11, v25, v53
	v_mul_f16_sdwa v24, v25, v53 dst_sel:WORD_1 dst_unused:UNUSED_PAD src0_sel:WORD_1 src1_sel:WORD_1
	;; [unrolled: 2-line block ×4, first 2 shown]
	v_or_b32_e32 v25, v24, v11
	v_or_b32_e32 v24, v7, v6
	;; [unrolled: 1-line block ×4, first 2 shown]
	global_store_dwordx4 v[18:19], v[24:27], off nt
	v_lshl_add_u64 v[18:19], v[18:19], 0, v[42:43]
	s_andn2_b64 exec, exec, s[58:59]
	s_cbranch_execnz .LBB6_361
; %bb.362:                              ;   in Loop: Header=BB6_274 Depth=3
	s_or_b64 exec, exec, s[58:59]
	v_accvgpr_read_b32 v55, a19
	v_accvgpr_read_b32 v53, a29
	;; [unrolled: 1-line block ×4, first 2 shown]
.LBB6_363:                              ;   in Loop: Header=BB6_274 Depth=3
	s_or_b64 exec, exec, s[56:57]
	v_and_b32_e32 v5, 14, v2
	v_cndmask_b32_e32 v25, v37, v5, vcc
	v_cmp_ne_u32_e64 s[24:25], 0, v25
	s_mov_b64 s[58:59], 0
	v_mov_b32_e32 v11, 0
                                        ; implicit-def: $vgpr2
                                        ; implicit-def: $vgpr0
                                        ; implicit-def: $vgpr4
	s_and_saveexec_b64 s[56:57], s[24:25]
	s_cbranch_execz .LBB6_371
; %bb.364:                              ;   in Loop: Header=BB6_274 Depth=3
	v_sub_u32_e32 v0, v37, v5
	v_cndmask_b32_e32 v0, 0, v0, vcc
	v_cmp_lt_i32_e32 vcc, 0, v31
	v_add_u32_e32 v1, v0, v1
	v_accvgpr_read_b32 v2, a32
	v_cndmask_b32_e32 v0, 0, v34, vcc
	v_sub_u32_e32 v0, v0, v31
	v_lshl_add_u32 v0, v0, 6, v2
	v_ashrrev_i32_e32 v2, 31, v0
	v_lshrrev_b32_e32 v2, 26, v2
	v_ashrrev_i32_e32 v5, 31, v25
	v_add_u32_e32 v2, v0, v2
	v_lshrrev_b32_e32 v5, 22, v5
	v_ashrrev_i32_e32 v4, 6, v2
	v_and_b32_e32 v2, 0xffffffc0, v2
	v_add_u32_e32 v5, v25, v5
	v_sub_u32_e32 v31, v0, v2
	v_and_b32_e32 v37, 0xfffffc00, v5
	v_lshlrev_b32_e32 v0, 4, v31
	v_sub_u32_e32 v39, v25, v37
	v_lshl_add_u32 v2, v4, 10, v0
	v_ashrrev_i32_e32 v6, 10, v5
	v_cmp_lt_i32_e32 vcc, 15, v39
	v_sub_u32_e32 v0, v25, v2
	s_nop 0
	v_addc_co_u32_e64 v5, s[24:25], 0, v6, vcc
	v_sub_u32_e32 v38, v5, v4
	v_cmp_lt_i32_e64 s[24:25], 15, v0
	s_and_saveexec_b64 s[58:59], s[24:25]
	s_cbranch_execz .LBB6_368
; %bb.365:                              ;   in Loop: Header=BB6_274 Depth=3
	s_trap 2
	ds_read_b128 v[4:7], v0
	ds_read_b64 v[18:19], v0
	v_add_u32_e32 v26, v2, v1
	v_ashrrev_i32_e32 v27, 31, v26
	s_mov_b64 s[60:61], 0
	s_waitcnt lgkmcnt(0)
	v_lshl_add_u64 v[4:5], v[4:5], 0, v[26:27]
	v_lshl_add_u64 v[14:15], v[6:7], 0, v[26:27]
	;; [unrolled: 1-line block ×3, first 2 shown]
.LBB6_366:                              ;   Parent Loop BB6_47 Depth=1
                                        ;     Parent Loop BB6_271 Depth=2
                                        ;       Parent Loop BB6_274 Depth=3
                                        ; =>      This Inner Loop Header: Depth=4
	global_load_dwordx4 v[26:29], v[4:5], off nt
	global_load_dwordx4 v[52:55], v[14:15], off nt
	v_sub_u32_e32 v0, v0, v62
	v_cmp_gt_i32_e64 s[24:25], 16, v0
	v_lshl_add_u64 v[4:5], v[4:5], 0, v[42:43]
	v_lshl_add_u64 v[14:15], v[14:15], 0, v[42:43]
	v_sub_u32_e32 v38, v38, v34
	s_or_b64 s[60:61], s[24:25], s[60:61]
	s_waitcnt vmcnt(0)
	v_mul_f16_e32 v2, v26, v52
	v_mul_f16_sdwa v6, v26, v52 dst_sel:WORD_1 dst_unused:UNUSED_PAD src0_sel:WORD_1 src1_sel:WORD_1
	v_mul_f16_e32 v7, v27, v53
	v_mul_f16_sdwa v11, v27, v53 dst_sel:WORD_1 dst_unused:UNUSED_PAD src0_sel:WORD_1 src1_sel:WORD_1
	;; [unrolled: 2-line block ×4, first 2 shown]
	v_or_b32_e32 v27, v11, v7
	v_or_b32_e32 v26, v6, v2
	;; [unrolled: 1-line block ×4, first 2 shown]
	global_store_dwordx4 v[18:19], v[26:29], off nt
	v_lshl_add_u64 v[18:19], v[18:19], 0, v[42:43]
	s_andn2_b64 exec, exec, s[60:61]
	s_cbranch_execnz .LBB6_366
; %bb.367:                              ;   in Loop: Header=BB6_274 Depth=3
	s_or_b64 exec, exec, s[60:61]
	v_accvgpr_read_b32 v55, a19
	v_accvgpr_read_b32 v53, a29
	;; [unrolled: 1-line block ×4, first 2 shown]
.LBB6_368:                              ;   in Loop: Header=BB6_274 Depth=3
	s_or_b64 exec, exec, s[58:59]
	v_and_b32_e32 v5, 14, v25
	v_cndmask_b32_e32 v2, v39, v5, vcc
	v_cmp_ne_u32_e64 s[24:25], 0, v2
	s_mov_b64 s[58:59], 0
	v_mov_b32_e32 v11, 0
                                        ; implicit-def: $vgpr0
                                        ; implicit-def: $vgpr4
	s_and_saveexec_b64 s[60:61], s[24:25]
	s_cbranch_execz .LBB6_370
; %bb.369:                              ;   in Loop: Header=BB6_274 Depth=3
	v_sub_u32_e32 v0, v39, v5
	v_cndmask_b32_e32 v0, 0, v0, vcc
	v_cmp_lt_i32_e32 vcc, 0, v38
	v_add3_u32 v11, v37, v1, v0
	s_mov_b64 s[58:59], exec
	v_cndmask_b32_e32 v0, 0, v34, vcc
	v_sub_u32_e32 v0, v0, v38
	v_lshl_add_u32 v0, v0, 6, v31
	v_ashrrev_i32_e32 v1, 31, v0
	v_lshrrev_b32_e32 v1, 26, v1
	v_add_u32_e32 v1, v0, v1
	v_ashrrev_i32_e32 v4, 6, v1
.LBB6_370:                              ;   in Loop: Header=BB6_274 Depth=3
	s_or_b64 exec, exec, s[60:61]
	s_and_b64 s[58:59], s[58:59], exec
	v_accvgpr_read_b32 v39, a15
	v_mov_b32_e32 v38, 1
.LBB6_371:                              ;   in Loop: Header=BB6_274 Depth=3
	s_or_b64 exec, exec, s[56:57]
	s_and_saveexec_b64 s[24:25], s[58:59]
	s_cbranch_execnz .LBB6_345
.LBB6_372:                              ;   in Loop: Header=BB6_274 Depth=3
	s_or_b64 exec, exec, s[24:25]
	s_and_saveexec_b64 s[24:25], s[4:5]
	s_cbranch_execz .LBB6_354
.LBB6_373:                              ;   in Loop: Header=BB6_274 Depth=3
	s_and_saveexec_b64 vcc, s[38:39]
	s_xor_b64 s[56:57], exec, vcc
	s_cbranch_execz .LBB6_388
; %bb.374:                              ;   in Loop: Header=BB6_274 Depth=3
	s_and_saveexec_b64 s[58:59], s[12:13]
	s_cbranch_execz .LBB6_387
; %bb.375:                              ;   in Loop: Header=BB6_274 Depth=3
	s_mov_b64 s[62:63], exec
	v_mbcnt_lo_u32_b32 v0, s62, 0
	v_mbcnt_hi_u32_b32 v0, s63, v0
	v_cmp_eq_u32_e32 vcc, 0, v0
	s_waitcnt lgkmcnt(0)
	s_and_saveexec_b64 s[60:61], vcc
	s_cbranch_execz .LBB6_377
; %bb.376:                              ;   in Loop: Header=BB6_274 Depth=3
	s_bcnt1_i32_b64 vcc_lo, s[62:63]
	v_mov_b32_e32 v2, vcc_lo
	ds_add_u64 v0, v[2:3]
	s_trap 2
.LBB6_377:                              ;   in Loop: Header=BB6_274 Depth=3
	s_or_b64 exec, exec, s[60:61]
	s_trap 2
	ds_read_b64 v[0:1], v0
	v_lshl_add_u64 v[12:13], v[12:13], 0, v[34:35]
	s_waitcnt lgkmcnt(0)
	v_cmp_lt_u64_e32 vcc, v[0:1], v[12:13]
	s_and_saveexec_b64 s[60:61], vcc
	s_cbranch_execz .LBB6_386
; %bb.378:                              ;   in Loop: Header=BB6_274 Depth=3
	s_mov_b32 s86, 0
	s_mov_b64 s[62:63], 0
                                        ; implicit-def: $sgpr64_sgpr65
                                        ; implicit-def: $sgpr66_sgpr67
	s_branch .LBB6_380
.LBB6_379:                              ;   in Loop: Header=BB6_380 Depth=4
	s_or_b64 exec, exec, s[70:71]
	s_and_b64 vcc, exec, vcc
	s_or_b64 s[62:63], vcc, s[62:63]
	s_andn2_b64 vcc, s[64:65], exec
	s_and_b64 s[64:65], s[66:67], exec
	s_or_b64 s[64:65], vcc, s[64:65]
	s_andn2_b64 exec, exec, s[62:63]
	s_cbranch_execz .LBB6_384
.LBB6_380:                              ;   Parent Loop BB6_47 Depth=1
                                        ;     Parent Loop BB6_271 Depth=2
                                        ;       Parent Loop BB6_274 Depth=3
                                        ; =>      This Inner Loop Header: Depth=4
	s_add_i32 s86, s86, 1
	s_cmpk_lg_i32 s86, 0x2710
	s_cselect_b64 s[68:69], -1, 0
	s_and_b64 vcc, exec, s[68:69]
                                        ; implicit-def: $sgpr70_sgpr71
	s_cbranch_vccnz .LBB6_382
; %bb.381:                              ;   in Loop: Header=BB6_380 Depth=4
	s_trap 2
	ds_read_b64 v[0:1], v0
	s_andn2_b64 s[68:69], s[68:69], exec
	s_mov_b32 s86, 0
	s_mov_b64 s[70:71], -1
	s_waitcnt vmcnt(0) lgkmcnt(0)
	flat_load_dword v0, v[0:1] sc0 sc1
	s_waitcnt vmcnt(0) lgkmcnt(0)
	buffer_inv sc0 sc1
	v_cmp_eq_u32_e32 vcc, 0, v0
	s_and_b64 vcc, vcc, exec
	s_or_b64 s[68:69], s[68:69], vcc
.LBB6_382:                              ;   in Loop: Header=BB6_380 Depth=4
	s_andn2_b64 s[66:67], s[66:67], exec
	s_and_b64 s[70:71], s[70:71], exec
	s_mov_b64 vcc, -1
	s_or_b64 s[66:67], s[66:67], s[70:71]
	s_and_saveexec_b64 s[70:71], s[68:69]
	s_cbranch_execz .LBB6_379
; %bb.383:                              ;   in Loop: Header=BB6_380 Depth=4
	s_sleep 1
	s_trap 2
	ds_read_b64 v[0:1], v0
	s_andn2_b64 s[66:67], s[66:67], exec
	s_waitcnt lgkmcnt(0)
	v_cmp_ge_u64_e32 vcc, v[0:1], v[12:13]
	s_orn2_b64 vcc, vcc, exec
	s_branch .LBB6_379
.LBB6_384:                              ;   in Loop: Header=BB6_274 Depth=3
	s_or_b64 exec, exec, s[62:63]
	s_and_saveexec_b64 vcc, s[64:65]
	s_xor_b64 vcc, exec, vcc
	s_cbranch_execz .LBB6_386
; %bb.385:                              ;   in Loop: Header=BB6_274 Depth=3
	ds_write_b32 v0, v38
	s_trap 2
.LBB6_386:                              ;   in Loop: Header=BB6_274 Depth=3
	s_or_b64 exec, exec, s[60:61]
	;;#ASMSTART
	s_wakeup
	;;#ASMEND
.LBB6_387:                              ;   in Loop: Header=BB6_274 Depth=3
	s_or_b64 exec, exec, s[58:59]
.LBB6_388:                              ;   in Loop: Header=BB6_274 Depth=3
	s_andn2_saveexec_b64 vcc, s[56:57]
	s_cbranch_execz .LBB6_390
; %bb.389:                              ;   in Loop: Header=BB6_274 Depth=3
	s_waitcnt lgkmcnt(0)
	s_barrier
.LBB6_390:                              ;   in Loop: Header=BB6_274 Depth=3
	s_or_b64 exec, exec, vcc
	s_or_b64 exec, exec, s[24:25]
                                        ; implicit-def: $vgpr0
	s_and_saveexec_b64 s[24:25], s[20:21]
	s_xor_b64 s[56:57], exec, s[24:25]
	s_cbranch_execnz .LBB6_355
.LBB6_391:                              ;   in Loop: Header=BB6_274 Depth=3
	s_andn2_saveexec_b64 s[24:25], s[56:57]
	s_cbranch_execz .LBB6_410
.LBB6_392:                              ;   in Loop: Header=BB6_274 Depth=3
	s_and_saveexec_b64 vcc, s[38:39]
	s_xor_b64 s[56:57], exec, vcc
	s_cbranch_execz .LBB6_407
; %bb.393:                              ;   in Loop: Header=BB6_274 Depth=3
	s_and_saveexec_b64 s[58:59], s[12:13]
	s_cbranch_execz .LBB6_406
; %bb.394:                              ;   in Loop: Header=BB6_274 Depth=3
	s_mov_b64 s[62:63], exec
	v_mbcnt_lo_u32_b32 v0, s62, 0
	v_mbcnt_hi_u32_b32 v0, s63, v0
	v_cmp_eq_u32_e32 vcc, 0, v0
	;;#ASMSTART
	s_waitcnt lgkmcnt(0) vmcnt(0)
	;;#ASMEND
	s_and_saveexec_b64 s[60:61], vcc
	s_cbranch_execz .LBB6_396
; %bb.395:                              ;   in Loop: Header=BB6_274 Depth=3
	s_bcnt1_i32_b64 vcc_lo, s[62:63]
	v_mov_b32_e32 v2, vcc_lo
	ds_add_u64 v0, v[2:3]
	s_trap 2
.LBB6_396:                              ;   in Loop: Header=BB6_274 Depth=3
	s_or_b64 exec, exec, s[60:61]
	s_trap 2
	ds_read_b64 v[0:1], v0
	v_lshl_add_u64 v[12:13], v[12:13], 0, v[34:35]
	s_waitcnt lgkmcnt(0)
	v_cmp_lt_u64_e32 vcc, v[0:1], v[12:13]
	s_and_saveexec_b64 s[60:61], vcc
	s_cbranch_execz .LBB6_405
; %bb.397:                              ;   in Loop: Header=BB6_274 Depth=3
	s_mov_b32 s86, 0
	s_mov_b64 s[62:63], 0
                                        ; implicit-def: $sgpr64_sgpr65
                                        ; implicit-def: $sgpr66_sgpr67
	s_branch .LBB6_399
.LBB6_398:                              ;   in Loop: Header=BB6_399 Depth=4
	s_or_b64 exec, exec, s[70:71]
	s_and_b64 vcc, exec, vcc
	s_or_b64 s[62:63], vcc, s[62:63]
	s_andn2_b64 vcc, s[64:65], exec
	s_and_b64 s[64:65], s[66:67], exec
	s_or_b64 s[64:65], vcc, s[64:65]
	s_andn2_b64 exec, exec, s[62:63]
	s_cbranch_execz .LBB6_403
.LBB6_399:                              ;   Parent Loop BB6_47 Depth=1
                                        ;     Parent Loop BB6_271 Depth=2
                                        ;       Parent Loop BB6_274 Depth=3
                                        ; =>      This Inner Loop Header: Depth=4
	s_add_i32 s86, s86, 1
	s_cmpk_lg_i32 s86, 0x2710
	s_cselect_b64 s[68:69], -1, 0
	s_and_b64 vcc, exec, s[68:69]
                                        ; implicit-def: $sgpr70_sgpr71
	s_cbranch_vccnz .LBB6_401
; %bb.400:                              ;   in Loop: Header=BB6_399 Depth=4
	s_trap 2
	ds_read_b64 v[0:1], v0
	s_andn2_b64 s[68:69], s[68:69], exec
	s_mov_b32 s86, 0
	s_mov_b64 s[70:71], -1
	s_waitcnt vmcnt(0) lgkmcnt(0)
	flat_load_dword v0, v[0:1] sc0 sc1
	s_waitcnt vmcnt(0) lgkmcnt(0)
	buffer_inv sc0 sc1
	v_cmp_eq_u32_e32 vcc, 0, v0
	s_and_b64 vcc, vcc, exec
	s_or_b64 s[68:69], s[68:69], vcc
.LBB6_401:                              ;   in Loop: Header=BB6_399 Depth=4
	s_andn2_b64 s[66:67], s[66:67], exec
	s_and_b64 s[70:71], s[70:71], exec
	s_mov_b64 vcc, -1
	s_or_b64 s[66:67], s[66:67], s[70:71]
	s_and_saveexec_b64 s[70:71], s[68:69]
	s_cbranch_execz .LBB6_398
; %bb.402:                              ;   in Loop: Header=BB6_399 Depth=4
	s_sleep 1
	s_trap 2
	ds_read_b64 v[0:1], v0
	s_andn2_b64 s[66:67], s[66:67], exec
	s_waitcnt lgkmcnt(0)
	v_cmp_ge_u64_e32 vcc, v[0:1], v[12:13]
	s_orn2_b64 vcc, vcc, exec
	s_branch .LBB6_398
.LBB6_403:                              ;   in Loop: Header=BB6_274 Depth=3
	s_or_b64 exec, exec, s[62:63]
	s_and_saveexec_b64 vcc, s[64:65]
	s_xor_b64 vcc, exec, vcc
	s_cbranch_execz .LBB6_405
; %bb.404:                              ;   in Loop: Header=BB6_274 Depth=3
	ds_write_b32 v0, v38
	s_trap 2
.LBB6_405:                              ;   in Loop: Header=BB6_274 Depth=3
	s_or_b64 exec, exec, s[60:61]
	;;#ASMSTART
	s_wakeup
	;;#ASMEND
.LBB6_406:                              ;   in Loop: Header=BB6_274 Depth=3
	s_or_b64 exec, exec, s[58:59]
.LBB6_407:                              ;   in Loop: Header=BB6_274 Depth=3
	s_andn2_saveexec_b64 vcc, s[56:57]
	s_cbranch_execz .LBB6_409
; %bb.408:                              ;   in Loop: Header=BB6_274 Depth=3
	;;#ASMSTART
	s_waitcnt lgkmcnt(0) vmcnt(0)
	;;#ASMEND
	s_barrier
.LBB6_409:                              ;   in Loop: Header=BB6_274 Depth=3
	s_or_b64 exec, exec, vcc
	v_and_b32_e32 v0, 16, v59
.LBB6_410:                              ;   in Loop: Header=BB6_274 Depth=3
	s_or_b64 exec, exec, s[24:25]
	v_cmp_ne_u32_e32 vcc, 0, v0
	s_xor_b64 s[24:25], s[6:7], -1
	s_and_b64 vcc, vcc, s[24:25]
	s_and_saveexec_b64 s[24:25], vcc
	s_cbranch_execz .LBB6_412
; %bb.411:                              ;   in Loop: Header=BB6_274 Depth=3
	flat_store_dword v[54:55], v38 sc0 sc1
.LBB6_412:                              ;   in Loop: Header=BB6_274 Depth=3
	s_or_b64 exec, exec, s[24:25]
	v_and_b32_e32 v0, 48, v59
	v_cmp_ne_u32_e32 vcc, 0, v0
	s_and_saveexec_b64 s[24:25], vcc
	s_cbranch_execz .LBB6_273
; %bb.413:                              ;   in Loop: Header=BB6_274 Depth=3
	v_lshl_add_u64 v[20:21], v[20:21], 0, 2
	flat_store_dwordx2 v[22:23], v[20:21] sc0 sc1
	s_branch .LBB6_273
.LBB6_414:                              ;   in Loop: Header=BB6_271 Depth=2
	s_or_b64 exec, exec, s[28:29]
.LBB6_415:                              ;   in Loop: Header=BB6_271 Depth=2
	s_or_b64 exec, exec, s[26:27]
	v_cmp_gt_i32_e32 vcc, 2, v0
	s_and_saveexec_b64 s[26:27], vcc
	s_cbranch_execz .LBB6_270
; %bb.416:                              ;   in Loop: Header=BB6_271 Depth=2
	v_cmp_eq_u32_e64 s[24:25], 0, v0
	s_mov_b64 s[28:29], 0
	s_branch .LBB6_418
.LBB6_417:                              ;   in Loop: Header=BB6_418 Depth=3
	s_or_b64 exec, exec, s[24:25]
	v_add_u32_e32 v10, v8, v10
	s_mov_b64 s[24:25], 0
	s_andn2_b64 exec, exec, s[28:29]
	s_cbranch_execz .LBB6_269
.LBB6_418:                              ;   Parent Loop BB6_47 Depth=1
                                        ;     Parent Loop BB6_271 Depth=2
                                        ; =>    This Loop Header: Depth=3
                                        ;         Child Loop BB6_424 Depth 4
                                        ;         Child Loop BB6_462 Depth 4
	;; [unrolled: 1-line block ×3, first 2 shown]
	v_and_b32_e32 v0, 12, v59
	s_mov_b64 s[56:57], -1
	v_cmp_ne_u32_e32 vcc, 0, v0
	s_and_saveexec_b64 s[54:55], vcc
	s_cbranch_execz .LBB6_430
; %bb.419:                              ;   in Loop: Header=BB6_418 Depth=3
	v_and_b32_e32 v2, 8, v59
	v_lshl_add_u64 v[0:1], v[32:33], 0, v[2:3]
	v_lshl_add_u64 v[4:5], v[20:21], 0, 2
	v_cmp_lt_u64_e32 vcc, v[0:1], v[4:5]
	v_mov_b32_e32 v0, 1
	s_and_saveexec_b64 s[56:57], vcc
	s_cbranch_execz .LBB6_429
; %bb.420:                              ;   in Loop: Header=BB6_418 Depth=3
	s_mov_b64 s[58:59], 0
	v_mov_b32_e32 v0, 0
                                        ; implicit-def: $sgpr60_sgpr61
	s_branch .LBB6_424
.LBB6_421:                              ;   in Loop: Header=BB6_424 Depth=4
	s_or_b64 exec, exec, s[68:69]
	v_mov_b32_e32 v1, 0
	s_orn2_b64 s[66:67], s[66:67], exec
.LBB6_422:                              ;   in Loop: Header=BB6_424 Depth=4
	s_or_b64 exec, exec, s[64:65]
	s_andn2_b64 vcc, s[60:61], exec
	s_and_b64 s[60:61], s[66:67], exec
	s_or_b64 s[60:61], vcc, s[60:61]
	v_mov_b32_e32 v0, v1
.LBB6_423:                              ;   in Loop: Header=BB6_424 Depth=4
	s_or_b64 exec, exec, s[62:63]
	s_waitcnt vmcnt(0) lgkmcnt(0)
	v_lshl_add_u64 v[6:7], v[32:33], 0, v[2:3]
	v_cmp_ge_u64_e32 vcc, v[6:7], v[4:5]
	s_xor_b64 s[62:63], s[60:61], -1
	s_or_b64 vcc, s[62:63], vcc
	s_and_b64 vcc, exec, vcc
	s_or_b64 s[58:59], vcc, s[58:59]
	s_andn2_b64 exec, exec, s[58:59]
	s_cbranch_execz .LBB6_428
.LBB6_424:                              ;   Parent Loop BB6_47 Depth=1
                                        ;     Parent Loop BB6_271 Depth=2
                                        ;       Parent Loop BB6_418 Depth=3
                                        ; =>      This Inner Loop Header: Depth=4
	s_sleep 1
	flat_load_dwordx2 v[32:33], v[22:23] sc0 sc1
	v_and_b32_e32 v1, 64, v59
	v_cmp_eq_u32_e32 vcc, 0, v1
	s_andn2_b64 s[60:61], s[60:61], exec
	s_and_saveexec_b64 s[62:63], vcc
	s_cbranch_execz .LBB6_423
; %bb.425:                              ;   in Loop: Header=BB6_424 Depth=4
	v_add_u32_e32 v1, 1, v0
	v_cmp_lt_i32_e32 vcc, s82, v0
	s_mov_b64 s[66:67], -1
	s_and_saveexec_b64 s[64:65], vcc
	s_cbranch_execz .LBB6_422
; %bb.426:                              ;   in Loop: Header=BB6_424 Depth=4
	s_trap 2
	ds_read_b64 v[0:1], v0
	s_waitcnt vmcnt(0) lgkmcnt(0)
	flat_load_dword v0, v[0:1] sc0 sc1
	s_waitcnt vmcnt(0) lgkmcnt(0)
	buffer_inv sc0 sc1
	v_cmp_ne_u32_e32 vcc, 0, v0
	s_and_saveexec_b64 s[68:69], vcc
	s_cbranch_execz .LBB6_421
; %bb.427:                              ;   in Loop: Header=BB6_424 Depth=4
	v_or_b32_e32 v59, 64, v59
	s_xor_b64 s[66:67], exec, -1
	ds_write_b32 v0, v0
	s_trap 2
	s_branch .LBB6_421
.LBB6_428:                              ;   in Loop: Header=BB6_418 Depth=3
	s_or_b64 exec, exec, s[58:59]
	v_and_b32_e32 v0, 12, v59
.LBB6_429:                              ;   in Loop: Header=BB6_418 Depth=3
	s_or_b64 exec, exec, s[56:57]
	v_cmp_eq_u32_e32 vcc, 0, v0
	s_orn2_b64 s[56:57], vcc, exec
	;;#ASMSTART
	s_wakeup
	;;#ASMEND
.LBB6_430:                              ;   in Loop: Header=BB6_418 Depth=3
	s_or_b64 exec, exec, s[54:55]
	s_xor_b64 s[24:25], s[24:25], -1
	s_and_b64 s[24:25], exec, s[24:25]
	s_or_b64 s[28:29], s[24:25], s[28:29]
	v_sub_u32_e32 v0, v30, v10
	s_xor_b64 s[24:25], s[56:57], -1
	v_min_i32_e32 v8, v8, v0
	s_and_saveexec_b64 s[54:55], s[24:25]
	s_cbranch_execz .LBB6_454
; %bb.431:                              ;   in Loop: Header=BB6_418 Depth=3
	v_and_b32_e32 v0, 0x108, v59
	v_cmp_ne_u32_e32 vcc, s83, v0
	v_and_b32_e32 v2, 7, v20
	s_and_saveexec_b64 s[24:25], vcc
	s_xor_b64 s[24:25], exec, s[24:25]
	s_andn2_saveexec_b64 s[24:25], s[24:25]
	s_cbranch_execz .LBB6_433
; %bb.432:                              ;   in Loop: Header=BB6_418 Depth=3
	v_ashrrev_i32_e32 v9, 31, v8
	v_mad_u64_u32 v[0:1], vcc, v2, 24, v[48:49]
	v_lshlrev_b64 v[4:5], 1, v[8:9]
	flat_store_dwordx2 v[0:1], v[4:5] offset:8
.LBB6_433:                              ;   in Loop: Header=BB6_418 Depth=3
	s_or_b64 exec, exec, s[24:25]
	v_and_b32_e32 v0, 0x100, v59
	v_cmp_ne_u32_e32 vcc, 0, v0
	s_mov_b64 s[24:25], -1
                                        ; implicit-def: $vgpr4_vgpr5
	s_and_saveexec_b64 s[56:57], vcc
	s_cbranch_execz .LBB6_437
; %bb.434:                              ;   in Loop: Header=BB6_418 Depth=3
	v_mad_u64_u32 v[14:15], s[24:25], v2, 24, v[48:49]
	v_mov_b32_e32 v0, v15
	v_mad_u64_u32 v[0:1], s[24:25], v3, 24, v[0:1]
	v_mov_b32_e32 v15, v0
	flat_load_dword v0, v[14:15]
                                        ; implicit-def: $vgpr4_vgpr5
	s_waitcnt vmcnt(0) lgkmcnt(0)
	v_cmp_ne_u32_e32 vcc, 1, v0
	v_cmp_eq_u32_e64 s[24:25], 1, v0
	s_and_saveexec_b64 s[58:59], s[24:25]
	s_cbranch_execz .LBB6_436
; %bb.435:                              ;   in Loop: Header=BB6_418 Depth=3
	flat_load_dword v0, v[14:15] offset:4 sc0 sc1
	s_waitcnt vmcnt(0) lgkmcnt(0)
	v_ashrrev_i32_e32 v1, 31, v0
	v_lshrrev_b64 v[4:5], 1, v[0:1]
.LBB6_436:                              ;   in Loop: Header=BB6_418 Depth=3
	s_or_b64 exec, exec, s[58:59]
	s_orn2_b64 s[24:25], vcc, exec
.LBB6_437:                              ;   in Loop: Header=BB6_418 Depth=3
	s_or_b64 exec, exec, s[56:57]
	s_and_saveexec_b64 vcc, s[24:25]
; %bb.438:                              ;   in Loop: Header=BB6_418 Depth=3
	v_mul_lo_u32 v0, v3, v56
	v_mul_lo_u32 v1, v2, v39
	v_mad_u64_u32 v[4:5], s[24:25], v2, v56, 0
	v_add3_u32 v5, v5, v1, v0
; %bb.439:                              ;   in Loop: Header=BB6_418 Depth=3
	s_or_b64 exec, exec, vcc
	v_lshl_add_u64 v[0:1], v[4:5], 1, v[46:47]
	s_trap 2
	ds_write_b64 v0, v[0:1]
	v_and_b32_e32 v0, 0x2000, v59
	v_cmp_ne_u32_e32 vcc, 0, v0
	s_and_saveexec_b64 s[24:25], vcc
	s_cbranch_execz .LBB6_441
; %bb.440:                              ;   in Loop: Header=BB6_418 Depth=3
	ds_read_b64 v[0:1], v0 offset:584
	s_waitcnt lgkmcnt(0)
	v_lshl_add_u64 v[0:1], v[0:1], 0, 1
	ds_write_b64 v0, v[0:1] offset:584
.LBB6_441:                              ;   in Loop: Header=BB6_418 Depth=3
	s_or_b64 exec, exec, s[24:25]
	v_lshl_add_u64 v[20:21], v[20:21], 0, 2
	s_or_b64 exec, exec, s[54:55]
	s_and_saveexec_b64 s[24:25], s[4:5]
	s_cbranch_execnz .LBB6_455
.LBB6_442:                              ;   in Loop: Header=BB6_418 Depth=3
	s_or_b64 exec, exec, s[24:25]
                                        ; implicit-def: $vgpr0
	s_and_saveexec_b64 s[24:25], s[48:49]
	s_xor_b64 s[24:25], exec, s[24:25]
	s_cbranch_execz .LBB6_480
.LBB6_443:                              ;   in Loop: Header=BB6_418 Depth=3
	s_and_saveexec_b64 vcc, s[38:39]
	s_xor_b64 s[54:55], exec, vcc
	s_cbranch_execz .LBB6_470
; %bb.444:                              ;   in Loop: Header=BB6_418 Depth=3
	s_and_saveexec_b64 s[56:57], s[12:13]
	s_cbranch_execz .LBB6_469
; %bb.445:                              ;   in Loop: Header=BB6_418 Depth=3
	s_mov_b64 s[60:61], exec
	v_mbcnt_lo_u32_b32 v0, s60, 0
	v_mbcnt_hi_u32_b32 v0, s61, v0
	v_cmp_eq_u32_e32 vcc, 0, v0
	;;#ASMSTART
	s_waitcnt lgkmcnt(0) vmcnt(0)
	;;#ASMEND
	s_and_saveexec_b64 s[58:59], vcc
	s_cbranch_execz .LBB6_447
; %bb.446:                              ;   in Loop: Header=BB6_418 Depth=3
	s_bcnt1_i32_b64 vcc_lo, s[60:61]
	v_mov_b32_e32 v2, vcc_lo
	ds_add_u64 v0, v[2:3]
	s_trap 2
.LBB6_447:                              ;   in Loop: Header=BB6_418 Depth=3
	s_or_b64 exec, exec, s[58:59]
	s_trap 2
	ds_read_b64 v[0:1], v0
	v_lshl_add_u64 v[12:13], v[12:13], 0, v[34:35]
	s_waitcnt lgkmcnt(0)
	v_cmp_lt_u64_e32 vcc, v[0:1], v[12:13]
	s_and_saveexec_b64 s[58:59], vcc
	s_cbranch_execz .LBB6_468
; %bb.448:                              ;   in Loop: Header=BB6_418 Depth=3
	s_mov_b32 s70, 0
	s_mov_b64 s[60:61], 0
                                        ; implicit-def: $sgpr62_sgpr63
                                        ; implicit-def: $sgpr64_sgpr65
	s_branch .LBB6_450
.LBB6_449:                              ;   in Loop: Header=BB6_450 Depth=4
	s_or_b64 exec, exec, s[68:69]
	s_and_b64 vcc, exec, vcc
	s_or_b64 s[60:61], vcc, s[60:61]
	s_andn2_b64 vcc, s[62:63], exec
	s_and_b64 s[62:63], s[64:65], exec
	s_or_b64 s[62:63], vcc, s[62:63]
	s_andn2_b64 exec, exec, s[60:61]
	s_cbranch_execz .LBB6_466
.LBB6_450:                              ;   Parent Loop BB6_47 Depth=1
                                        ;     Parent Loop BB6_271 Depth=2
                                        ;       Parent Loop BB6_418 Depth=3
                                        ; =>      This Inner Loop Header: Depth=4
	s_add_i32 s70, s70, 1
	s_cmpk_lg_i32 s70, 0x2710
	s_cselect_b64 s[66:67], -1, 0
	s_and_b64 vcc, exec, s[66:67]
                                        ; implicit-def: $sgpr68_sgpr69
	s_cbranch_vccnz .LBB6_452
; %bb.451:                              ;   in Loop: Header=BB6_450 Depth=4
	s_trap 2
	ds_read_b64 v[0:1], v0
	s_andn2_b64 s[66:67], s[66:67], exec
	s_mov_b32 s70, 0
	s_mov_b64 s[68:69], -1
	s_waitcnt vmcnt(0) lgkmcnt(0)
	flat_load_dword v0, v[0:1] sc0 sc1
	s_waitcnt vmcnt(0) lgkmcnt(0)
	buffer_inv sc0 sc1
	v_cmp_eq_u32_e32 vcc, 0, v0
	s_and_b64 vcc, vcc, exec
	s_or_b64 s[66:67], s[66:67], vcc
.LBB6_452:                              ;   in Loop: Header=BB6_450 Depth=4
	s_andn2_b64 s[64:65], s[64:65], exec
	s_and_b64 s[68:69], s[68:69], exec
	s_mov_b64 vcc, -1
	s_or_b64 s[64:65], s[64:65], s[68:69]
	s_and_saveexec_b64 s[68:69], s[66:67]
	s_cbranch_execz .LBB6_449
; %bb.453:                              ;   in Loop: Header=BB6_450 Depth=4
	s_sleep 1
	s_trap 2
	ds_read_b64 v[0:1], v0
	s_andn2_b64 s[64:65], s[64:65], exec
	s_waitcnt lgkmcnt(0)
	v_cmp_ge_u64_e32 vcc, v[0:1], v[12:13]
	s_orn2_b64 vcc, vcc, exec
	s_branch .LBB6_449
.LBB6_454:                              ;   in Loop: Header=BB6_418 Depth=3
	s_or_b64 exec, exec, s[54:55]
	s_and_saveexec_b64 s[24:25], s[4:5]
	s_cbranch_execz .LBB6_442
.LBB6_455:                              ;   in Loop: Header=BB6_418 Depth=3
	s_and_saveexec_b64 vcc, s[38:39]
	s_xor_b64 s[54:55], exec, vcc
	s_cbranch_execz .LBB6_477
; %bb.456:                              ;   in Loop: Header=BB6_418 Depth=3
	s_and_saveexec_b64 s[56:57], s[12:13]
	s_cbranch_execz .LBB6_476
; %bb.457:                              ;   in Loop: Header=BB6_418 Depth=3
	s_mov_b64 s[60:61], exec
	v_mbcnt_lo_u32_b32 v0, s60, 0
	v_mbcnt_hi_u32_b32 v0, s61, v0
	v_cmp_eq_u32_e32 vcc, 0, v0
	s_waitcnt lgkmcnt(0)
	s_and_saveexec_b64 s[58:59], vcc
	s_cbranch_execz .LBB6_459
; %bb.458:                              ;   in Loop: Header=BB6_418 Depth=3
	s_bcnt1_i32_b64 vcc_lo, s[60:61]
	v_mov_b32_e32 v2, vcc_lo
	ds_add_u64 v0, v[2:3]
	s_trap 2
.LBB6_459:                              ;   in Loop: Header=BB6_418 Depth=3
	s_or_b64 exec, exec, s[58:59]
	s_trap 2
	ds_read_b64 v[0:1], v0
	v_lshl_add_u64 v[12:13], v[12:13], 0, v[34:35]
	s_waitcnt lgkmcnt(0)
	v_cmp_lt_u64_e32 vcc, v[0:1], v[12:13]
	s_and_saveexec_b64 s[58:59], vcc
	s_cbranch_execz .LBB6_475
; %bb.460:                              ;   in Loop: Header=BB6_418 Depth=3
	s_mov_b32 s70, 0
	s_mov_b64 s[60:61], 0
                                        ; implicit-def: $sgpr62_sgpr63
                                        ; implicit-def: $sgpr64_sgpr65
	s_branch .LBB6_462
.LBB6_461:                              ;   in Loop: Header=BB6_462 Depth=4
	s_or_b64 exec, exec, s[68:69]
	s_and_b64 vcc, exec, vcc
	s_or_b64 s[60:61], vcc, s[60:61]
	s_andn2_b64 vcc, s[62:63], exec
	s_and_b64 s[62:63], s[64:65], exec
	s_or_b64 s[62:63], vcc, s[62:63]
	s_andn2_b64 exec, exec, s[60:61]
	s_cbranch_execz .LBB6_473
.LBB6_462:                              ;   Parent Loop BB6_47 Depth=1
                                        ;     Parent Loop BB6_271 Depth=2
                                        ;       Parent Loop BB6_418 Depth=3
                                        ; =>      This Inner Loop Header: Depth=4
	s_add_i32 s70, s70, 1
	s_cmpk_lg_i32 s70, 0x2710
	s_cselect_b64 s[66:67], -1, 0
	s_and_b64 vcc, exec, s[66:67]
                                        ; implicit-def: $sgpr68_sgpr69
	s_cbranch_vccnz .LBB6_464
; %bb.463:                              ;   in Loop: Header=BB6_462 Depth=4
	s_trap 2
	ds_read_b64 v[0:1], v0
	s_andn2_b64 s[66:67], s[66:67], exec
	s_mov_b32 s70, 0
	s_mov_b64 s[68:69], -1
	s_waitcnt vmcnt(0) lgkmcnt(0)
	flat_load_dword v0, v[0:1] sc0 sc1
	s_waitcnt vmcnt(0) lgkmcnt(0)
	buffer_inv sc0 sc1
	v_cmp_eq_u32_e32 vcc, 0, v0
	s_and_b64 vcc, vcc, exec
	s_or_b64 s[66:67], s[66:67], vcc
.LBB6_464:                              ;   in Loop: Header=BB6_462 Depth=4
	s_andn2_b64 s[64:65], s[64:65], exec
	s_and_b64 s[68:69], s[68:69], exec
	s_mov_b64 vcc, -1
	s_or_b64 s[64:65], s[64:65], s[68:69]
	s_and_saveexec_b64 s[68:69], s[66:67]
	s_cbranch_execz .LBB6_461
; %bb.465:                              ;   in Loop: Header=BB6_462 Depth=4
	s_sleep 1
	s_trap 2
	ds_read_b64 v[0:1], v0
	s_andn2_b64 s[64:65], s[64:65], exec
	s_waitcnt lgkmcnt(0)
	v_cmp_ge_u64_e32 vcc, v[0:1], v[12:13]
	s_orn2_b64 vcc, vcc, exec
	s_branch .LBB6_461
.LBB6_466:                              ;   in Loop: Header=BB6_418 Depth=3
	s_or_b64 exec, exec, s[60:61]
	s_and_saveexec_b64 vcc, s[62:63]
	s_xor_b64 vcc, exec, vcc
	s_cbranch_execz .LBB6_468
; %bb.467:                              ;   in Loop: Header=BB6_418 Depth=3
	ds_write_b32 v0, v38
	s_trap 2
.LBB6_468:                              ;   in Loop: Header=BB6_418 Depth=3
	s_or_b64 exec, exec, s[58:59]
	;;#ASMSTART
	s_wakeup
	;;#ASMEND
.LBB6_469:                              ;   in Loop: Header=BB6_418 Depth=3
	s_or_b64 exec, exec, s[56:57]
.LBB6_470:                              ;   in Loop: Header=BB6_418 Depth=3
	s_andn2_saveexec_b64 vcc, s[54:55]
	s_cbranch_execz .LBB6_472
; %bb.471:                              ;   in Loop: Header=BB6_418 Depth=3
	;;#ASMSTART
	s_waitcnt lgkmcnt(0) vmcnt(0)
	;;#ASMEND
	s_barrier
.LBB6_472:                              ;   in Loop: Header=BB6_418 Depth=3
	s_or_b64 exec, exec, vcc
	v_and_b32_e32 v0, 16, v59
	s_andn2_saveexec_b64 s[24:25], s[24:25]
	s_cbranch_execz .LBB6_484
	s_branch .LBB6_481
.LBB6_473:                              ;   in Loop: Header=BB6_418 Depth=3
	s_or_b64 exec, exec, s[60:61]
	s_and_saveexec_b64 vcc, s[62:63]
	s_xor_b64 vcc, exec, vcc
	s_cbranch_execz .LBB6_475
; %bb.474:                              ;   in Loop: Header=BB6_418 Depth=3
	ds_write_b32 v0, v38
	s_trap 2
.LBB6_475:                              ;   in Loop: Header=BB6_418 Depth=3
	s_or_b64 exec, exec, s[58:59]
	;;#ASMSTART
	s_wakeup
	;;#ASMEND
.LBB6_476:                              ;   in Loop: Header=BB6_418 Depth=3
	s_or_b64 exec, exec, s[56:57]
.LBB6_477:                              ;   in Loop: Header=BB6_418 Depth=3
	s_andn2_saveexec_b64 vcc, s[54:55]
	s_cbranch_execz .LBB6_479
; %bb.478:                              ;   in Loop: Header=BB6_418 Depth=3
	s_waitcnt lgkmcnt(0)
	s_barrier
.LBB6_479:                              ;   in Loop: Header=BB6_418 Depth=3
	s_or_b64 exec, exec, vcc
	s_or_b64 exec, exec, s[24:25]
                                        ; implicit-def: $vgpr0
	s_and_saveexec_b64 s[24:25], s[48:49]
	s_xor_b64 s[24:25], exec, s[24:25]
	s_cbranch_execnz .LBB6_443
.LBB6_480:                              ;   in Loop: Header=BB6_418 Depth=3
	s_andn2_saveexec_b64 s[24:25], s[24:25]
	s_cbranch_execz .LBB6_484
.LBB6_481:                              ;   in Loop: Header=BB6_418 Depth=3
	s_trap 2
	ds_read_b32 v1, v0
	v_cmp_lt_i32_e32 vcc, 0, v8
	v_and_b32_e32 v2, 16, v59
	v_and_b32_e32 v0, 16, v59
	s_waitcnt lgkmcnt(0)
	v_readfirstlane_b32 s54, v1
	s_cmp_eq_u32 s54, 0
	s_cselect_b64 s[54:55], -1, 0
	s_and_b64 s[54:55], vcc, s[54:55]
	v_cmp_ne_u32_e32 vcc, 0, v2
	s_and_b64 s[54:55], vcc, s[54:55]
	s_and_saveexec_b64 vcc, s[54:55]
	s_cbranch_execz .LBB6_483
; %bb.482:                              ;   in Loop: Header=BB6_418 Depth=3
	v_mov_b32_e32 v0, 1
	buffer_wbl2 sc1
	s_waitcnt vmcnt(0)
	buffer_inv sc1
.LBB6_483:                              ;   in Loop: Header=BB6_418 Depth=3
	s_or_b64 exec, exec, vcc
.LBB6_484:                              ;   in Loop: Header=BB6_418 Depth=3
	s_or_b64 exec, exec, s[24:25]
	v_cmp_ne_u32_e32 vcc, 0, v0
	s_xor_b64 s[24:25], s[6:7], -1
	s_and_b64 vcc, vcc, s[24:25]
	s_and_saveexec_b64 s[24:25], vcc
	s_cbranch_execz .LBB6_486
; %bb.485:                              ;   in Loop: Header=BB6_418 Depth=3
	flat_store_dword v[54:55], v38 sc0 sc1
.LBB6_486:                              ;   in Loop: Header=BB6_418 Depth=3
	s_or_b64 exec, exec, s[24:25]
	v_and_b32_e32 v0, 48, v59
	v_cmp_ne_u32_e32 vcc, 0, v0
	s_and_saveexec_b64 s[24:25], vcc
	s_cbranch_execz .LBB6_417
; %bb.487:                              ;   in Loop: Header=BB6_418 Depth=3
	v_lshl_add_u64 v[20:21], v[20:21], 0, 2
	flat_store_dwordx2 v[22:23], v[20:21] sc0 sc1
	s_branch .LBB6_417
.LBB6_488:                              ;   in Loop: Header=BB6_47 Depth=1
	v_accvgpr_read_b32 v6, a38
	v_accvgpr_read_b32 v7, a39
	v_mul_lo_u32 v0, v7, s72
	v_mul_lo_u32 v1, v6, s73
	v_mad_u64_u32 v[4:5], s[24:25], v6, s72, 0
	v_add3_u32 v5, v5, v1, v0
	v_accvgpr_read_b32 v0, a40
	v_accvgpr_read_b32 v1, a41
	v_sub_co_u32_e32 v0, vcc, v0, v4
	v_accvgpr_read_b32 v26, a30
	s_nop 0
	v_subb_co_u32_e32 v1, vcc, v1, v5, vcc
	v_cmp_lt_i64_e32 vcc, v[6:7], v[0:1]
	v_accvgpr_read_b32 v27, a31
	v_accvgpr_write_b32 a14, v56
	v_cndmask_b32_e32 v0, v0, v6, vcc
	v_max_i32_e32 v60, 0, v0
	v_add_u32_e32 v1, 31, v60
	v_ashrrev_i32_e32 v2, 31, v1
	v_lshrrev_b32_e32 v2, 27, v2
	v_add_u32_e32 v1, v1, v2
	v_ashrrev_i32_e32 v1, 5, v1
	v_lshlrev_b32_e32 v1, 4, v1
	v_cmp_lt_i32_e32 vcc, 0, v0
	v_max_i32_e32 v56, s78, v1
	s_and_b64 s[24:25], s[50:51], vcc
	v_mov_b32_e32 v0, 0
	v_mov_b32_e32 v10, 0
	s_and_saveexec_b64 s[54:55], s[24:25]
	s_cbranch_execz .LBB6_668
; %bb.489:                              ;   in Loop: Header=BB6_47 Depth=1
	v_accvgpr_read_b32 v0, a42
	v_accvgpr_read_b32 v1, a43
	v_lshl_add_u64 v[0:1], v[4:5], 0, v[0:1]
	v_lshlrev_b64 v[0:1], 1, v[0:1]
	v_accvgpr_write_b32 a45, v1
	s_mov_b32 s84, 1
	s_mov_b64 s[58:59], -1
	s_mov_b64 s[56:57], 0
	v_mov_b32_e32 v10, 0
	v_accvgpr_write_b32 a44, v0
	s_branch .LBB6_491
.LBB6_490:                              ;   in Loop: Header=BB6_491 Depth=2
	s_or_b64 exec, exec, s[24:25]
	v_add_u32_e32 v10, v56, v10
	v_cmp_ge_i32_e32 vcc, v10, v60
	s_xor_b64 s[24:25], s[58:59], -1
	s_or_b64 s[24:25], s[24:25], vcc
	s_and_b64 s[24:25], exec, s[24:25]
	s_or_b64 s[56:57], s[24:25], s[56:57]
	s_mov_b64 s[58:59], 0
	v_mov_b32_e32 v0, s84
	s_mov_b32 s84, 2
	s_andn2_b64 exec, exec, s[56:57]
	s_cbranch_execz .LBB6_741
.LBB6_491:                              ;   Parent Loop BB6_47 Depth=1
                                        ; =>  This Loop Header: Depth=2
                                        ;       Child Loop BB6_499 Depth 3
                                        ;       Child Loop BB6_525 Depth 3
	;; [unrolled: 1-line block ×8, first 2 shown]
                                        ;         Child Loop BB6_580 Depth 4
                                        ;       Child Loop BB6_586 Depth 3
                                        ;         Child Loop BB6_587 Depth 4
                                        ;       Child Loop BB6_596 Depth 3
                                        ;       Child Loop BB6_601 Depth 3
                                        ;         Child Loop BB6_602 Depth 4
                                        ;       Child Loop BB6_572 Depth 3
                                        ;       Child Loop BB6_653 Depth 3
	s_and_saveexec_b64 s[24:25], s[0:1]
	s_cbranch_execz .LBB6_493
; %bb.492:                              ;   in Loop: Header=BB6_491 Depth=2
	s_trap 2
	ds_read2_b64 v[14:17], v0 offset1:1
	ds_read_b64 v[0:1], v0
	v_accvgpr_read_b32 v8, a44
	v_ashrrev_i32_e32 v11, 31, v10
	v_accvgpr_read_b32 v9, a45
	v_lshlrev_b64 v[4:5], 1, v[10:11]
	s_waitcnt lgkmcnt(0)
	v_lshl_add_u64 v[6:7], v[14:15], 0, v[8:9]
	v_lshl_add_u64 v[6:7], v[6:7], 0, v[4:5]
	ds_write_b64 v0, v[6:7]
	v_lshl_add_u64 v[6:7], v[16:17], 0, v[8:9]
	v_lshl_add_u64 v[6:7], v[6:7], 0, v[4:5]
	ds_write_b64 v0, v[6:7]
	v_lshl_add_u64 v[6:7], v[0:1], 0, v[8:9]
	v_lshl_add_u64 v[4:5], v[6:7], 0, v[4:5]
	v_cmp_ne_u64_e32 vcc, 0, v[0:1]
	s_nop 1
	v_cndmask_b32_e32 v1, 0, v5, vcc
	v_cndmask_b32_e32 v0, 0, v4, vcc
	ds_write_b64 v0, v[0:1]
.LBB6_493:                              ;   in Loop: Header=BB6_491 Depth=2
	s_or_b64 exec, exec, s[24:25]
	v_and_b32_e32 v0, 12, v59
	v_cmp_ne_u32_e32 vcc, 0, v0
	s_mov_b64 s[26:27], -1
	s_and_saveexec_b64 s[24:25], vcc
	s_cbranch_execz .LBB6_505
; %bb.494:                              ;   in Loop: Header=BB6_491 Depth=2
	v_and_b32_e32 v2, 8, v59
	v_lshl_add_u64 v[0:1], v[32:33], 0, v[2:3]
	v_lshl_add_u64 v[4:5], v[20:21], 0, 2
	v_cmp_lt_u64_e32 vcc, v[0:1], v[4:5]
	v_mov_b32_e32 v0, 1
	s_and_saveexec_b64 s[26:27], vcc
	s_cbranch_execz .LBB6_504
; %bb.495:                              ;   in Loop: Header=BB6_491 Depth=2
	s_mov_b64 s[28:29], 0
	v_mov_b32_e32 v0, 0
                                        ; implicit-def: $sgpr60_sgpr61
	s_branch .LBB6_499
.LBB6_496:                              ;   in Loop: Header=BB6_499 Depth=3
	s_or_b64 exec, exec, s[68:69]
	v_mov_b32_e32 v1, 0
	s_orn2_b64 s[66:67], s[66:67], exec
.LBB6_497:                              ;   in Loop: Header=BB6_499 Depth=3
	s_or_b64 exec, exec, s[64:65]
	s_andn2_b64 vcc, s[60:61], exec
	s_and_b64 s[60:61], s[66:67], exec
	s_or_b64 s[60:61], vcc, s[60:61]
	v_mov_b32_e32 v0, v1
.LBB6_498:                              ;   in Loop: Header=BB6_499 Depth=3
	s_or_b64 exec, exec, s[62:63]
	s_waitcnt vmcnt(0) lgkmcnt(0)
	v_lshl_add_u64 v[6:7], v[32:33], 0, v[2:3]
	v_cmp_ge_u64_e32 vcc, v[6:7], v[4:5]
	s_xor_b64 s[62:63], s[60:61], -1
	s_or_b64 vcc, s[62:63], vcc
	s_and_b64 vcc, exec, vcc
	s_or_b64 s[28:29], vcc, s[28:29]
	s_andn2_b64 exec, exec, s[28:29]
	s_cbranch_execz .LBB6_503
.LBB6_499:                              ;   Parent Loop BB6_47 Depth=1
                                        ;     Parent Loop BB6_491 Depth=2
                                        ; =>    This Inner Loop Header: Depth=3
	s_sleep 1
	flat_load_dwordx2 v[32:33], v[22:23] sc0 sc1
	v_and_b32_e32 v1, 64, v59
	v_cmp_eq_u32_e32 vcc, 0, v1
	s_andn2_b64 s[60:61], s[60:61], exec
	s_and_saveexec_b64 s[62:63], vcc
	s_cbranch_execz .LBB6_498
; %bb.500:                              ;   in Loop: Header=BB6_499 Depth=3
	v_add_u32_e32 v1, 1, v0
	v_cmp_lt_i32_e32 vcc, s82, v0
	s_mov_b64 s[66:67], -1
	s_and_saveexec_b64 s[64:65], vcc
	s_cbranch_execz .LBB6_497
; %bb.501:                              ;   in Loop: Header=BB6_499 Depth=3
	s_trap 2
	ds_read_b64 v[0:1], v0
	s_waitcnt vmcnt(0) lgkmcnt(0)
	flat_load_dword v0, v[0:1] sc0 sc1
	s_waitcnt vmcnt(0) lgkmcnt(0)
	buffer_inv sc0 sc1
	v_cmp_ne_u32_e32 vcc, 0, v0
	s_and_saveexec_b64 s[68:69], vcc
	s_cbranch_execz .LBB6_496
; %bb.502:                              ;   in Loop: Header=BB6_499 Depth=3
	v_or_b32_e32 v59, 64, v59
	s_xor_b64 s[66:67], exec, -1
	ds_write_b32 v0, v0
	s_trap 2
	s_branch .LBB6_496
.LBB6_503:                              ;   in Loop: Header=BB6_491 Depth=2
	s_or_b64 exec, exec, s[28:29]
	v_and_b32_e32 v0, 12, v59
.LBB6_504:                              ;   in Loop: Header=BB6_491 Depth=2
	s_or_b64 exec, exec, s[26:27]
	v_cmp_eq_u32_e32 vcc, 0, v0
	s_orn2_b64 s[26:27], vcc, exec
	;;#ASMSTART
	s_wakeup
	;;#ASMEND
.LBB6_505:                              ;   in Loop: Header=BB6_491 Depth=2
	s_or_b64 exec, exec, s[24:25]
	v_sub_u32_e32 v0, v60, v10
	s_xor_b64 s[24:25], s[26:27], -1
	v_min_i32_e32 v56, v56, v0
	s_and_saveexec_b64 s[26:27], s[24:25]
	s_cbranch_execz .LBB6_517
; %bb.506:                              ;   in Loop: Header=BB6_491 Depth=2
	v_and_b32_e32 v0, 0x108, v59
	v_cmp_ne_u32_e32 vcc, s83, v0
	v_and_b32_e32 v2, 7, v20
	s_and_saveexec_b64 s[24:25], vcc
	s_xor_b64 s[24:25], exec, s[24:25]
	s_andn2_saveexec_b64 s[24:25], s[24:25]
	s_cbranch_execz .LBB6_508
; %bb.507:                              ;   in Loop: Header=BB6_491 Depth=2
	v_ashrrev_i32_e32 v57, 31, v56
	v_mad_u64_u32 v[0:1], s[28:29], v2, 24, v[48:49]
	v_lshlrev_b64 v[4:5], 1, v[56:57]
	v_accvgpr_read_b32 v57, a26
	flat_store_dwordx2 v[0:1], v[4:5] offset:8
.LBB6_508:                              ;   in Loop: Header=BB6_491 Depth=2
	s_or_b64 exec, exec, s[24:25]
	v_and_b32_e32 v0, 0x100, v59
	v_cmp_ne_u32_e32 vcc, 0, v0
	s_mov_b64 s[24:25], -1
                                        ; implicit-def: $vgpr4_vgpr5
	s_and_saveexec_b64 s[28:29], vcc
	s_cbranch_execz .LBB6_512
; %bb.509:                              ;   in Loop: Header=BB6_491 Depth=2
	v_mad_u64_u32 v[14:15], s[24:25], v2, 24, v[48:49]
	v_mov_b32_e32 v0, v15
	v_mad_u64_u32 v[0:1], s[24:25], v3, 24, v[0:1]
	v_mov_b32_e32 v15, v0
	flat_load_dword v0, v[14:15]
                                        ; implicit-def: $vgpr4_vgpr5
	s_waitcnt vmcnt(0) lgkmcnt(0)
	v_cmp_ne_u32_e32 vcc, 1, v0
	v_cmp_eq_u32_e64 s[24:25], 1, v0
	s_and_saveexec_b64 s[60:61], s[24:25]
	s_cbranch_execz .LBB6_511
; %bb.510:                              ;   in Loop: Header=BB6_491 Depth=2
	flat_load_dword v0, v[14:15] offset:4 sc0 sc1
	s_waitcnt vmcnt(0) lgkmcnt(0)
	v_ashrrev_i32_e32 v1, 31, v0
	v_lshrrev_b64 v[4:5], 1, v[0:1]
.LBB6_511:                              ;   in Loop: Header=BB6_491 Depth=2
	s_or_b64 exec, exec, s[60:61]
	s_orn2_b64 s[24:25], vcc, exec
.LBB6_512:                              ;   in Loop: Header=BB6_491 Depth=2
	s_or_b64 exec, exec, s[28:29]
	s_and_saveexec_b64 s[28:29], s[24:25]
; %bb.513:                              ;   in Loop: Header=BB6_491 Depth=2
	v_accvgpr_read_b32 v4, a14
	v_mul_lo_u32 v0, v3, v4
	v_mul_lo_u32 v1, v2, v39
	v_mad_u64_u32 v[4:5], s[24:25], v2, v4, 0
	v_add3_u32 v5, v5, v1, v0
; %bb.514:                              ;   in Loop: Header=BB6_491 Depth=2
	s_or_b64 exec, exec, s[28:29]
	v_lshl_add_u64 v[0:1], v[4:5], 1, v[46:47]
	s_trap 2
	ds_write_b64 v0, v[0:1]
	v_and_b32_e32 v0, 0x2000, v59
	v_cmp_ne_u32_e32 vcc, 0, v0
	s_and_saveexec_b64 s[24:25], vcc
	s_cbranch_execz .LBB6_516
; %bb.515:                              ;   in Loop: Header=BB6_491 Depth=2
	ds_read_b64 v[0:1], v0 offset:584
	s_waitcnt lgkmcnt(0)
	v_lshl_add_u64 v[0:1], v[0:1], 0, 1
	ds_write_b64 v0, v[0:1] offset:584
.LBB6_516:                              ;   in Loop: Header=BB6_491 Depth=2
	s_or_b64 exec, exec, s[24:25]
	v_lshl_add_u64 v[20:21], v[20:21], 0, 2
.LBB6_517:                              ;   in Loop: Header=BB6_491 Depth=2
	s_or_b64 exec, exec, s[26:27]
	s_and_saveexec_b64 s[24:25], s[4:5]
	s_cbranch_execz .LBB6_536
; %bb.518:                              ;   in Loop: Header=BB6_491 Depth=2
	s_and_saveexec_b64 s[26:27], s[38:39]
	s_xor_b64 s[26:27], exec, s[26:27]
	s_cbranch_execz .LBB6_533
; %bb.519:                              ;   in Loop: Header=BB6_491 Depth=2
	s_and_saveexec_b64 s[28:29], s[12:13]
	s_cbranch_execz .LBB6_532
; %bb.520:                              ;   in Loop: Header=BB6_491 Depth=2
	s_mov_b64 s[62:63], exec
	v_mbcnt_lo_u32_b32 v0, s62, 0
	v_mbcnt_hi_u32_b32 v0, s63, v0
	v_cmp_eq_u32_e32 vcc, 0, v0
	s_waitcnt lgkmcnt(0)
	s_and_saveexec_b64 s[60:61], vcc
	s_cbranch_execz .LBB6_522
; %bb.521:                              ;   in Loop: Header=BB6_491 Depth=2
	s_bcnt1_i32_b64 vcc_lo, s[62:63]
	v_mov_b32_e32 v2, vcc_lo
	ds_add_u64 v0, v[2:3]
	s_trap 2
.LBB6_522:                              ;   in Loop: Header=BB6_491 Depth=2
	s_or_b64 exec, exec, s[60:61]
	s_trap 2
	ds_read_b64 v[0:1], v0
	v_lshl_add_u64 v[12:13], v[12:13], 0, v[34:35]
	s_waitcnt lgkmcnt(0)
	v_cmp_lt_u64_e32 vcc, v[0:1], v[12:13]
	s_and_saveexec_b64 s[60:61], vcc
	s_cbranch_execz .LBB6_531
; %bb.523:                              ;   in Loop: Header=BB6_491 Depth=2
	s_mov_b32 s85, 0
	s_mov_b64 s[62:63], 0
                                        ; implicit-def: $sgpr64_sgpr65
                                        ; implicit-def: $sgpr66_sgpr67
	s_branch .LBB6_525
.LBB6_524:                              ;   in Loop: Header=BB6_525 Depth=3
	s_or_b64 exec, exec, s[70:71]
	s_and_b64 vcc, exec, vcc
	s_or_b64 s[62:63], vcc, s[62:63]
	s_andn2_b64 vcc, s[64:65], exec
	s_and_b64 s[64:65], s[66:67], exec
	s_or_b64 s[64:65], vcc, s[64:65]
	s_andn2_b64 exec, exec, s[62:63]
	s_cbranch_execz .LBB6_529
.LBB6_525:                              ;   Parent Loop BB6_47 Depth=1
                                        ;     Parent Loop BB6_491 Depth=2
                                        ; =>    This Inner Loop Header: Depth=3
	s_add_i32 s85, s85, 1
	s_cmpk_lg_i32 s85, 0x2710
	s_cselect_b64 s[68:69], -1, 0
	s_and_b64 vcc, exec, s[68:69]
                                        ; implicit-def: $sgpr70_sgpr71
	s_cbranch_vccnz .LBB6_527
; %bb.526:                              ;   in Loop: Header=BB6_525 Depth=3
	s_trap 2
	ds_read_b64 v[0:1], v0
	s_andn2_b64 s[68:69], s[68:69], exec
	s_mov_b32 s85, 0
	s_mov_b64 s[70:71], -1
	s_waitcnt vmcnt(0) lgkmcnt(0)
	flat_load_dword v0, v[0:1] sc0 sc1
	s_waitcnt vmcnt(0) lgkmcnt(0)
	buffer_inv sc0 sc1
	v_cmp_eq_u32_e32 vcc, 0, v0
	s_and_b64 vcc, vcc, exec
	s_or_b64 s[68:69], s[68:69], vcc
.LBB6_527:                              ;   in Loop: Header=BB6_525 Depth=3
	s_andn2_b64 s[66:67], s[66:67], exec
	s_and_b64 s[70:71], s[70:71], exec
	s_mov_b64 vcc, -1
	s_or_b64 s[66:67], s[66:67], s[70:71]
	s_and_saveexec_b64 s[70:71], s[68:69]
	s_cbranch_execz .LBB6_524
; %bb.528:                              ;   in Loop: Header=BB6_525 Depth=3
	s_sleep 1
	s_trap 2
	ds_read_b64 v[0:1], v0
	s_andn2_b64 s[66:67], s[66:67], exec
	s_waitcnt lgkmcnt(0)
	v_cmp_ge_u64_e32 vcc, v[0:1], v[12:13]
	s_orn2_b64 vcc, vcc, exec
	s_branch .LBB6_524
.LBB6_529:                              ;   in Loop: Header=BB6_491 Depth=2
	s_or_b64 exec, exec, s[62:63]
	s_and_saveexec_b64 vcc, s[64:65]
	s_xor_b64 vcc, exec, vcc
	s_cbranch_execz .LBB6_531
; %bb.530:                              ;   in Loop: Header=BB6_491 Depth=2
	ds_write_b32 v0, v38
	s_trap 2
.LBB6_531:                              ;   in Loop: Header=BB6_491 Depth=2
	s_or_b64 exec, exec, s[60:61]
	;;#ASMSTART
	s_wakeup
	;;#ASMEND
.LBB6_532:                              ;   in Loop: Header=BB6_491 Depth=2
	s_or_b64 exec, exec, s[28:29]
.LBB6_533:                              ;   in Loop: Header=BB6_491 Depth=2
	s_andn2_saveexec_b64 s[26:27], s[26:27]
	s_cbranch_execz .LBB6_535
; %bb.534:                              ;   in Loop: Header=BB6_491 Depth=2
	s_waitcnt lgkmcnt(0)
	s_barrier
.LBB6_535:                              ;   in Loop: Header=BB6_491 Depth=2
	s_or_b64 exec, exec, s[26:27]
.LBB6_536:                              ;   in Loop: Header=BB6_491 Depth=2
	s_or_b64 exec, exec, s[24:25]
	s_trap 2
	ds_read_b32 v0, v0
	v_and_b32_e32 v1, 0x4000, v59
	v_cmp_ne_u32_e32 vcc, 0, v1
	s_xor_b64 s[24:25], s[2:3], -1
	s_and_b64 s[26:27], s[24:25], vcc
	s_and_saveexec_b64 s[24:25], s[26:27]
	s_cbranch_execz .LBB6_555
; %bb.537:                              ;   in Loop: Header=BB6_491 Depth=2
	s_and_saveexec_b64 s[26:27], s[38:39]
	s_xor_b64 s[26:27], exec, s[26:27]
	s_cbranch_execz .LBB6_552
; %bb.538:                              ;   in Loop: Header=BB6_491 Depth=2
	s_and_saveexec_b64 s[28:29], s[12:13]
	s_cbranch_execz .LBB6_551
; %bb.539:                              ;   in Loop: Header=BB6_491 Depth=2
	s_mov_b64 s[62:63], exec
	v_mbcnt_lo_u32_b32 v1, s62, 0
	v_mbcnt_hi_u32_b32 v1, s63, v1
	v_cmp_eq_u32_e32 vcc, 0, v1
	s_waitcnt lgkmcnt(0)
	s_and_saveexec_b64 s[60:61], vcc
	s_cbranch_execz .LBB6_541
; %bb.540:                              ;   in Loop: Header=BB6_491 Depth=2
	s_bcnt1_i32_b64 vcc_lo, s[62:63]
	v_mov_b32_e32 v2, vcc_lo
	ds_add_u64 v0, v[2:3]
	s_trap 2
.LBB6_541:                              ;   in Loop: Header=BB6_491 Depth=2
	s_or_b64 exec, exec, s[60:61]
	s_trap 2
	ds_read_b64 v[4:5], v0
	v_lshl_add_u64 v[12:13], v[12:13], 0, v[34:35]
	s_waitcnt lgkmcnt(0)
	v_cmp_lt_u64_e32 vcc, v[4:5], v[12:13]
	s_and_saveexec_b64 s[60:61], vcc
	s_cbranch_execz .LBB6_550
; %bb.542:                              ;   in Loop: Header=BB6_491 Depth=2
	s_mov_b32 s85, 0
	s_mov_b64 s[62:63], 0
                                        ; implicit-def: $sgpr64_sgpr65
                                        ; implicit-def: $sgpr66_sgpr67
	s_branch .LBB6_544
.LBB6_543:                              ;   in Loop: Header=BB6_544 Depth=3
	s_or_b64 exec, exec, s[70:71]
	s_and_b64 vcc, exec, vcc
	s_or_b64 s[62:63], vcc, s[62:63]
	s_andn2_b64 vcc, s[64:65], exec
	s_and_b64 s[64:65], s[66:67], exec
	s_or_b64 s[64:65], vcc, s[64:65]
	s_andn2_b64 exec, exec, s[62:63]
	s_cbranch_execz .LBB6_548
.LBB6_544:                              ;   Parent Loop BB6_47 Depth=1
                                        ;     Parent Loop BB6_491 Depth=2
                                        ; =>    This Inner Loop Header: Depth=3
	s_add_i32 s85, s85, 1
	s_cmpk_lg_i32 s85, 0x2710
	s_cselect_b64 s[68:69], -1, 0
	s_and_b64 vcc, exec, s[68:69]
                                        ; implicit-def: $sgpr70_sgpr71
	s_cbranch_vccnz .LBB6_546
; %bb.545:                              ;   in Loop: Header=BB6_544 Depth=3
	s_trap 2
	ds_read_b64 v[4:5], v0
	s_andn2_b64 s[68:69], s[68:69], exec
	s_mov_b32 s85, 0
	s_mov_b64 s[70:71], -1
	s_waitcnt vmcnt(0) lgkmcnt(0)
	flat_load_dword v1, v[4:5] sc0 sc1
	s_waitcnt vmcnt(0) lgkmcnt(0)
	buffer_inv sc0 sc1
	v_cmp_eq_u32_e32 vcc, 0, v1
	s_and_b64 vcc, vcc, exec
	s_or_b64 s[68:69], s[68:69], vcc
.LBB6_546:                              ;   in Loop: Header=BB6_544 Depth=3
	s_andn2_b64 s[66:67], s[66:67], exec
	s_and_b64 s[70:71], s[70:71], exec
	s_mov_b64 vcc, -1
	s_or_b64 s[66:67], s[66:67], s[70:71]
	s_and_saveexec_b64 s[70:71], s[68:69]
	s_cbranch_execz .LBB6_543
; %bb.547:                              ;   in Loop: Header=BB6_544 Depth=3
	s_sleep 1
	s_trap 2
	ds_read_b64 v[4:5], v0
	s_andn2_b64 s[66:67], s[66:67], exec
	s_waitcnt lgkmcnt(0)
	v_cmp_ge_u64_e32 vcc, v[4:5], v[12:13]
	s_orn2_b64 vcc, vcc, exec
	s_branch .LBB6_543
.LBB6_548:                              ;   in Loop: Header=BB6_491 Depth=2
	s_or_b64 exec, exec, s[62:63]
	s_and_saveexec_b64 vcc, s[64:65]
	s_xor_b64 vcc, exec, vcc
	s_cbranch_execz .LBB6_550
; %bb.549:                              ;   in Loop: Header=BB6_491 Depth=2
	ds_write_b32 v0, v38
	s_trap 2
.LBB6_550:                              ;   in Loop: Header=BB6_491 Depth=2
	s_or_b64 exec, exec, s[60:61]
	;;#ASMSTART
	s_wakeup
	;;#ASMEND
.LBB6_551:                              ;   in Loop: Header=BB6_491 Depth=2
	s_or_b64 exec, exec, s[28:29]
.LBB6_552:                              ;   in Loop: Header=BB6_491 Depth=2
	s_andn2_saveexec_b64 s[26:27], s[26:27]
	s_cbranch_execz .LBB6_554
; %bb.553:                              ;   in Loop: Header=BB6_491 Depth=2
	s_waitcnt lgkmcnt(0)
	s_barrier
.LBB6_554:                              ;   in Loop: Header=BB6_491 Depth=2
	s_or_b64 exec, exec, s[26:27]
.LBB6_555:                              ;   in Loop: Header=BB6_491 Depth=2
	s_or_b64 exec, exec, s[24:25]
	s_trap 2
	s_waitcnt lgkmcnt(0)
	ds_read_b64 v[4:5], v0
	v_mov_b32_e32 v37, 0
	s_waitcnt lgkmcnt(0)
	v_readfirstlane_b32 s24, v4
	v_readfirstlane_b32 s25, v5
	s_cmp_eq_u64 s[24:25], 0
	s_cselect_b64 s[24:25], -1, 0
	s_or_b64 s[24:25], s[24:25], s[24:25]
	s_and_b64 vcc, exec, s[24:25]
	s_cbranch_vccnz .LBB6_564
; %bb.556:                              ;   in Loop: Header=BB6_491 Depth=2
	s_trap 2
	ds_read_b64 v[4:5], v0
	v_cmp_eq_u32_e64 s[24:25], 0, v0
	s_waitcnt lgkmcnt(0)
	v_cmp_ne_u64_e32 vcc, 0, v[4:5]
	v_cndmask_b32_e64 v37, 0, v56, s[24:25]
	s_cbranch_vccz .LBB6_576
; %bb.557:                              ;   in Loop: Header=BB6_491 Depth=2
	s_trap 2
	ds_read_b64 v[30:31], v0
	s_mov_b64 s[24:25], -1
	s_and_saveexec_b64 s[26:27], s[18:19]
	s_cbranch_execz .LBB6_559
; %bb.558:                              ;   in Loop: Header=BB6_491 Depth=2
	ds_read_b32 v0, v0 offset:720
	s_waitcnt lgkmcnt(0)
	v_and_b32_e32 v0, 15, v0
	v_cmp_eq_u32_e32 vcc, 0, v0
	s_orn2_b64 s[24:25], vcc, exec
.LBB6_559:                              ;   in Loop: Header=BB6_491 Depth=2
	s_or_b64 exec, exec, s[26:27]
	s_and_saveexec_b64 s[26:27], s[18:19]
	s_cbranch_execz .LBB6_561
; %bb.560:                              ;   in Loop: Header=BB6_491 Depth=2
	ds_read_b32 v0, v0 offset:784
	s_waitcnt lgkmcnt(0)
	v_and_b32_e32 v0, 15, v0
	v_cmp_eq_u32_e32 vcc, 0, v0
	s_and_b64 s[28:29], s[24:25], vcc
	s_andn2_b64 s[24:25], s[24:25], exec
	s_and_b64 s[28:29], s[28:29], exec
	s_or_b64 s[24:25], s[24:25], s[28:29]
.LBB6_561:                              ;   in Loop: Header=BB6_491 Depth=2
	s_or_b64 exec, exec, s[26:27]
	s_xor_b64 s[24:25], s[24:25], -1
	v_cndmask_b32_e64 v0, 0, 1, s[24:25]
	v_lshlrev_b32_e32 v25, 1, v37
	s_mov_b64 s[26:27], -1
	;;#ASMSTART
	;;#ASMEND
	v_mov_b32_e32 v2, 0
	v_cmp_ne_u32_e32 vcc, 0, v0
	s_cbranch_vccz .LBB6_577
; %bb.562:                              ;   in Loop: Header=BB6_491 Depth=2
	v_accvgpr_read_b32 v0, a36
	v_mov_b32_e32 v4, v58
	s_and_saveexec_b64 s[28:29], s[26:27]
	s_cbranch_execnz .LBB6_594
.LBB6_563:                              ;   in Loop: Header=BB6_491 Depth=2
	s_or_b64 exec, exec, s[28:29]
.LBB6_564:                              ;   in Loop: Header=BB6_491 Depth=2
	s_and_saveexec_b64 s[24:25], s[4:5]
	s_cbranch_execz .LBB6_612
.LBB6_565:                              ;   in Loop: Header=BB6_491 Depth=2
	s_and_saveexec_b64 s[26:27], s[38:39]
	s_xor_b64 s[26:27], exec, s[26:27]
	s_cbranch_execz .LBB6_642
; %bb.566:                              ;   in Loop: Header=BB6_491 Depth=2
	s_and_saveexec_b64 s[28:29], s[12:13]
	s_cbranch_execz .LBB6_641
; %bb.567:                              ;   in Loop: Header=BB6_491 Depth=2
	s_mov_b64 s[62:63], exec
	v_mbcnt_lo_u32_b32 v0, s62, 0
	v_mbcnt_hi_u32_b32 v0, s63, v0
	v_cmp_eq_u32_e32 vcc, 0, v0
	s_waitcnt lgkmcnt(0)
	s_and_saveexec_b64 s[60:61], vcc
	s_cbranch_execz .LBB6_569
; %bb.568:                              ;   in Loop: Header=BB6_491 Depth=2
	s_bcnt1_i32_b64 vcc_lo, s[62:63]
	v_mov_b32_e32 v2, vcc_lo
	ds_add_u64 v0, v[2:3]
	s_trap 2
.LBB6_569:                              ;   in Loop: Header=BB6_491 Depth=2
	s_or_b64 exec, exec, s[60:61]
	s_trap 2
	ds_read_b64 v[0:1], v0
	v_lshl_add_u64 v[12:13], v[12:13], 0, v[34:35]
	s_waitcnt lgkmcnt(0)
	v_cmp_lt_u64_e32 vcc, v[0:1], v[12:13]
	s_and_saveexec_b64 s[60:61], vcc
	s_cbranch_execz .LBB6_640
; %bb.570:                              ;   in Loop: Header=BB6_491 Depth=2
	s_mov_b32 s85, 0
	s_mov_b64 s[62:63], 0
                                        ; implicit-def: $sgpr64_sgpr65
                                        ; implicit-def: $sgpr66_sgpr67
	s_branch .LBB6_572
.LBB6_571:                              ;   in Loop: Header=BB6_572 Depth=3
	s_or_b64 exec, exec, s[70:71]
	s_and_b64 vcc, exec, vcc
	s_or_b64 s[62:63], vcc, s[62:63]
	s_andn2_b64 vcc, s[64:65], exec
	s_and_b64 s[64:65], s[66:67], exec
	s_or_b64 s[64:65], vcc, s[64:65]
	s_andn2_b64 exec, exec, s[62:63]
	s_cbranch_execz .LBB6_638
.LBB6_572:                              ;   Parent Loop BB6_47 Depth=1
                                        ;     Parent Loop BB6_491 Depth=2
                                        ; =>    This Inner Loop Header: Depth=3
	s_add_i32 s85, s85, 1
	s_cmpk_lg_i32 s85, 0x2710
	s_cselect_b64 s[68:69], -1, 0
	s_and_b64 vcc, exec, s[68:69]
                                        ; implicit-def: $sgpr70_sgpr71
	s_cbranch_vccnz .LBB6_574
; %bb.573:                              ;   in Loop: Header=BB6_572 Depth=3
	s_trap 2
	ds_read_b64 v[0:1], v0
	s_andn2_b64 s[68:69], s[68:69], exec
	s_mov_b32 s85, 0
	s_mov_b64 s[70:71], -1
	s_waitcnt vmcnt(0) lgkmcnt(0)
	flat_load_dword v0, v[0:1] sc0 sc1
	s_waitcnt vmcnt(0) lgkmcnt(0)
	buffer_inv sc0 sc1
	v_cmp_eq_u32_e32 vcc, 0, v0
	s_and_b64 vcc, vcc, exec
	s_or_b64 s[68:69], s[68:69], vcc
.LBB6_574:                              ;   in Loop: Header=BB6_572 Depth=3
	s_andn2_b64 s[66:67], s[66:67], exec
	s_and_b64 s[70:71], s[70:71], exec
	s_mov_b64 vcc, -1
	s_or_b64 s[66:67], s[66:67], s[70:71]
	s_and_saveexec_b64 s[70:71], s[68:69]
	s_cbranch_execz .LBB6_571
; %bb.575:                              ;   in Loop: Header=BB6_572 Depth=3
	s_sleep 1
	s_trap 2
	ds_read_b64 v[0:1], v0
	s_andn2_b64 s[66:67], s[66:67], exec
	s_waitcnt lgkmcnt(0)
	v_cmp_ge_u64_e32 vcc, v[0:1], v[12:13]
	s_orn2_b64 vcc, vcc, exec
	s_branch .LBB6_571
.LBB6_576:                              ;   in Loop: Header=BB6_491 Depth=2
	s_cbranch_execnz .LBB6_605
	s_branch .LBB6_564
.LBB6_577:                              ;   in Loop: Header=BB6_491 Depth=2
	v_accvgpr_read_b32 v0, a20
	v_sub_u32_e32 v19, v25, v0
	v_ashrrev_i32_e32 v0, 31, v25
	v_lshrrev_b32_e32 v0, 22, v0
	v_add_u32_e32 v0, v25, v0
	v_and_b32_e32 v5, 0xfffffc00, v0
	v_accvgpr_read_b32 v1, a21
	v_sub_u32_e32 v18, v25, v5
	v_ashrrev_i32_e32 v1, 10, v0
	v_cmp_lt_i32_e64 s[24:25], 15, v18
	v_accvgpr_write_b32 a37, v60
	s_nop 0
	v_addc_co_u32_e64 v60, vcc, v1, v61, s[24:25]
	v_cmp_lt_i32_e32 vcc, 15, v19
	s_and_saveexec_b64 s[60:61], vcc
	s_cbranch_execz .LBB6_583
; %bb.578:                              ;   in Loop: Header=BB6_491 Depth=2
	s_trap 2
	ds_read_b128 v[26:29], v0
	v_accvgpr_read_b32 v0, a20
	v_accvgpr_read_b32 v1, a21
	s_waitcnt lgkmcnt(0)
	v_accvgpr_write_b32 a47, v31
	v_accvgpr_write_b32 a46, v30
	v_lshl_add_u64 v[14:15], v[30:31], 0, v[0:1]
	v_lshl_add_u64 v[30:31], v[26:27], 0, v[0:1]
	;; [unrolled: 1-line block ×3, first 2 shown]
	v_mov_b32_e32 v61, v5
	s_mov_b64 s[62:63], 0
	v_mov_b64_e32 v[4:5], v[30:31]
	v_mov_b64_e32 v[46:47], v[48:49]
.LBB6_579:                              ;   Parent Loop BB6_47 Depth=1
                                        ;     Parent Loop BB6_491 Depth=2
                                        ; =>    This Loop Header: Depth=3
                                        ;         Child Loop BB6_580 Depth 4
	global_load_dwordx4 v[26:29], v[4:5], off nt
	global_load_dwordx4 v[52:55], v[46:47], off nt
	;; [unrolled: 1-line block ×3, first 2 shown]
	s_mov_b64 s[64:65], -1
	s_mov_b64 s[66:67], 0
	s_waitcnt vmcnt(0)
	v_mul_f16_e32 v0, v26, v52
	v_mul_f16_sdwa v1, v26, v52 dst_sel:DWORD dst_unused:UNUSED_PAD src0_sel:WORD_1 src1_sel:WORD_1
	v_mul_f16_sdwa v11, v27, v53 dst_sel:DWORD dst_unused:UNUSED_PAD src0_sel:WORD_1 src1_sel:WORD_1
	;; [unrolled: 1-line block ×3, first 2 shown]
	v_mul_f16_e32 v2, v27, v53
	v_mul_f16_e32 v16, v28, v54
	v_mul_f16_sdwa v17, v28, v54 dst_sel:DWORD dst_unused:UNUSED_PAD src0_sel:WORD_1 src1_sel:WORD_1
	v_mul_f16_e32 v24, v29, v55
	v_lshlrev_b32_e32 v27, 16, v11
	v_lshlrev_b32_e32 v28, 16, v1
	;; [unrolled: 1-line block ×4, first 2 shown]
	v_mul_f16_e32 v39, v0, v6
	v_mul_f16_sdwa v1, v1, v6 dst_sel:WORD_1 dst_unused:UNUSED_PAD src0_sel:DWORD src1_sel:WORD_1
	v_mul_f16_e32 v6, v2, v7
	v_mul_f16_sdwa v7, v11, v7 dst_sel:WORD_1 dst_unused:UNUSED_PAD src0_sel:DWORD src1_sel:WORD_1
	;; [unrolled: 2-line block ×4, first 2 shown]
	v_or_b32_e32 v26, v27, v2
	v_or3_b32 v2, v28, v0, 0
	v_or_b32_e32 v0, v29, v24
	v_or3_b32 v38, v36, v16, 0
	v_or_b32_e32 v9, v7, v6
	v_or_b32_e32 v16, v1, v39
	;; [unrolled: 1-line block ×4, first 2 shown]
	v_or3_b32 v17, 0, 0, v26
	v_or3_b32 v39, 0, 0, v0
.LBB6_580:                              ;   Parent Loop BB6_47 Depth=1
                                        ;     Parent Loop BB6_491 Depth=2
                                        ;       Parent Loop BB6_579 Depth=3
                                        ; =>      This Inner Loop Header: Depth=4
	v_cndmask_b32_e64 v0, 0, 1, s[64:65]
	v_cndmask_b32_e64 v27, v17, v9, s[64:65]
	v_readfirstlane_b32 s26, v0
	s_cmp_lg_u32 s26, 1
	s_cselect_b64 vcc, -1, 0
	s_cmp_eq_u32 s66, 1
	s_cselect_b64 s[26:27], -1, 0
	v_cndmask_b32_e64 v26, v2, v16, s[64:65]
	v_cndmask_b32_e64 v29, v39, v11, s[64:65]
	;; [unrolled: 1-line block ×3, first 2 shown]
	v_cndmask_b32_e32 v1, v31, v49, vcc
	v_cndmask_b32_e32 v0, v30, v48, vcc
	v_cndmask_b32_e64 v7, v31, v49, s[26:27]
	s_cmp_eq_u32 s66, 0
	v_cndmask_b32_e64 v6, v30, v48, s[26:27]
	global_store_dwordx4 v[0:1], v[26:29], off nt
	v_lshl_add_u64 v[0:1], v[6:7], 0, s[40:41]
	s_cselect_b64 s[28:29], -1, 0
	s_mov_b64 s[64:65], 0
	s_mov_b64 s[66:67], 1
	s_and_b64 vcc, exec, vcc
	v_cndmask_b32_e64 v49, v49, v1, s[26:27]
	v_cndmask_b32_e64 v48, v48, v0, s[26:27]
	;; [unrolled: 1-line block ×4, first 2 shown]
	s_cbranch_vccz .LBB6_580
; %bb.581:                              ;   in Loop: Header=BB6_579 Depth=3
	v_sub_u32_e32 v19, v19, v62
	v_cmp_gt_i32_e32 vcc, 16, v19
	v_lshl_add_u64 v[4:5], v[4:5], 0, v[42:43]
	v_lshl_add_u64 v[46:47], v[46:47], 0, v[42:43]
	v_lshl_add_u64 v[30:31], v[30:31], 0, v[50:51]
	v_lshl_add_u64 v[48:49], v[48:49], 0, v[50:51]
	v_lshl_add_u64 v[14:15], v[14:15], 0, v[42:43]
	s_or_b64 s[62:63], vcc, s[62:63]
	v_sub_u32_e32 v60, v60, v34
	s_andn2_b64 exec, exec, s[62:63]
	s_cbranch_execnz .LBB6_579
; %bb.582:                              ;   in Loop: Header=BB6_491 Depth=2
	s_or_b64 exec, exec, s[62:63]
	v_accvgpr_read_b32 v49, a13
	v_accvgpr_read_b32 v47, a17
	;; [unrolled: 1-line block ×13, first 2 shown]
	v_mov_b32_e32 v38, 1
	v_accvgpr_read_b32 v31, a47
	v_mov_b32_e32 v5, v61
.LBB6_583:                              ;   in Loop: Header=BB6_491 Depth=2
	s_or_b64 exec, exec, s[60:61]
	v_and_b32_e32 v1, 14, v25
	v_cndmask_b32_e64 v61, v18, v1, s[24:25]
	v_cmp_ne_u32_e32 vcc, 0, v61
	s_mov_b64 s[26:27], 0
	v_mov_b32_e32 v2, 0
                                        ; implicit-def: $vgpr25
                                        ; implicit-def: $vgpr0
                                        ; implicit-def: $vgpr4
	s_and_saveexec_b64 s[60:61], vcc
	s_cbranch_execz .LBB6_593
; %bb.584:                              ;   in Loop: Header=BB6_491 Depth=2
	v_sub_u32_e32 v0, v18, v1
	v_cndmask_b32_e64 v0, 0, v0, s[24:25]
	v_cmp_lt_i32_e32 vcc, 0, v60
	v_add_u32_e32 v8, v0, v5
	v_accvgpr_read_b32 v1, a32
	v_cndmask_b32_e32 v0, 0, v34, vcc
	v_sub_u32_e32 v0, v0, v60
	v_lshl_add_u32 v0, v0, 6, v1
	v_ashrrev_i32_e32 v1, 31, v0
	v_lshrrev_b32_e32 v1, 26, v1
	v_add_u32_e32 v1, v0, v1
	v_ashrrev_i32_e32 v2, 6, v1
	v_and_b32_e32 v1, 0xffffffc0, v1
	v_sub_u32_e32 v5, v0, v1
	v_ashrrev_i32_e32 v1, 31, v61
	v_lshrrev_b32_e32 v1, 22, v1
	v_add_u32_e32 v1, v61, v1
	v_and_b32_e32 v6, 0xfffffc00, v1
	v_lshlrev_b32_e32 v0, 4, v5
	v_sub_u32_e32 v7, v61, v6
	v_lshl_add_u32 v0, v2, 10, v0
	v_ashrrev_i32_e32 v4, 10, v1
	v_cmp_lt_i32_e64 s[24:25], 15, v7
	v_sub_u32_e32 v18, v61, v0
	s_nop 0
	v_addc_co_u32_e64 v1, vcc, 0, v4, s[24:25]
	v_sub_u32_e32 v60, v1, v2
	v_cmp_lt_i32_e32 vcc, 15, v18
	s_and_saveexec_b64 s[62:63], vcc
	s_cbranch_execz .LBB6_590
; %bb.585:                              ;   in Loop: Header=BB6_491 Depth=2
	v_accvgpr_write_b32 a50, v7
	v_accvgpr_write_b32 a49, v6
	v_accvgpr_write_b32 a48, v5
	s_trap 2
	ds_read_b128 v[4:7], v0
	v_add_u32_e32 v0, v0, v8
	v_ashrrev_i32_e32 v1, 31, v0
	s_waitcnt lgkmcnt(0)
	v_accvgpr_write_b32 a47, v31
	v_accvgpr_write_b32 a46, v30
	v_lshl_add_u64 v[14:15], v[0:1], 0, v[30:31]
	v_lshl_add_u64 v[30:31], v[4:5], 0, v[0:1]
	;; [unrolled: 1-line block ×3, first 2 shown]
	v_accvgpr_write_b32 a36, v8
	s_mov_b64 s[64:65], 0
	v_mov_b64_e32 v[4:5], v[30:31]
	v_mov_b64_e32 v[46:47], v[48:49]
.LBB6_586:                              ;   Parent Loop BB6_47 Depth=1
                                        ;     Parent Loop BB6_491 Depth=2
                                        ; =>    This Loop Header: Depth=3
                                        ;         Child Loop BB6_587 Depth 4
	global_load_dwordx4 v[6:9], v[4:5], off nt
	global_load_dwordx4 v[24:27], v[46:47], off nt
	;; [unrolled: 1-line block ×3, first 2 shown]
	s_mov_b64 s[66:67], -1
	s_mov_b64 s[68:69], 0
	s_waitcnt vmcnt(0)
	v_mul_f16_e32 v0, v6, v24
	v_mul_f16_sdwa v1, v6, v24 dst_sel:DWORD dst_unused:UNUSED_PAD src0_sel:WORD_1 src1_sel:WORD_1
	v_mul_f16_sdwa v6, v7, v25 dst_sel:DWORD dst_unused:UNUSED_PAD src0_sel:WORD_1 src1_sel:WORD_1
	v_mul_f16_e32 v11, v9, v27
	v_mul_f16_sdwa v9, v9, v27 dst_sel:DWORD dst_unused:UNUSED_PAD src0_sel:WORD_1 src1_sel:WORD_1
	v_mul_f16_e32 v2, v7, v25
	v_mul_f16_e32 v7, v8, v26
	v_mul_f16_sdwa v8, v8, v26 dst_sel:DWORD dst_unused:UNUSED_PAD src0_sel:WORD_1 src1_sel:WORD_1
	v_lshlrev_b32_e32 v16, 16, v6
	v_lshlrev_b32_e32 v17, 16, v1
	;; [unrolled: 1-line block ×4, first 2 shown]
	v_mul_f16_e32 v25, v0, v52
	v_mul_f16_sdwa v1, v1, v52 dst_sel:WORD_1 dst_unused:UNUSED_PAD src0_sel:DWORD src1_sel:WORD_1
	v_mul_f16_e32 v26, v2, v53
	v_mul_f16_sdwa v6, v6, v53 dst_sel:WORD_1 dst_unused:UNUSED_PAD src0_sel:DWORD src1_sel:WORD_1
	;; [unrolled: 2-line block ×4, first 2 shown]
	v_or_b32_e32 v36, v16, v2
	v_or3_b32 v2, v17, v0, 0
	v_or_b32_e32 v0, v19, v11
	v_or3_b32 v38, v24, v7, 0
	v_or_b32_e32 v9, v6, v26
	v_or_b32_e32 v16, v1, v25
	;; [unrolled: 1-line block ×4, first 2 shown]
	v_or3_b32 v17, 0, 0, v36
	v_or3_b32 v39, 0, 0, v0
.LBB6_587:                              ;   Parent Loop BB6_47 Depth=1
                                        ;     Parent Loop BB6_491 Depth=2
                                        ;       Parent Loop BB6_586 Depth=3
                                        ; =>      This Inner Loop Header: Depth=4
	v_cndmask_b32_e64 v0, 0, 1, s[66:67]
	v_cndmask_b32_e64 v25, v17, v9, s[66:67]
	v_readfirstlane_b32 s26, v0
	s_cmp_lg_u32 s26, 1
	s_cselect_b64 vcc, -1, 0
	s_cmp_eq_u32 s68, 1
	s_cselect_b64 s[26:27], -1, 0
	v_cndmask_b32_e64 v24, v2, v16, s[66:67]
	v_cndmask_b32_e64 v27, v39, v11, s[66:67]
	;; [unrolled: 1-line block ×3, first 2 shown]
	v_cndmask_b32_e32 v1, v31, v49, vcc
	v_cndmask_b32_e32 v0, v30, v48, vcc
	v_cndmask_b32_e64 v7, v31, v49, s[26:27]
	s_cmp_eq_u32 s68, 0
	v_cndmask_b32_e64 v6, v30, v48, s[26:27]
	global_store_dwordx4 v[0:1], v[24:27], off nt
	v_lshl_add_u64 v[0:1], v[6:7], 0, s[40:41]
	s_cselect_b64 s[28:29], -1, 0
	s_mov_b64 s[66:67], 0
	s_mov_b64 s[68:69], 1
	s_and_b64 vcc, exec, vcc
	v_cndmask_b32_e64 v49, v49, v1, s[26:27]
	v_cndmask_b32_e64 v48, v48, v0, s[26:27]
	;; [unrolled: 1-line block ×4, first 2 shown]
	s_cbranch_vccz .LBB6_587
; %bb.588:                              ;   in Loop: Header=BB6_586 Depth=3
	v_sub_u32_e32 v18, v18, v62
	v_cmp_gt_i32_e32 vcc, 16, v18
	v_lshl_add_u64 v[4:5], v[4:5], 0, v[42:43]
	v_lshl_add_u64 v[46:47], v[46:47], 0, v[42:43]
	;; [unrolled: 1-line block ×5, first 2 shown]
	s_or_b64 s[64:65], vcc, s[64:65]
	v_sub_u32_e32 v60, v60, v34
	s_andn2_b64 exec, exec, s[64:65]
	s_cbranch_execnz .LBB6_586
; %bb.589:                              ;   in Loop: Header=BB6_491 Depth=2
	s_or_b64 exec, exec, s[64:65]
	v_accvgpr_read_b32 v49, a13
	v_accvgpr_read_b32 v47, a17
	;; [unrolled: 1-line block ×13, first 2 shown]
	v_mov_b32_e32 v38, 1
	v_accvgpr_read_b32 v31, a47
	v_accvgpr_read_b32 v8, a36
	;; [unrolled: 1-line block ×5, first 2 shown]
.LBB6_590:                              ;   in Loop: Header=BB6_491 Depth=2
	s_or_b64 exec, exec, s[62:63]
	v_and_b32_e32 v1, 14, v61
	v_cndmask_b32_e64 v25, v7, v1, s[24:25]
	v_cmp_ne_u32_e32 vcc, 0, v25
	s_mov_b64 s[26:27], 0
	v_mov_b32_e32 v2, 0
                                        ; implicit-def: $vgpr0
                                        ; implicit-def: $vgpr4
	s_and_saveexec_b64 s[28:29], vcc
	s_cbranch_execz .LBB6_592
; %bb.591:                              ;   in Loop: Header=BB6_491 Depth=2
	v_sub_u32_e32 v0, v7, v1
	v_cndmask_b32_e64 v0, 0, v0, s[24:25]
	v_cmp_lt_i32_e32 vcc, 0, v60
	v_add3_u32 v2, v6, v8, v0
	s_mov_b64 s[26:27], exec
	v_cndmask_b32_e32 v0, 0, v34, vcc
	v_sub_u32_e32 v0, v0, v60
	v_lshl_add_u32 v0, v0, 6, v5
	v_ashrrev_i32_e32 v1, 31, v0
	v_lshrrev_b32_e32 v1, 26, v1
	v_add_u32_e32 v1, v0, v1
	v_ashrrev_i32_e32 v4, 6, v1
.LBB6_592:                              ;   in Loop: Header=BB6_491 Depth=2
	s_or_b64 exec, exec, s[28:29]
	s_and_b64 s[26:27], s[26:27], exec
.LBB6_593:                              ;   in Loop: Header=BB6_491 Depth=2
	s_or_b64 exec, exec, s[60:61]
	v_accvgpr_mov_b32 a36, a3
	v_accvgpr_read_b32 v61, a33
	v_accvgpr_read_b32 v60, a37
	s_and_saveexec_b64 s[28:29], s[26:27]
	s_cbranch_execz .LBB6_563
.LBB6_594:                              ;   in Loop: Header=BB6_491 Depth=2
	v_ashrrev_i32_e32 v1, 31, v25
	v_lshrrev_b32_e32 v1, 23, v1
	v_add_u32_e32 v1, v25, v1
	v_ashrrev_i32_e32 v11, 9, v1
	v_sub_u32_e32 v1, v11, v4
	v_ashrrev_i32_e32 v5, 31, v0
	v_cmp_lt_i32_e32 vcc, 0, v1
	v_lshrrev_b32_e32 v9, 26, v5
	s_and_saveexec_b64 s[24:25], vcc
	s_cbranch_execz .LBB6_598
; %bb.595:                              ;   in Loop: Header=BB6_491 Depth=2
	v_add_u32_e32 v5, v0, v9
	v_and_b32_e32 v5, 0x7fffffc0, v5
	s_trap 2
	ds_read_b128 v[14:17], v0
	v_sub_u32_e32 v5, v0, v5
	v_lshlrev_b32_e32 v5, 1, v5
	v_lshlrev_b32_e32 v4, 9, v4
	v_add3_u32 v6, v5, v2, v4
	v_ashrrev_i32_e32 v7, 31, v6
	s_waitcnt lgkmcnt(0)
	v_accvgpr_write_b32 a47, v31
	v_accvgpr_write_b32 a46, v30
	v_lshl_add_u64 v[4:5], v[6:7], 0, v[30:31]
	v_lshl_add_u64 v[14:15], v[14:15], 0, v[6:7]
	;; [unrolled: 1-line block ×3, first 2 shown]
	s_mov_b64 s[26:27], 0
	v_mov_b64_e32 v[38:39], v[14:15]
	v_mov_b64_e32 v[48:49], v[30:31]
.LBB6_596:                              ;   Parent Loop BB6_47 Depth=1
                                        ;     Parent Loop BB6_491 Depth=2
                                        ; =>    This Inner Loop Header: Depth=3
	flat_load_ushort v6, v[14:15] nt
	flat_load_ushort v7, v[14:15] offset:128 nt
	flat_load_ushort v8, v[14:15] offset:256 nt
	;; [unrolled: 1-line block ×5, first 2 shown]
	flat_load_ushort v19, v[30:31] nt
	flat_load_ushort v24, v[30:31] offset:128 nt
	flat_load_ushort v26, v[30:31] offset:256 nt
	;; [unrolled: 1-line block ×3, first 2 shown]
	flat_load_ushort v28, v[4:5] nt
	flat_load_ushort v29, v[4:5] offset:128 nt
	v_sub_u32_e32 v1, v1, v34
	v_cmp_gt_i32_e32 vcc, 1, v1
	v_lshl_add_u64 v[14:15], v[14:15], 0, v[40:41]
	v_lshl_add_u64 v[30:31], v[30:31], 0, v[40:41]
	v_lshl_add_u64 v[4:5], v[4:5], 0, v[40:41]
	s_or_b64 s[26:27], vcc, s[26:27]
	s_waitcnt vmcnt(0) lgkmcnt(0)
	v_mul_f16_e32 v6, v6, v19
	v_mul_f16_e32 v7, v7, v24
	;; [unrolled: 1-line block ×8, first 2 shown]
	flat_store_short v[38:39], v19 nt
	flat_store_short v[38:39], v24 offset:128 nt
	flat_store_short v[38:39], v17 offset:256 nt
	;; [unrolled: 1-line block ×3, first 2 shown]
	flat_store_short v[48:49], v6 nt
	flat_store_short v[48:49], v7 offset:128 nt
	flat_store_short v[48:49], v8 offset:256 nt
	;; [unrolled: 1-line block ×3, first 2 shown]
	v_lshl_add_u64 v[38:39], v[38:39], 0, v[40:41]
	v_lshl_add_u64 v[48:49], v[48:49], 0, v[40:41]
	s_andn2_b64 exec, exec, s[26:27]
	s_cbranch_execnz .LBB6_596
; %bb.597:                              ;   in Loop: Header=BB6_491 Depth=2
	s_or_b64 exec, exec, s[26:27]
	v_accvgpr_read_b32 v49, a13
	v_accvgpr_read_b32 v30, a46
	;; [unrolled: 1-line block ×4, first 2 shown]
.LBB6_598:                              ;   in Loop: Header=BB6_491 Depth=2
	s_or_b64 exec, exec, s[24:25]
	v_lshlrev_b32_e32 v4, 9, v11
	v_cmp_ne_u32_e32 vcc, v25, v4
	s_and_saveexec_b64 s[60:61], vcc
	s_cbranch_execz .LBB6_604
; %bb.599:                              ;   in Loop: Header=BB6_491 Depth=2
	v_add_u32_e32 v5, v0, v9
	v_and_b32_e32 v5, 0xffffffc0, v5
	v_sub_u32_e32 v0, v0, v5
	v_lshlrev_b32_e32 v1, 6, v1
	v_sub_u32_e32 v0, v0, v1
	v_ashrrev_i32_e32 v1, 31, v0
	v_lshrrev_b32_e32 v1, 26, v1
	v_add_u32_e32 v1, v0, v1
	v_and_b32_e32 v5, 0x7fffffc0, v1
	v_sub_u32_e32 v0, v0, v5
	v_lshlrev_b32_e32 v1, 1, v1
	v_and_b32_e32 v1, 0xffffff80, v1
	v_lshlrev_b32_e32 v0, 1, v0
	v_add3_u32 v1, v1, v0, v4
	v_sub_u32_e32 v0, v25, v1
	v_cmp_lt_i32_e32 vcc, 1, v0
	s_and_b64 exec, exec, vcc
	s_cbranch_execz .LBB6_604
; %bb.600:                              ;   in Loop: Header=BB6_491 Depth=2
	s_trap 2
	ds_read_b128 v[6:9], v0
	v_add_u32_e32 v16, v1, v2
	v_ashrrev_i32_e32 v17, 31, v16
	s_waitcnt lgkmcnt(0)
	v_lshl_add_u64 v[4:5], v[16:17], 0, v[30:31]
	s_mov_b64 s[62:63], 0
	v_lshl_add_u64 v[14:15], v[6:7], 0, v[16:17]
	v_lshl_add_u64 v[18:19], v[8:9], 0, v[16:17]
	v_mov_b64_e32 v[30:31], v[14:15]
	v_mov_b64_e32 v[38:39], v[18:19]
.LBB6_601:                              ;   Parent Loop BB6_47 Depth=1
                                        ;     Parent Loop BB6_491 Depth=2
                                        ; =>    This Loop Header: Depth=3
                                        ;         Child Loop BB6_602 Depth 4
	flat_load_ushort v1, v[30:31] nt
	flat_load_ushort v2, v[38:39] nt
	;; [unrolled: 1-line block ×3, first 2 shown]
	s_mov_b64 s[66:67], -1
	s_mov_b64 s[64:65], 0
	s_waitcnt vmcnt(0) lgkmcnt(0)
	v_mul_f16_e32 v1, v1, v2
	v_mul_f16_e32 v2, v6, v1
.LBB6_602:                              ;   Parent Loop BB6_47 Depth=1
                                        ;     Parent Loop BB6_491 Depth=2
                                        ;       Parent Loop BB6_601 Depth=3
                                        ; =>      This Inner Loop Header: Depth=4
	v_cndmask_b32_e64 v6, 0, 1, s[66:67]
	v_cndmask_b32_e64 v8, v1, v2, s[66:67]
	v_readfirstlane_b32 s24, v6
	s_cmp_lg_u32 s24, 1
	s_cselect_b64 vcc, -1, 0
	s_cmp_eq_u32 s64, 1
	v_cndmask_b32_e32 v7, v15, v19, vcc
	v_cndmask_b32_e32 v6, v14, v18, vcc
	s_cselect_b64 s[24:25], -1, 0
	v_cndmask_b32_e64 v9, v15, v19, s[24:25]
	s_cmp_eq_u32 s64, 0
	flat_store_short v[6:7], v8 nt
	v_cndmask_b32_e64 v8, v14, v18, s[24:25]
	v_lshl_add_u64 v[6:7], v[8:9], 0, s[42:43]
	s_cselect_b64 s[26:27], -1, 0
	s_mov_b64 s[66:67], 0
	s_mov_b64 s[64:65], 1
	s_and_b64 vcc, exec, vcc
	v_cndmask_b32_e64 v19, v19, v7, s[24:25]
	v_cndmask_b32_e64 v18, v18, v6, s[24:25]
	;; [unrolled: 1-line block ×4, first 2 shown]
	s_cbranch_vccz .LBB6_602
; %bb.603:                              ;   in Loop: Header=BB6_601 Depth=3
	v_sub_u32_e32 v0, v0, v57
	v_cmp_gt_i32_e32 vcc, 2, v0
	v_lshl_add_u64 v[30:31], v[30:31], 0, v[44:45]
	v_lshl_add_u64 v[38:39], v[38:39], 0, v[44:45]
	;; [unrolled: 1-line block ×4, first 2 shown]
	s_or_b64 s[62:63], vcc, s[62:63]
	v_lshl_add_u64 v[4:5], v[4:5], 0, v[44:45]
	s_andn2_b64 exec, exec, s[62:63]
	s_cbranch_execnz .LBB6_601
.LBB6_604:                              ;   in Loop: Header=BB6_491 Depth=2
	s_or_b64 exec, exec, s[60:61]
	v_accvgpr_read_b32 v26, a30
	v_accvgpr_read_b32 v39, a15
	;; [unrolled: 1-line block ×3, first 2 shown]
	v_mov_b32_e32 v38, 1
	s_or_b64 exec, exec, s[28:29]
	s_branch .LBB6_564
.LBB6_605:                              ;   in Loop: Header=BB6_491 Depth=2
	s_mov_b64 s[24:25], -1
	s_and_saveexec_b64 s[26:27], s[18:19]
	s_cbranch_execz .LBB6_607
; %bb.606:                              ;   in Loop: Header=BB6_491 Depth=2
	ds_read_b32 v0, v0 offset:720
	s_waitcnt lgkmcnt(0)
	v_and_b32_e32 v0, 15, v0
	v_cmp_eq_u32_e32 vcc, 0, v0
	s_orn2_b64 s[24:25], vcc, exec
.LBB6_607:                              ;   in Loop: Header=BB6_491 Depth=2
	s_or_b64 exec, exec, s[26:27]
	s_and_saveexec_b64 s[26:27], s[14:15]
	s_cbranch_execz .LBB6_609
; %bb.608:                              ;   in Loop: Header=BB6_491 Depth=2
	ds_read_b32 v0, v0 offset:784
	s_waitcnt lgkmcnt(0)
	v_and_b32_e32 v0, 15, v0
	v_cmp_eq_u32_e32 vcc, 0, v0
	s_and_b64 s[28:29], s[24:25], vcc
	s_andn2_b64 s[24:25], s[24:25], exec
	s_and_b64 s[28:29], s[28:29], exec
	s_or_b64 s[24:25], s[24:25], s[28:29]
.LBB6_609:                              ;   in Loop: Header=BB6_491 Depth=2
	s_or_b64 exec, exec, s[26:27]
	s_xor_b64 s[24:25], s[24:25], -1
	v_cndmask_b32_e64 v0, 0, 1, s[24:25]
	v_lshlrev_b32_e32 v2, 1, v37
	s_mov_b64 s[28:29], -1
	;;#ASMSTART
	;;#ASMEND
	v_mov_b32_e32 v9, 0
	v_cmp_ne_u32_e32 vcc, 0, v0
	s_cbranch_vccz .LBB6_616
; %bb.610:                              ;   in Loop: Header=BB6_491 Depth=2
	v_accvgpr_read_b32 v11, a36
	v_mov_b32_e32 v4, v58
	s_and_saveexec_b64 s[24:25], s[28:29]
	s_cbranch_execnz .LBB6_629
.LBB6_611:                              ;   in Loop: Header=BB6_491 Depth=2
	s_or_b64 exec, exec, s[24:25]
	s_and_saveexec_b64 s[24:25], s[4:5]
	s_cbranch_execnz .LBB6_565
.LBB6_612:                              ;   in Loop: Header=BB6_491 Depth=2
	s_or_b64 exec, exec, s[24:25]
                                        ; implicit-def: $vgpr0
	s_and_saveexec_b64 s[24:25], s[20:21]
	s_xor_b64 s[26:27], exec, s[24:25]
	s_cbranch_execz .LBB6_645
.LBB6_613:                              ;   in Loop: Header=BB6_491 Depth=2
	v_and_b32_e32 v1, 16, v59
	v_cmp_lt_i32_e32 vcc, 0, v37
	v_cmp_ne_u32_e64 s[24:25], 0, v1
	v_and_b32_e32 v0, 16, v59
	s_and_b64 s[28:29], s[24:25], vcc
	s_and_saveexec_b64 s[24:25], s[28:29]
	s_cbranch_execz .LBB6_615
; %bb.614:                              ;   in Loop: Header=BB6_491 Depth=2
	v_mov_b32_e32 v0, 1
	buffer_wbl2 sc1
	s_waitcnt vmcnt(0) lgkmcnt(0)
	buffer_inv sc1
.LBB6_615:                              ;   in Loop: Header=BB6_491 Depth=2
	s_or_b64 exec, exec, s[24:25]
	s_andn2_saveexec_b64 s[24:25], s[26:27]
	s_cbranch_execz .LBB6_664
	s_branch .LBB6_646
.LBB6_616:                              ;   in Loop: Header=BB6_491 Depth=2
	v_accvgpr_read_b32 v0, a20
	v_accvgpr_read_b32 v1, a21
	v_sub_u32_e32 v1, v2, v0
	v_ashrrev_i32_e32 v0, 31, v2
	v_lshrrev_b32_e32 v0, 22, v0
	v_add_u32_e32 v0, v2, v0
	v_ashrrev_i32_e32 v4, 10, v0
	v_and_b32_e32 v0, 0xfffffc00, v0
	v_sub_u32_e32 v17, v2, v0
	v_cmp_lt_i32_e32 vcc, 15, v17
	s_nop 1
	v_addc_co_u32_e64 v16, s[24:25], v4, v61, vcc
	v_cmp_lt_i32_e64 s[24:25], 15, v1
	s_and_saveexec_b64 s[26:27], s[24:25]
	s_cbranch_execz .LBB6_620
; %bb.617:                              ;   in Loop: Header=BB6_491 Depth=2
	s_trap 2
	ds_read_b128 v[52:55], v0
	ds_read_b64 v[4:5], v0
	s_waitcnt lgkmcnt(0)
	v_accvgpr_read_b32 v31, a21
	v_accvgpr_read_b32 v30, a20
	s_mov_b64 s[28:29], 0
	v_lshl_add_u64 v[14:15], v[52:53], 0, v[30:31]
	v_lshl_add_u64 v[18:19], v[54:55], 0, v[30:31]
.LBB6_618:                              ;   Parent Loop BB6_47 Depth=1
                                        ;     Parent Loop BB6_491 Depth=2
                                        ; =>    This Inner Loop Header: Depth=3
	global_load_dwordx4 v[52:55], v[14:15], off nt
	global_load_dwordx4 v[46:49], v[18:19], off nt
	;; [unrolled: 1-line block ×3, first 2 shown]
	v_sub_u32_e32 v1, v1, v62
	v_cmp_gt_i32_e64 s[24:25], 16, v1
	v_lshl_add_u64 v[6:7], v[4:5], 0, v[30:31]
	v_lshl_add_u64 v[14:15], v[14:15], 0, v[42:43]
	;; [unrolled: 1-line block ×4, first 2 shown]
	v_sub_u32_e32 v16, v16, v34
	s_or_b64 s[28:29], s[24:25], s[28:29]
	s_waitcnt vmcnt(0)
	v_mul_f16_e32 v8, v52, v46
	v_mul_f16_sdwa v9, v52, v46 dst_sel:DWORD dst_unused:UNUSED_PAD src0_sel:WORD_1 src1_sel:WORD_1
	v_mul_f16_e32 v11, v53, v47
	v_mul_f16_sdwa v28, v53, v47 dst_sel:DWORD dst_unused:UNUSED_PAD src0_sel:WORD_1 src1_sel:WORD_1
	;; [unrolled: 2-line block ×4, first 2 shown]
	v_mul_f16_e32 v8, v8, v24
	v_mul_f16_sdwa v9, v9, v24 dst_sel:WORD_1 dst_unused:UNUSED_PAD src0_sel:DWORD src1_sel:WORD_1
	v_mul_f16_e32 v11, v11, v25
	v_mul_f16_sdwa v24, v28, v25 dst_sel:WORD_1 dst_unused:UNUSED_PAD src0_sel:DWORD src1_sel:WORD_1
	;; [unrolled: 2-line block ×4, first 2 shown]
	v_or_b32_e32 v25, v24, v11
	v_or_b32_e32 v24, v9, v8
	;; [unrolled: 1-line block ×4, first 2 shown]
	global_store_dwordx4 v[6:7], v[24:27], off nt
	s_andn2_b64 exec, exec, s[28:29]
	s_cbranch_execnz .LBB6_618
; %bb.619:                              ;   in Loop: Header=BB6_491 Depth=2
	s_or_b64 exec, exec, s[28:29]
	v_accvgpr_read_b32 v49, a13
	v_accvgpr_read_b32 v47, a17
	v_accvgpr_read_b32 v55, a19
	v_accvgpr_read_b32 v53, a29
	v_accvgpr_read_b32 v26, a30
	v_accvgpr_read_b32 v48, a12
	v_accvgpr_read_b32 v46, a16
	v_accvgpr_read_b32 v54, a18
	v_accvgpr_read_b32 v39, a15
	v_accvgpr_read_b32 v52, a28
	v_accvgpr_read_b32 v27, a31
	v_mov_b32_e32 v38, 1
.LBB6_620:                              ;   in Loop: Header=BB6_491 Depth=2
	s_or_b64 exec, exec, s[26:27]
	v_and_b32_e32 v5, 14, v2
	v_cndmask_b32_e32 v1, v17, v5, vcc
	v_cmp_ne_u32_e64 s[24:25], 0, v1
	s_mov_b64 s[28:29], 0
	v_mov_b32_e32 v9, 0
                                        ; implicit-def: $vgpr2
                                        ; implicit-def: $vgpr11
                                        ; implicit-def: $vgpr4
	s_and_saveexec_b64 s[26:27], s[24:25]
	s_cbranch_execz .LBB6_628
; %bb.621:                              ;   in Loop: Header=BB6_491 Depth=2
	v_sub_u32_e32 v2, v17, v5
	v_cndmask_b32_e32 v2, 0, v2, vcc
	v_cmp_lt_i32_e32 vcc, 0, v16
	v_add_u32_e32 v0, v2, v0
	v_accvgpr_read_b32 v4, a32
	v_cndmask_b32_e32 v2, 0, v34, vcc
	v_sub_u32_e32 v2, v2, v16
	v_lshl_add_u32 v2, v2, 6, v4
	v_ashrrev_i32_e32 v4, 31, v2
	v_lshrrev_b32_e32 v4, 26, v4
	v_ashrrev_i32_e32 v6, 31, v1
	v_add_u32_e32 v4, v2, v4
	v_lshrrev_b32_e32 v6, 22, v6
	v_ashrrev_i32_e32 v5, 6, v4
	v_and_b32_e32 v4, 0xffffffc0, v4
	v_add_u32_e32 v6, v1, v6
	v_sub_u32_e32 v16, v2, v4
	v_and_b32_e32 v17, 0xfffffc00, v6
	v_lshlrev_b32_e32 v2, 4, v16
	v_sub_u32_e32 v38, v1, v17
	v_lshl_add_u32 v4, v5, 10, v2
	v_ashrrev_i32_e32 v7, 10, v6
	v_cmp_lt_i32_e32 vcc, 15, v38
	v_sub_u32_e32 v2, v1, v4
	s_nop 0
	v_addc_co_u32_e64 v6, s[24:25], 0, v7, vcc
	v_sub_u32_e32 v25, v6, v5
	v_cmp_lt_i32_e64 s[24:25], 15, v2
	s_and_saveexec_b64 s[28:29], s[24:25]
	s_cbranch_execz .LBB6_625
; %bb.622:                              ;   in Loop: Header=BB6_491 Depth=2
	s_trap 2
	ds_read_b128 v[52:55], v0
	ds_read_b64 v[14:15], v0
	v_add_u32_e32 v4, v4, v0
	v_ashrrev_i32_e32 v5, 31, v4
	s_mov_b64 s[60:61], 0
	s_waitcnt lgkmcnt(0)
	v_lshl_add_u64 v[18:19], v[52:53], 0, v[4:5]
	v_lshl_add_u64 v[30:31], v[54:55], 0, v[4:5]
.LBB6_623:                              ;   Parent Loop BB6_47 Depth=1
                                        ;     Parent Loop BB6_491 Depth=2
                                        ; =>    This Inner Loop Header: Depth=3
	global_load_dwordx4 v[52:55], v[18:19], off nt
	global_load_dwordx4 v[46:49], v[30:31], off nt
	;; [unrolled: 1-line block ×3, first 2 shown]
	v_sub_u32_e32 v2, v2, v62
	v_cmp_gt_i32_e64 s[24:25], 16, v2
	v_lshl_add_u64 v[6:7], v[14:15], 0, v[4:5]
	v_lshl_add_u64 v[18:19], v[18:19], 0, v[42:43]
	;; [unrolled: 1-line block ×4, first 2 shown]
	v_sub_u32_e32 v25, v25, v34
	s_or_b64 s[60:61], s[24:25], s[60:61]
	s_waitcnt vmcnt(0)
	v_mul_f16_e32 v8, v52, v46
	v_mul_f16_sdwa v9, v52, v46 dst_sel:DWORD dst_unused:UNUSED_PAD src0_sel:WORD_1 src1_sel:WORD_1
	v_mul_f16_e32 v11, v53, v47
	v_mul_f16_sdwa v24, v53, v47 dst_sel:DWORD dst_unused:UNUSED_PAD src0_sel:WORD_1 src1_sel:WORD_1
	;; [unrolled: 2-line block ×4, first 2 shown]
	v_mul_f16_e32 v8, v8, v26
	v_mul_f16_sdwa v9, v9, v26 dst_sel:WORD_1 dst_unused:UNUSED_PAD src0_sel:DWORD src1_sel:WORD_1
	v_mul_f16_e32 v11, v11, v27
	v_mul_f16_sdwa v24, v24, v27 dst_sel:WORD_1 dst_unused:UNUSED_PAD src0_sel:DWORD src1_sel:WORD_1
	;; [unrolled: 2-line block ×4, first 2 shown]
	v_or_b32_e32 v27, v24, v11
	v_or_b32_e32 v26, v9, v8
	;; [unrolled: 1-line block ×4, first 2 shown]
	global_store_dwordx4 v[6:7], v[26:29], off nt
	s_andn2_b64 exec, exec, s[60:61]
	s_cbranch_execnz .LBB6_623
; %bb.624:                              ;   in Loop: Header=BB6_491 Depth=2
	s_or_b64 exec, exec, s[60:61]
	v_accvgpr_read_b32 v49, a13
	v_accvgpr_read_b32 v47, a17
	;; [unrolled: 1-line block ×10, first 2 shown]
.LBB6_625:                              ;   in Loop: Header=BB6_491 Depth=2
	s_or_b64 exec, exec, s[28:29]
	v_and_b32_e32 v1, 14, v1
	v_cndmask_b32_e32 v2, v38, v1, vcc
	v_cmp_ne_u32_e64 s[24:25], 0, v2
	s_mov_b64 s[28:29], 0
	v_mov_b32_e32 v9, 0
                                        ; implicit-def: $vgpr11
                                        ; implicit-def: $vgpr4
	s_and_saveexec_b64 s[60:61], s[24:25]
	s_cbranch_execz .LBB6_627
; %bb.626:                              ;   in Loop: Header=BB6_491 Depth=2
	v_sub_u32_e32 v1, v38, v1
	v_cndmask_b32_e32 v1, 0, v1, vcc
	v_cmp_lt_i32_e32 vcc, 0, v25
	v_add3_u32 v9, v17, v0, v1
	s_mov_b64 s[28:29], exec
	v_cndmask_b32_e32 v0, 0, v34, vcc
	v_sub_u32_e32 v0, v0, v25
	v_lshl_add_u32 v11, v0, 6, v16
	v_ashrrev_i32_e32 v0, 31, v11
	v_lshrrev_b32_e32 v0, 26, v0
	v_add_u32_e32 v0, v11, v0
	v_ashrrev_i32_e32 v4, 6, v0
.LBB6_627:                              ;   in Loop: Header=BB6_491 Depth=2
	s_or_b64 exec, exec, s[60:61]
	s_and_b64 s[28:29], s[28:29], exec
	v_accvgpr_read_b32 v39, a15
	v_mov_b32_e32 v38, 1
.LBB6_628:                              ;   in Loop: Header=BB6_491 Depth=2
	s_or_b64 exec, exec, s[26:27]
	s_and_saveexec_b64 s[24:25], s[28:29]
	s_cbranch_execz .LBB6_611
.LBB6_629:                              ;   in Loop: Header=BB6_491 Depth=2
	v_ashrrev_i32_e32 v0, 31, v2
	v_lshrrev_b32_e32 v0, 23, v0
	v_add_u32_e32 v0, v2, v0
	v_ashrrev_i32_e32 v16, 9, v0
	v_sub_u32_e32 v0, v16, v4
	v_ashrrev_i32_e32 v1, 31, v11
	v_cmp_lt_i32_e32 vcc, 0, v0
	v_lshrrev_b32_e32 v1, 26, v1
	s_and_saveexec_b64 s[26:27], vcc
	s_cbranch_execz .LBB6_633
; %bb.630:                              ;   in Loop: Header=BB6_491 Depth=2
	v_add_u32_e32 v5, v11, v1
	v_and_b32_e32 v5, 0x7fffffc0, v5
	v_sub_u32_e32 v5, v11, v5
	v_lshlrev_b32_e32 v5, 1, v5
	s_trap 2
	ds_read_b128 v[24:27], v0
	v_lshlrev_b32_e32 v4, 9, v4
	v_add3_u32 v6, v5, v9, v4
	ds_read_b64 v[4:5], v0
	v_ashrrev_i32_e32 v7, 31, v6
	s_waitcnt lgkmcnt(0)
	v_lshl_add_u64 v[14:15], v[24:25], 0, v[6:7]
	v_lshl_add_u64 v[18:19], v[26:27], 0, v[6:7]
	v_lshl_add_u64 v[30:31], v[6:7], 0, s[52:53]
	s_mov_b64 s[28:29], 0
.LBB6_631:                              ;   Parent Loop BB6_47 Depth=1
                                        ;     Parent Loop BB6_491 Depth=2
                                        ; =>    This Inner Loop Header: Depth=3
	v_add_co_u32_e32 v6, vcc, 0xfffffe80, v30
	flat_load_ushort v8, v[14:15] nt
	flat_load_ushort v17, v[14:15] offset:128 nt
	flat_load_ushort v36, v[14:15] offset:256 nt
	;; [unrolled: 1-line block ×3, first 2 shown]
	flat_load_ushort v39, v[30:31] nt
	flat_load_ushort v48, v[18:19] nt
	flat_load_ushort v49, v[18:19] offset:128 nt
	flat_load_ushort v52, v[18:19] offset:256 nt
	;; [unrolled: 1-line block ×3, first 2 shown]
	v_addc_co_u32_e32 v7, vcc, -1, v31, vcc
	v_add_co_u32_e32 v24, vcc, 0xffffff00, v30
	flat_load_ushort v54, v[6:7] nt
	s_nop 0
	v_addc_co_u32_e32 v25, vcc, -1, v31, vcc
	v_add_co_u32_e32 v6, vcc, s74, v30
	flat_load_ushort v55, v[24:25] nt
	s_nop 0
	v_addc_co_u32_e32 v7, vcc, -1, v31, vcc
	flat_load_ushort v46, v[6:7] nt
	v_sub_u32_e32 v0, v0, v34
	v_lshl_add_u64 v[6:7], v[4:5], 0, v[30:31]
	v_cmp_gt_i32_e32 vcc, 1, v0
	s_or_b64 s[28:29], vcc, s[28:29]
	v_add_co_u32_e32 v24, vcc, 0xfffffe80, v6
	v_lshl_add_u64 v[14:15], v[14:15], 0, v[40:41]
	s_nop 0
	v_addc_co_u32_e32 v25, vcc, -1, v7, vcc
	v_add_co_u32_e32 v26, vcc, 0xffffff00, v6
	v_lshl_add_u64 v[18:19], v[18:19], 0, v[40:41]
	s_nop 0
	v_addc_co_u32_e32 v27, vcc, -1, v7, vcc
	;; [unrolled: 4-line block ×3, first 2 shown]
	s_waitcnt vmcnt(0) lgkmcnt(0)
	v_mul_f16_e32 v8, v8, v48
	v_mul_f16_e32 v17, v17, v49
	;; [unrolled: 1-line block ×6, first 2 shown]
	flat_store_short v[24:25], v8 nt
	v_mul_f16_e32 v8, v55, v17
	flat_store_short v[26:27], v8 nt
	v_mul_f16_e32 v8, v46, v36
	flat_store_short v[28:29], v8 nt
	flat_store_short v[6:7], v38 nt
	s_andn2_b64 exec, exec, s[28:29]
	s_cbranch_execnz .LBB6_631
; %bb.632:                              ;   in Loop: Header=BB6_491 Depth=2
	s_or_b64 exec, exec, s[28:29]
	v_accvgpr_read_b32 v49, a13
	v_accvgpr_read_b32 v47, a17
	;; [unrolled: 1-line block ×11, first 2 shown]
	v_mov_b32_e32 v38, 1
.LBB6_633:                              ;   in Loop: Header=BB6_491 Depth=2
	s_or_b64 exec, exec, s[26:27]
	v_lshlrev_b32_e32 v4, 9, v16
	v_cmp_ne_u32_e32 vcc, v2, v4
	s_and_saveexec_b64 s[26:27], vcc
	s_cbranch_execz .LBB6_637
; %bb.634:                              ;   in Loop: Header=BB6_491 Depth=2
	v_add_u32_e32 v1, v11, v1
	v_and_b32_e32 v1, 0xffffffc0, v1
	v_sub_u32_e32 v1, v11, v1
	v_lshlrev_b32_e32 v0, 6, v0
	v_sub_u32_e32 v0, v1, v0
	v_ashrrev_i32_e32 v1, 31, v0
	v_lshrrev_b32_e32 v1, 26, v1
	v_add_u32_e32 v1, v0, v1
	v_and_b32_e32 v5, 0x7fffffc0, v1
	v_sub_u32_e32 v0, v0, v5
	v_lshlrev_b32_e32 v1, 1, v1
	v_and_b32_e32 v1, 0xffffff80, v1
	v_lshlrev_b32_e32 v0, 1, v0
	v_add3_u32 v1, v1, v0, v4
	v_sub_u32_e32 v0, v2, v1
	v_cmp_lt_i32_e32 vcc, 1, v0
	s_and_b64 exec, exec, vcc
	s_cbranch_execz .LBB6_637
; %bb.635:                              ;   in Loop: Header=BB6_491 Depth=2
	s_trap 2
	ds_read_b128 v[16:19], v0
	ds_read_b64 v[14:15], v0
	v_add_u32_e32 v4, v1, v9
	v_ashrrev_i32_e32 v5, 31, v4
	s_mov_b64 s[28:29], 0
	s_waitcnt lgkmcnt(0)
	v_lshl_add_u64 v[16:17], v[16:17], 0, v[4:5]
	v_lshl_add_u64 v[18:19], v[18:19], 0, v[4:5]
.LBB6_636:                              ;   Parent Loop BB6_47 Depth=1
                                        ;     Parent Loop BB6_491 Depth=2
                                        ; =>    This Inner Loop Header: Depth=3
	flat_load_ushort v1, v[16:17] nt
	flat_load_ushort v2, v[18:19] nt
	;; [unrolled: 1-line block ×3, first 2 shown]
	v_sub_u32_e32 v0, v0, v57
	v_cmp_gt_i32_e32 vcc, 2, v0
	v_lshl_add_u64 v[6:7], v[14:15], 0, v[4:5]
	v_lshl_add_u64 v[16:17], v[16:17], 0, v[44:45]
	;; [unrolled: 1-line block ×4, first 2 shown]
	s_or_b64 s[28:29], vcc, s[28:29]
	s_waitcnt vmcnt(0) lgkmcnt(0)
	v_mul_f16_e32 v1, v1, v2
	v_mul_f16_e32 v1, v8, v1
	flat_store_short v[6:7], v1 nt
	s_andn2_b64 exec, exec, s[28:29]
	s_cbranch_execnz .LBB6_636
.LBB6_637:                              ;   in Loop: Header=BB6_491 Depth=2
	s_or_b64 exec, exec, s[26:27]
	s_or_b64 exec, exec, s[24:25]
	s_and_saveexec_b64 s[24:25], s[4:5]
	s_cbranch_execnz .LBB6_565
	s_branch .LBB6_612
.LBB6_638:                              ;   in Loop: Header=BB6_491 Depth=2
	s_or_b64 exec, exec, s[62:63]
	s_and_saveexec_b64 vcc, s[64:65]
	s_xor_b64 vcc, exec, vcc
	s_cbranch_execz .LBB6_640
; %bb.639:                              ;   in Loop: Header=BB6_491 Depth=2
	ds_write_b32 v0, v38
	s_trap 2
.LBB6_640:                              ;   in Loop: Header=BB6_491 Depth=2
	s_or_b64 exec, exec, s[60:61]
	;;#ASMSTART
	s_wakeup
	;;#ASMEND
.LBB6_641:                              ;   in Loop: Header=BB6_491 Depth=2
	s_or_b64 exec, exec, s[28:29]
.LBB6_642:                              ;   in Loop: Header=BB6_491 Depth=2
	s_andn2_saveexec_b64 s[26:27], s[26:27]
	s_cbranch_execz .LBB6_644
; %bb.643:                              ;   in Loop: Header=BB6_491 Depth=2
	s_waitcnt lgkmcnt(0)
	s_barrier
.LBB6_644:                              ;   in Loop: Header=BB6_491 Depth=2
	s_or_b64 exec, exec, s[26:27]
	s_or_b64 exec, exec, s[24:25]
                                        ; implicit-def: $vgpr0
	s_and_saveexec_b64 s[24:25], s[20:21]
	s_xor_b64 s[26:27], exec, s[24:25]
	s_cbranch_execnz .LBB6_613
.LBB6_645:                              ;   in Loop: Header=BB6_491 Depth=2
	s_andn2_saveexec_b64 s[24:25], s[26:27]
	s_cbranch_execz .LBB6_664
.LBB6_646:                              ;   in Loop: Header=BB6_491 Depth=2
	s_and_saveexec_b64 s[26:27], s[38:39]
	s_xor_b64 s[26:27], exec, s[26:27]
	s_cbranch_execz .LBB6_661
; %bb.647:                              ;   in Loop: Header=BB6_491 Depth=2
	s_and_saveexec_b64 s[28:29], s[12:13]
	s_cbranch_execz .LBB6_660
; %bb.648:                              ;   in Loop: Header=BB6_491 Depth=2
	s_mov_b64 s[62:63], exec
	v_mbcnt_lo_u32_b32 v0, s62, 0
	v_mbcnt_hi_u32_b32 v0, s63, v0
	v_cmp_eq_u32_e32 vcc, 0, v0
	;;#ASMSTART
	s_waitcnt lgkmcnt(0) vmcnt(0)
	;;#ASMEND
	s_and_saveexec_b64 s[60:61], vcc
	s_cbranch_execz .LBB6_650
; %bb.649:                              ;   in Loop: Header=BB6_491 Depth=2
	s_bcnt1_i32_b64 vcc_lo, s[62:63]
	v_mov_b32_e32 v2, vcc_lo
	ds_add_u64 v0, v[2:3]
	s_trap 2
.LBB6_650:                              ;   in Loop: Header=BB6_491 Depth=2
	s_or_b64 exec, exec, s[60:61]
	s_trap 2
	ds_read_b64 v[0:1], v0
	v_lshl_add_u64 v[12:13], v[12:13], 0, v[34:35]
	s_waitcnt lgkmcnt(0)
	v_cmp_lt_u64_e32 vcc, v[0:1], v[12:13]
	s_and_saveexec_b64 s[60:61], vcc
	s_cbranch_execz .LBB6_659
; %bb.651:                              ;   in Loop: Header=BB6_491 Depth=2
	s_mov_b32 s85, 0
	s_mov_b64 s[62:63], 0
                                        ; implicit-def: $sgpr64_sgpr65
                                        ; implicit-def: $sgpr66_sgpr67
	s_branch .LBB6_653
.LBB6_652:                              ;   in Loop: Header=BB6_653 Depth=3
	s_or_b64 exec, exec, s[70:71]
	s_and_b64 vcc, exec, vcc
	s_or_b64 s[62:63], vcc, s[62:63]
	s_andn2_b64 vcc, s[64:65], exec
	s_and_b64 s[64:65], s[66:67], exec
	s_or_b64 s[64:65], vcc, s[64:65]
	s_andn2_b64 exec, exec, s[62:63]
	s_cbranch_execz .LBB6_657
.LBB6_653:                              ;   Parent Loop BB6_47 Depth=1
                                        ;     Parent Loop BB6_491 Depth=2
                                        ; =>    This Inner Loop Header: Depth=3
	s_add_i32 s85, s85, 1
	s_cmpk_lg_i32 s85, 0x2710
	s_cselect_b64 s[68:69], -1, 0
	s_and_b64 vcc, exec, s[68:69]
                                        ; implicit-def: $sgpr70_sgpr71
	s_cbranch_vccnz .LBB6_655
; %bb.654:                              ;   in Loop: Header=BB6_653 Depth=3
	s_trap 2
	ds_read_b64 v[0:1], v0
	s_andn2_b64 s[68:69], s[68:69], exec
	s_mov_b32 s85, 0
	s_mov_b64 s[70:71], -1
	s_waitcnt vmcnt(0) lgkmcnt(0)
	flat_load_dword v0, v[0:1] sc0 sc1
	s_waitcnt vmcnt(0) lgkmcnt(0)
	buffer_inv sc0 sc1
	v_cmp_eq_u32_e32 vcc, 0, v0
	s_and_b64 vcc, vcc, exec
	s_or_b64 s[68:69], s[68:69], vcc
.LBB6_655:                              ;   in Loop: Header=BB6_653 Depth=3
	s_andn2_b64 s[66:67], s[66:67], exec
	s_and_b64 s[70:71], s[70:71], exec
	s_mov_b64 vcc, -1
	s_or_b64 s[66:67], s[66:67], s[70:71]
	s_and_saveexec_b64 s[70:71], s[68:69]
	s_cbranch_execz .LBB6_652
; %bb.656:                              ;   in Loop: Header=BB6_653 Depth=3
	s_sleep 1
	s_trap 2
	ds_read_b64 v[0:1], v0
	s_andn2_b64 s[66:67], s[66:67], exec
	s_waitcnt lgkmcnt(0)
	v_cmp_ge_u64_e32 vcc, v[0:1], v[12:13]
	s_orn2_b64 vcc, vcc, exec
	s_branch .LBB6_652
.LBB6_657:                              ;   in Loop: Header=BB6_491 Depth=2
	s_or_b64 exec, exec, s[62:63]
	s_and_saveexec_b64 vcc, s[64:65]
	s_xor_b64 vcc, exec, vcc
	s_cbranch_execz .LBB6_659
; %bb.658:                              ;   in Loop: Header=BB6_491 Depth=2
	ds_write_b32 v0, v38
	s_trap 2
.LBB6_659:                              ;   in Loop: Header=BB6_491 Depth=2
	s_or_b64 exec, exec, s[60:61]
	;;#ASMSTART
	s_wakeup
	;;#ASMEND
.LBB6_660:                              ;   in Loop: Header=BB6_491 Depth=2
	s_or_b64 exec, exec, s[28:29]
.LBB6_661:                              ;   in Loop: Header=BB6_491 Depth=2
	s_andn2_saveexec_b64 s[26:27], s[26:27]
	s_cbranch_execz .LBB6_663
; %bb.662:                              ;   in Loop: Header=BB6_491 Depth=2
	;;#ASMSTART
	s_waitcnt lgkmcnt(0) vmcnt(0)
	;;#ASMEND
	s_barrier
.LBB6_663:                              ;   in Loop: Header=BB6_491 Depth=2
	s_or_b64 exec, exec, s[26:27]
	v_and_b32_e32 v0, 16, v59
.LBB6_664:                              ;   in Loop: Header=BB6_491 Depth=2
	s_or_b64 exec, exec, s[24:25]
	v_cmp_ne_u32_e32 vcc, 0, v0
	s_xor_b64 s[24:25], s[6:7], -1
	s_and_b64 s[26:27], vcc, s[24:25]
	s_and_saveexec_b64 s[24:25], s[26:27]
	s_cbranch_execz .LBB6_666
; %bb.665:                              ;   in Loop: Header=BB6_491 Depth=2
	flat_store_dword v[54:55], v38 sc0 sc1
.LBB6_666:                              ;   in Loop: Header=BB6_491 Depth=2
	s_or_b64 exec, exec, s[24:25]
	v_and_b32_e32 v0, 48, v59
	v_cmp_ne_u32_e32 vcc, 0, v0
	s_and_saveexec_b64 s[24:25], vcc
	s_cbranch_execz .LBB6_490
; %bb.667:                              ;   in Loop: Header=BB6_491 Depth=2
	v_lshl_add_u64 v[20:21], v[20:21], 0, 2
	flat_store_dwordx2 v[22:23], v[20:21] sc0 sc1
	s_branch .LBB6_490
.LBB6_668:                              ;   in Loop: Header=BB6_47 Depth=1
	s_or_b64 exec, exec, s[54:55]
	v_cmp_gt_i32_e32 vcc, 2, v0
	s_and_saveexec_b64 s[26:27], vcc
	s_cbranch_execz .LBB6_742
.LBB6_669:                              ;   in Loop: Header=BB6_47 Depth=1
	v_cmp_eq_u32_e64 s[24:25], 0, v0
	s_mov_b64 s[28:29], 0
	s_branch .LBB6_671
.LBB6_670:                              ;   in Loop: Header=BB6_671 Depth=2
	s_or_b64 exec, exec, s[24:25]
	v_add_u32_e32 v10, v56, v10
	s_mov_b64 s[24:25], 0
	s_andn2_b64 exec, exec, s[28:29]
	s_cbranch_execz .LBB6_743
.LBB6_671:                              ;   Parent Loop BB6_47 Depth=1
                                        ; =>  This Loop Header: Depth=2
                                        ;       Child Loop BB6_677 Depth 3
                                        ;       Child Loop BB6_707 Depth 3
	;; [unrolled: 1-line block ×3, first 2 shown]
	v_and_b32_e32 v0, 12, v59
	s_mov_b64 s[56:57], -1
	v_cmp_ne_u32_e32 vcc, 0, v0
	s_and_saveexec_b64 s[54:55], vcc
	s_cbranch_execz .LBB6_683
; %bb.672:                              ;   in Loop: Header=BB6_671 Depth=2
	v_and_b32_e32 v2, 8, v59
	v_lshl_add_u64 v[0:1], v[32:33], 0, v[2:3]
	v_lshl_add_u64 v[4:5], v[20:21], 0, 2
	v_cmp_lt_u64_e32 vcc, v[0:1], v[4:5]
	v_mov_b32_e32 v0, 1
	s_and_saveexec_b64 s[56:57], vcc
	s_cbranch_execz .LBB6_682
; %bb.673:                              ;   in Loop: Header=BB6_671 Depth=2
	s_mov_b64 s[58:59], 0
	v_mov_b32_e32 v0, 0
                                        ; implicit-def: $sgpr60_sgpr61
	s_branch .LBB6_677
.LBB6_674:                              ;   in Loop: Header=BB6_677 Depth=3
	s_or_b64 exec, exec, s[68:69]
	v_mov_b32_e32 v1, 0
	s_orn2_b64 s[66:67], s[66:67], exec
.LBB6_675:                              ;   in Loop: Header=BB6_677 Depth=3
	s_or_b64 exec, exec, s[64:65]
	s_andn2_b64 vcc, s[60:61], exec
	s_and_b64 s[60:61], s[66:67], exec
	s_or_b64 s[60:61], vcc, s[60:61]
	v_mov_b32_e32 v0, v1
.LBB6_676:                              ;   in Loop: Header=BB6_677 Depth=3
	s_or_b64 exec, exec, s[62:63]
	s_waitcnt vmcnt(0) lgkmcnt(0)
	v_lshl_add_u64 v[6:7], v[32:33], 0, v[2:3]
	v_cmp_ge_u64_e32 vcc, v[6:7], v[4:5]
	s_xor_b64 s[62:63], s[60:61], -1
	s_or_b64 vcc, s[62:63], vcc
	s_and_b64 vcc, exec, vcc
	s_or_b64 s[58:59], vcc, s[58:59]
	s_andn2_b64 exec, exec, s[58:59]
	s_cbranch_execz .LBB6_681
.LBB6_677:                              ;   Parent Loop BB6_47 Depth=1
                                        ;     Parent Loop BB6_671 Depth=2
                                        ; =>    This Inner Loop Header: Depth=3
	s_sleep 1
	flat_load_dwordx2 v[32:33], v[22:23] sc0 sc1
	v_and_b32_e32 v1, 64, v59
	v_cmp_eq_u32_e32 vcc, 0, v1
	s_andn2_b64 s[60:61], s[60:61], exec
	s_and_saveexec_b64 s[62:63], vcc
	s_cbranch_execz .LBB6_676
; %bb.678:                              ;   in Loop: Header=BB6_677 Depth=3
	v_add_u32_e32 v1, 1, v0
	v_cmp_lt_i32_e32 vcc, s82, v0
	s_mov_b64 s[66:67], -1
	s_and_saveexec_b64 s[64:65], vcc
	s_cbranch_execz .LBB6_675
; %bb.679:                              ;   in Loop: Header=BB6_677 Depth=3
	s_trap 2
	ds_read_b64 v[0:1], v0
	s_waitcnt vmcnt(0) lgkmcnt(0)
	flat_load_dword v0, v[0:1] sc0 sc1
	s_waitcnt vmcnt(0) lgkmcnt(0)
	buffer_inv sc0 sc1
	v_cmp_ne_u32_e32 vcc, 0, v0
	s_and_saveexec_b64 s[68:69], vcc
	s_cbranch_execz .LBB6_674
; %bb.680:                              ;   in Loop: Header=BB6_677 Depth=3
	v_or_b32_e32 v59, 64, v59
	s_xor_b64 s[66:67], exec, -1
	ds_write_b32 v0, v0
	s_trap 2
	s_branch .LBB6_674
.LBB6_681:                              ;   in Loop: Header=BB6_671 Depth=2
	s_or_b64 exec, exec, s[58:59]
	v_and_b32_e32 v0, 12, v59
.LBB6_682:                              ;   in Loop: Header=BB6_671 Depth=2
	s_or_b64 exec, exec, s[56:57]
	v_cmp_eq_u32_e32 vcc, 0, v0
	s_orn2_b64 s[56:57], vcc, exec
	;;#ASMSTART
	s_wakeup
	;;#ASMEND
.LBB6_683:                              ;   in Loop: Header=BB6_671 Depth=2
	s_or_b64 exec, exec, s[54:55]
	s_xor_b64 s[24:25], s[24:25], -1
	s_and_b64 s[24:25], exec, s[24:25]
	s_or_b64 s[28:29], s[24:25], s[28:29]
	v_sub_u32_e32 v0, v60, v10
	s_xor_b64 s[24:25], s[56:57], -1
	v_min_i32_e32 v56, v56, v0
	s_and_saveexec_b64 s[54:55], s[24:25]
	s_cbranch_execz .LBB6_699
; %bb.684:                              ;   in Loop: Header=BB6_671 Depth=2
	v_and_b32_e32 v0, 0x108, v59
	v_cmp_ne_u32_e32 vcc, s83, v0
	v_and_b32_e32 v2, 7, v20
	s_and_saveexec_b64 s[24:25], vcc
	s_xor_b64 s[24:25], exec, s[24:25]
	s_andn2_saveexec_b64 s[24:25], s[24:25]
	s_cbranch_execz .LBB6_686
; %bb.685:                              ;   in Loop: Header=BB6_671 Depth=2
	v_ashrrev_i32_e32 v57, 31, v56
	v_mad_u64_u32 v[0:1], vcc, v2, 24, v[48:49]
	v_lshlrev_b64 v[4:5], 1, v[56:57]
	v_accvgpr_read_b32 v57, a26
	flat_store_dwordx2 v[0:1], v[4:5] offset:8
.LBB6_686:                              ;   in Loop: Header=BB6_671 Depth=2
	s_or_b64 exec, exec, s[24:25]
	v_and_b32_e32 v0, 0x100, v59
	v_cmp_ne_u32_e32 vcc, 0, v0
	s_mov_b64 s[24:25], -1
                                        ; implicit-def: $vgpr4_vgpr5
	s_and_saveexec_b64 s[56:57], vcc
	s_cbranch_execz .LBB6_690
; %bb.687:                              ;   in Loop: Header=BB6_671 Depth=2
	v_mad_u64_u32 v[14:15], s[24:25], v2, 24, v[48:49]
	v_mov_b32_e32 v0, v15
	v_mad_u64_u32 v[0:1], s[24:25], v3, 24, v[0:1]
	v_mov_b32_e32 v15, v0
	flat_load_dword v0, v[14:15]
                                        ; implicit-def: $vgpr4_vgpr5
	s_waitcnt vmcnt(0) lgkmcnt(0)
	v_cmp_ne_u32_e32 vcc, 1, v0
	v_cmp_eq_u32_e64 s[24:25], 1, v0
	s_and_saveexec_b64 s[58:59], s[24:25]
	s_cbranch_execz .LBB6_689
; %bb.688:                              ;   in Loop: Header=BB6_671 Depth=2
	flat_load_dword v0, v[14:15] offset:4 sc0 sc1
	s_waitcnt vmcnt(0) lgkmcnt(0)
	v_ashrrev_i32_e32 v1, 31, v0
	v_lshrrev_b64 v[4:5], 1, v[0:1]
.LBB6_689:                              ;   in Loop: Header=BB6_671 Depth=2
	s_or_b64 exec, exec, s[58:59]
	s_orn2_b64 s[24:25], vcc, exec
.LBB6_690:                              ;   in Loop: Header=BB6_671 Depth=2
	s_or_b64 exec, exec, s[56:57]
	s_and_saveexec_b64 vcc, s[24:25]
; %bb.691:                              ;   in Loop: Header=BB6_671 Depth=2
	v_accvgpr_read_b32 v4, a14
	v_mul_lo_u32 v0, v3, v4
	v_mul_lo_u32 v1, v2, v39
	v_mad_u64_u32 v[4:5], s[24:25], v2, v4, 0
	v_add3_u32 v5, v5, v1, v0
; %bb.692:                              ;   in Loop: Header=BB6_671 Depth=2
	s_or_b64 exec, exec, vcc
	v_lshl_add_u64 v[0:1], v[4:5], 1, v[46:47]
	s_trap 2
	ds_write_b64 v0, v[0:1]
	v_and_b32_e32 v0, 0x2000, v59
	v_cmp_ne_u32_e32 vcc, 0, v0
	s_and_saveexec_b64 s[24:25], vcc
	s_cbranch_execz .LBB6_694
; %bb.693:                              ;   in Loop: Header=BB6_671 Depth=2
	ds_read_b64 v[0:1], v0 offset:584
	s_waitcnt lgkmcnt(0)
	v_lshl_add_u64 v[0:1], v[0:1], 0, 1
	ds_write_b64 v0, v[0:1] offset:584
.LBB6_694:                              ;   in Loop: Header=BB6_671 Depth=2
	s_or_b64 exec, exec, s[24:25]
	v_lshl_add_u64 v[20:21], v[20:21], 0, 2
	s_or_b64 exec, exec, s[54:55]
	s_and_saveexec_b64 s[24:25], s[4:5]
	s_cbranch_execnz .LBB6_700
.LBB6_695:                              ;   in Loop: Header=BB6_671 Depth=2
	s_or_b64 exec, exec, s[24:25]
                                        ; implicit-def: $vgpr0
	s_and_saveexec_b64 s[24:25], s[20:21]
	s_xor_b64 s[24:25], exec, s[24:25]
	s_cbranch_execz .LBB6_718
.LBB6_696:                              ;   in Loop: Header=BB6_671 Depth=2
	s_trap 2
	ds_read_b32 v1, v0
	v_cmp_lt_i32_e32 vcc, 0, v56
	v_and_b32_e32 v2, 16, v59
	v_and_b32_e32 v0, 16, v59
	s_waitcnt lgkmcnt(0)
	v_readfirstlane_b32 s54, v1
	s_cmp_eq_u32 s54, 0
	s_cselect_b64 s[54:55], -1, 0
	s_and_b64 s[54:55], vcc, s[54:55]
	v_cmp_ne_u32_e32 vcc, 0, v2
	s_and_b64 s[54:55], vcc, s[54:55]
	s_and_saveexec_b64 vcc, s[54:55]
	s_cbranch_execz .LBB6_698
; %bb.697:                              ;   in Loop: Header=BB6_671 Depth=2
	v_mov_b32_e32 v0, 1
	buffer_wbl2 sc1
	s_waitcnt vmcnt(0)
	buffer_inv sc1
.LBB6_698:                              ;   in Loop: Header=BB6_671 Depth=2
	s_or_b64 exec, exec, vcc
	s_andn2_saveexec_b64 s[24:25], s[24:25]
	s_cbranch_execz .LBB6_737
	s_branch .LBB6_719
.LBB6_699:                              ;   in Loop: Header=BB6_671 Depth=2
	s_or_b64 exec, exec, s[54:55]
	s_and_saveexec_b64 s[24:25], s[4:5]
	s_cbranch_execz .LBB6_695
.LBB6_700:                              ;   in Loop: Header=BB6_671 Depth=2
	s_and_saveexec_b64 vcc, s[38:39]
	s_xor_b64 s[54:55], exec, vcc
	s_cbranch_execz .LBB6_715
; %bb.701:                              ;   in Loop: Header=BB6_671 Depth=2
	s_and_saveexec_b64 s[56:57], s[12:13]
	s_cbranch_execz .LBB6_714
; %bb.702:                              ;   in Loop: Header=BB6_671 Depth=2
	s_mov_b64 s[60:61], exec
	v_mbcnt_lo_u32_b32 v0, s60, 0
	v_mbcnt_hi_u32_b32 v0, s61, v0
	v_cmp_eq_u32_e32 vcc, 0, v0
	s_waitcnt lgkmcnt(0)
	s_and_saveexec_b64 s[58:59], vcc
	s_cbranch_execz .LBB6_704
; %bb.703:                              ;   in Loop: Header=BB6_671 Depth=2
	s_bcnt1_i32_b64 vcc_lo, s[60:61]
	v_mov_b32_e32 v2, vcc_lo
	ds_add_u64 v0, v[2:3]
	s_trap 2
.LBB6_704:                              ;   in Loop: Header=BB6_671 Depth=2
	s_or_b64 exec, exec, s[58:59]
	s_trap 2
	ds_read_b64 v[0:1], v0
	v_lshl_add_u64 v[12:13], v[12:13], 0, v[34:35]
	s_waitcnt lgkmcnt(0)
	v_cmp_lt_u64_e32 vcc, v[0:1], v[12:13]
	s_and_saveexec_b64 s[58:59], vcc
	s_cbranch_execz .LBB6_713
; %bb.705:                              ;   in Loop: Header=BB6_671 Depth=2
	s_mov_b32 s70, 0
	s_mov_b64 s[60:61], 0
                                        ; implicit-def: $sgpr62_sgpr63
                                        ; implicit-def: $sgpr64_sgpr65
	s_branch .LBB6_707
.LBB6_706:                              ;   in Loop: Header=BB6_707 Depth=3
	s_or_b64 exec, exec, s[68:69]
	s_and_b64 vcc, exec, vcc
	s_or_b64 s[60:61], vcc, s[60:61]
	s_andn2_b64 vcc, s[62:63], exec
	s_and_b64 s[62:63], s[64:65], exec
	s_or_b64 s[62:63], vcc, s[62:63]
	s_andn2_b64 exec, exec, s[60:61]
	s_cbranch_execz .LBB6_711
.LBB6_707:                              ;   Parent Loop BB6_47 Depth=1
                                        ;     Parent Loop BB6_671 Depth=2
                                        ; =>    This Inner Loop Header: Depth=3
	s_add_i32 s70, s70, 1
	s_cmpk_lg_i32 s70, 0x2710
	s_cselect_b64 s[66:67], -1, 0
	s_and_b64 vcc, exec, s[66:67]
                                        ; implicit-def: $sgpr68_sgpr69
	s_cbranch_vccnz .LBB6_709
; %bb.708:                              ;   in Loop: Header=BB6_707 Depth=3
	s_trap 2
	ds_read_b64 v[0:1], v0
	s_andn2_b64 s[66:67], s[66:67], exec
	s_mov_b32 s70, 0
	s_mov_b64 s[68:69], -1
	s_waitcnt vmcnt(0) lgkmcnt(0)
	flat_load_dword v0, v[0:1] sc0 sc1
	s_waitcnt vmcnt(0) lgkmcnt(0)
	buffer_inv sc0 sc1
	v_cmp_eq_u32_e32 vcc, 0, v0
	s_and_b64 vcc, vcc, exec
	s_or_b64 s[66:67], s[66:67], vcc
.LBB6_709:                              ;   in Loop: Header=BB6_707 Depth=3
	s_andn2_b64 s[64:65], s[64:65], exec
	s_and_b64 s[68:69], s[68:69], exec
	s_mov_b64 vcc, -1
	s_or_b64 s[64:65], s[64:65], s[68:69]
	s_and_saveexec_b64 s[68:69], s[66:67]
	s_cbranch_execz .LBB6_706
; %bb.710:                              ;   in Loop: Header=BB6_707 Depth=3
	s_sleep 1
	s_trap 2
	ds_read_b64 v[0:1], v0
	s_andn2_b64 s[64:65], s[64:65], exec
	s_waitcnt lgkmcnt(0)
	v_cmp_ge_u64_e32 vcc, v[0:1], v[12:13]
	s_orn2_b64 vcc, vcc, exec
	s_branch .LBB6_706
.LBB6_711:                              ;   in Loop: Header=BB6_671 Depth=2
	s_or_b64 exec, exec, s[60:61]
	s_and_saveexec_b64 vcc, s[62:63]
	s_xor_b64 vcc, exec, vcc
	s_cbranch_execz .LBB6_713
; %bb.712:                              ;   in Loop: Header=BB6_671 Depth=2
	ds_write_b32 v0, v38
	s_trap 2
.LBB6_713:                              ;   in Loop: Header=BB6_671 Depth=2
	s_or_b64 exec, exec, s[58:59]
	;;#ASMSTART
	s_wakeup
	;;#ASMEND
.LBB6_714:                              ;   in Loop: Header=BB6_671 Depth=2
	s_or_b64 exec, exec, s[56:57]
.LBB6_715:                              ;   in Loop: Header=BB6_671 Depth=2
	s_andn2_saveexec_b64 vcc, s[54:55]
	s_cbranch_execz .LBB6_717
; %bb.716:                              ;   in Loop: Header=BB6_671 Depth=2
	s_waitcnt lgkmcnt(0)
	s_barrier
.LBB6_717:                              ;   in Loop: Header=BB6_671 Depth=2
	s_or_b64 exec, exec, vcc
	s_or_b64 exec, exec, s[24:25]
                                        ; implicit-def: $vgpr0
	s_and_saveexec_b64 s[24:25], s[20:21]
	s_xor_b64 s[24:25], exec, s[24:25]
	s_cbranch_execnz .LBB6_696
.LBB6_718:                              ;   in Loop: Header=BB6_671 Depth=2
	s_andn2_saveexec_b64 s[24:25], s[24:25]
	s_cbranch_execz .LBB6_737
.LBB6_719:                              ;   in Loop: Header=BB6_671 Depth=2
	s_and_saveexec_b64 vcc, s[38:39]
	s_xor_b64 s[54:55], exec, vcc
	s_cbranch_execz .LBB6_734
; %bb.720:                              ;   in Loop: Header=BB6_671 Depth=2
	s_and_saveexec_b64 s[56:57], s[12:13]
	s_cbranch_execz .LBB6_733
; %bb.721:                              ;   in Loop: Header=BB6_671 Depth=2
	s_mov_b64 s[60:61], exec
	v_mbcnt_lo_u32_b32 v0, s60, 0
	v_mbcnt_hi_u32_b32 v0, s61, v0
	v_cmp_eq_u32_e32 vcc, 0, v0
	;;#ASMSTART
	s_waitcnt lgkmcnt(0) vmcnt(0)
	;;#ASMEND
	s_and_saveexec_b64 s[58:59], vcc
	s_cbranch_execz .LBB6_723
; %bb.722:                              ;   in Loop: Header=BB6_671 Depth=2
	s_bcnt1_i32_b64 vcc_lo, s[60:61]
	v_mov_b32_e32 v2, vcc_lo
	ds_add_u64 v0, v[2:3]
	s_trap 2
.LBB6_723:                              ;   in Loop: Header=BB6_671 Depth=2
	s_or_b64 exec, exec, s[58:59]
	s_trap 2
	ds_read_b64 v[0:1], v0
	v_lshl_add_u64 v[12:13], v[12:13], 0, v[34:35]
	s_waitcnt lgkmcnt(0)
	v_cmp_lt_u64_e32 vcc, v[0:1], v[12:13]
	s_and_saveexec_b64 s[58:59], vcc
	s_cbranch_execz .LBB6_732
; %bb.724:                              ;   in Loop: Header=BB6_671 Depth=2
	s_mov_b32 s70, 0
	s_mov_b64 s[60:61], 0
                                        ; implicit-def: $sgpr62_sgpr63
                                        ; implicit-def: $sgpr64_sgpr65
	s_branch .LBB6_726
.LBB6_725:                              ;   in Loop: Header=BB6_726 Depth=3
	s_or_b64 exec, exec, s[68:69]
	s_and_b64 vcc, exec, vcc
	s_or_b64 s[60:61], vcc, s[60:61]
	s_andn2_b64 vcc, s[62:63], exec
	s_and_b64 s[62:63], s[64:65], exec
	s_or_b64 s[62:63], vcc, s[62:63]
	s_andn2_b64 exec, exec, s[60:61]
	s_cbranch_execz .LBB6_730
.LBB6_726:                              ;   Parent Loop BB6_47 Depth=1
                                        ;     Parent Loop BB6_671 Depth=2
                                        ; =>    This Inner Loop Header: Depth=3
	s_add_i32 s70, s70, 1
	s_cmpk_lg_i32 s70, 0x2710
	s_cselect_b64 s[66:67], -1, 0
	s_and_b64 vcc, exec, s[66:67]
                                        ; implicit-def: $sgpr68_sgpr69
	s_cbranch_vccnz .LBB6_728
; %bb.727:                              ;   in Loop: Header=BB6_726 Depth=3
	s_trap 2
	ds_read_b64 v[0:1], v0
	s_andn2_b64 s[66:67], s[66:67], exec
	s_mov_b32 s70, 0
	s_mov_b64 s[68:69], -1
	s_waitcnt vmcnt(0) lgkmcnt(0)
	flat_load_dword v0, v[0:1] sc0 sc1
	s_waitcnt vmcnt(0) lgkmcnt(0)
	buffer_inv sc0 sc1
	v_cmp_eq_u32_e32 vcc, 0, v0
	s_and_b64 vcc, vcc, exec
	s_or_b64 s[66:67], s[66:67], vcc
.LBB6_728:                              ;   in Loop: Header=BB6_726 Depth=3
	s_andn2_b64 s[64:65], s[64:65], exec
	s_and_b64 s[68:69], s[68:69], exec
	s_mov_b64 vcc, -1
	s_or_b64 s[64:65], s[64:65], s[68:69]
	s_and_saveexec_b64 s[68:69], s[66:67]
	s_cbranch_execz .LBB6_725
; %bb.729:                              ;   in Loop: Header=BB6_726 Depth=3
	s_sleep 1
	s_trap 2
	ds_read_b64 v[0:1], v0
	s_andn2_b64 s[64:65], s[64:65], exec
	s_waitcnt lgkmcnt(0)
	v_cmp_ge_u64_e32 vcc, v[0:1], v[12:13]
	s_orn2_b64 vcc, vcc, exec
	s_branch .LBB6_725
.LBB6_730:                              ;   in Loop: Header=BB6_671 Depth=2
	s_or_b64 exec, exec, s[60:61]
	s_and_saveexec_b64 vcc, s[62:63]
	s_xor_b64 vcc, exec, vcc
	s_cbranch_execz .LBB6_732
; %bb.731:                              ;   in Loop: Header=BB6_671 Depth=2
	ds_write_b32 v0, v38
	s_trap 2
.LBB6_732:                              ;   in Loop: Header=BB6_671 Depth=2
	s_or_b64 exec, exec, s[58:59]
	;;#ASMSTART
	s_wakeup
	;;#ASMEND
.LBB6_733:                              ;   in Loop: Header=BB6_671 Depth=2
	s_or_b64 exec, exec, s[56:57]
.LBB6_734:                              ;   in Loop: Header=BB6_671 Depth=2
	s_andn2_saveexec_b64 vcc, s[54:55]
	s_cbranch_execz .LBB6_736
; %bb.735:                              ;   in Loop: Header=BB6_671 Depth=2
	;;#ASMSTART
	s_waitcnt lgkmcnt(0) vmcnt(0)
	;;#ASMEND
	s_barrier
.LBB6_736:                              ;   in Loop: Header=BB6_671 Depth=2
	s_or_b64 exec, exec, vcc
	v_and_b32_e32 v0, 16, v59
.LBB6_737:                              ;   in Loop: Header=BB6_671 Depth=2
	s_or_b64 exec, exec, s[24:25]
	v_cmp_ne_u32_e32 vcc, 0, v0
	s_xor_b64 s[24:25], s[6:7], -1
	s_and_b64 vcc, vcc, s[24:25]
	s_and_saveexec_b64 s[24:25], vcc
	s_cbranch_execz .LBB6_739
; %bb.738:                              ;   in Loop: Header=BB6_671 Depth=2
	flat_store_dword v[54:55], v38 sc0 sc1
.LBB6_739:                              ;   in Loop: Header=BB6_671 Depth=2
	s_or_b64 exec, exec, s[24:25]
	v_and_b32_e32 v0, 48, v59
	v_cmp_ne_u32_e32 vcc, 0, v0
	s_and_saveexec_b64 s[24:25], vcc
	s_cbranch_execz .LBB6_670
; %bb.740:                              ;   in Loop: Header=BB6_671 Depth=2
	v_lshl_add_u64 v[20:21], v[20:21], 0, 2
	flat_store_dwordx2 v[22:23], v[20:21] sc0 sc1
	s_branch .LBB6_670
.LBB6_741:                              ;   in Loop: Header=BB6_47 Depth=1
	s_or_b64 exec, exec, s[56:57]
	s_or_b64 exec, exec, s[54:55]
	v_cmp_gt_i32_e32 vcc, 2, v0
	s_and_saveexec_b64 s[26:27], vcc
	s_cbranch_execnz .LBB6_669
.LBB6_742:                              ;   in Loop: Header=BB6_47 Depth=1
	s_or_b64 exec, exec, s[26:27]
	s_and_b64 vcc, exec, s[22:23]
	v_accvgpr_read_b32 v56, a14
	s_cbranch_vccz .LBB6_744
	s_branch .LBB6_1002
.LBB6_743:                              ;   in Loop: Header=BB6_47 Depth=1
	s_or_b64 exec, exec, s[28:29]
	s_or_b64 exec, exec, s[26:27]
	s_and_b64 vcc, exec, s[22:23]
	v_accvgpr_read_b32 v56, a14
	s_cbranch_vccnz .LBB6_1002
.LBB6_744:                              ;   in Loop: Header=BB6_47 Depth=1
	s_mov_b32 s70, 1
.LBB6_745:                              ;   Parent Loop BB6_47 Depth=1
                                        ; =>  This Loop Header: Depth=2
                                        ;       Child Loop BB6_748 Depth 3
                                        ;         Child Loop BB6_756 Depth 4
                                        ;         Child Loop BB6_782 Depth 4
	;; [unrolled: 1-line block ×8, first 2 shown]
                                        ;           Child Loop BB6_837 Depth 5
                                        ;         Child Loop BB6_843 Depth 4
                                        ;           Child Loop BB6_844 Depth 5
                                        ;         Child Loop BB6_853 Depth 4
                                        ;         Child Loop BB6_858 Depth 4
                                        ;           Child Loop BB6_859 Depth 5
                                        ;         Child Loop BB6_829 Depth 4
                                        ;         Child Loop BB6_910 Depth 4
                                        ;       Child Loop BB6_928 Depth 3
                                        ;         Child Loop BB6_934 Depth 4
                                        ;         Child Loop BB6_964 Depth 4
	;; [unrolled: 1-line block ×3, first 2 shown]
	s_sub_i32 s22, s75, s70
	s_cmp_le_i32 s72, s22
	s_cselect_b32 s23, s72, 0
	s_sub_i32 s22, s22, s23
	v_accvgpr_read_b32 v6, a38
	s_ashr_i32 s23, s22, 31
	v_accvgpr_read_b32 v7, a39
	v_mul_lo_u32 v0, v6, s23
	v_mul_lo_u32 v1, v7, s22
	v_mad_u64_u32 v[4:5], s[22:23], v6, s22, 0
	v_add3_u32 v5, v5, v0, v1
	v_accvgpr_read_b32 v0, a40
	v_accvgpr_read_b32 v1, a41
	v_sub_co_u32_e32 v0, vcc, v0, v4
	v_mov_b32_e32 v18, 0
	s_nop 0
	v_subb_co_u32_e32 v1, vcc, v1, v5, vcc
	v_cmp_lt_i64_e32 vcc, v[6:7], v[0:1]
	s_nop 1
	v_cndmask_b32_e32 v0, v0, v6, vcc
	v_max_i32_e32 v24, 0, v0
	v_add_u32_e32 v1, 31, v24
	v_ashrrev_i32_e32 v2, 31, v1
	v_lshrrev_b32_e32 v2, 27, v2
	v_add_u32_e32 v1, v1, v2
	v_ashrrev_i32_e32 v1, 5, v1
	v_lshlrev_b32_e32 v1, 4, v1
	v_cmp_lt_i32_e32 vcc, 0, v0
	v_max_i32_e32 v16, s78, v1
	s_and_b64 s[22:23], s[50:51], vcc
	v_mov_b32_e32 v0, 0
	s_and_saveexec_b64 s[28:29], s[22:23]
	s_cbranch_execz .LBB6_925
; %bb.746:                              ;   in Loop: Header=BB6_745 Depth=2
	v_accvgpr_read_b32 v0, a42
	v_accvgpr_read_b32 v1, a43
	v_lshl_add_u64 v[0:1], v[4:5], 0, v[0:1]
	s_mov_b32 s71, 1
	s_mov_b64 s[56:57], -1
	s_mov_b64 s[54:55], 0
	v_mov_b32_e32 v18, 0
	s_waitcnt lgkmcnt(0)
	v_lshlrev_b64 v[30:31], 1, v[0:1]
	s_branch .LBB6_748
.LBB6_747:                              ;   in Loop: Header=BB6_748 Depth=3
	s_or_b64 exec, exec, s[22:23]
	v_add_u32_e32 v18, v16, v18
	v_cmp_ge_i32_e32 vcc, v18, v24
	s_xor_b64 s[22:23], s[56:57], -1
	s_or_b64 s[22:23], s[22:23], vcc
	s_and_b64 s[22:23], exec, s[22:23]
	s_or_b64 s[54:55], s[22:23], s[54:55]
	s_mov_b64 s[56:57], 0
	v_mov_b32_e32 v0, s71
	s_mov_b32 s71, 2
	s_andn2_b64 exec, exec, s[54:55]
	s_cbranch_execz .LBB6_998
.LBB6_748:                              ;   Parent Loop BB6_47 Depth=1
                                        ;     Parent Loop BB6_745 Depth=2
                                        ; =>    This Loop Header: Depth=3
                                        ;         Child Loop BB6_756 Depth 4
                                        ;         Child Loop BB6_782 Depth 4
	;; [unrolled: 1-line block ×8, first 2 shown]
                                        ;           Child Loop BB6_837 Depth 5
                                        ;         Child Loop BB6_843 Depth 4
                                        ;           Child Loop BB6_844 Depth 5
                                        ;         Child Loop BB6_853 Depth 4
                                        ;         Child Loop BB6_858 Depth 4
                                        ;           Child Loop BB6_859 Depth 5
                                        ;         Child Loop BB6_829 Depth 4
                                        ;         Child Loop BB6_910 Depth 4
	s_and_saveexec_b64 s[22:23], s[0:1]
	s_cbranch_execz .LBB6_750
; %bb.749:                              ;   in Loop: Header=BB6_748 Depth=3
	s_trap 2
	ds_read_b128 v[4:7], v0
	v_ashrrev_i32_e32 v19, 31, v18
	v_lshlrev_b64 v[0:1], 1, v[18:19]
	s_waitcnt lgkmcnt(0)
	v_lshl_add_u64 v[4:5], v[4:5], 0, v[30:31]
	v_lshl_add_u64 v[8:9], v[6:7], 0, v[30:31]
	;; [unrolled: 1-line block ×3, first 2 shown]
	ds_write_b64 v0, v[4:5]
	v_lshl_add_u64 v[0:1], v[8:9], 0, v[0:1]
	v_cmp_ne_u64_e32 vcc, 0, v[6:7]
	s_nop 1
	v_cndmask_b32_e32 v1, 0, v1, vcc
	v_cndmask_b32_e32 v0, 0, v0, vcc
	ds_write_b64 v0, v[0:1]
.LBB6_750:                              ;   in Loop: Header=BB6_748 Depth=3
	s_or_b64 exec, exec, s[22:23]
	v_and_b32_e32 v0, 12, v59
	v_cmp_ne_u32_e32 vcc, 0, v0
	s_mov_b64 s[24:25], -1
	s_and_saveexec_b64 s[22:23], vcc
	s_cbranch_execz .LBB6_762
; %bb.751:                              ;   in Loop: Header=BB6_748 Depth=3
	v_and_b32_e32 v2, 8, v59
	v_lshl_add_u64 v[0:1], v[32:33], 0, v[2:3]
	v_lshl_add_u64 v[4:5], v[20:21], 0, 2
	v_cmp_lt_u64_e32 vcc, v[0:1], v[4:5]
	v_mov_b32_e32 v0, 1
	s_and_saveexec_b64 s[24:25], vcc
	s_cbranch_execz .LBB6_761
; %bb.752:                              ;   in Loop: Header=BB6_748 Depth=3
	s_mov_b64 s[26:27], 0
	v_mov_b32_e32 v0, 0
                                        ; implicit-def: $sgpr58_sgpr59
	s_branch .LBB6_756
.LBB6_753:                              ;   in Loop: Header=BB6_756 Depth=4
	s_or_b64 exec, exec, s[66:67]
	v_mov_b32_e32 v1, 0
	s_orn2_b64 s[64:65], s[64:65], exec
.LBB6_754:                              ;   in Loop: Header=BB6_756 Depth=4
	s_or_b64 exec, exec, s[62:63]
	s_andn2_b64 vcc, s[58:59], exec
	s_and_b64 s[58:59], s[64:65], exec
	s_or_b64 s[58:59], vcc, s[58:59]
	v_mov_b32_e32 v0, v1
.LBB6_755:                              ;   in Loop: Header=BB6_756 Depth=4
	s_or_b64 exec, exec, s[60:61]
	s_waitcnt vmcnt(0) lgkmcnt(0)
	v_lshl_add_u64 v[6:7], v[32:33], 0, v[2:3]
	v_cmp_ge_u64_e32 vcc, v[6:7], v[4:5]
	s_xor_b64 s[60:61], s[58:59], -1
	s_or_b64 vcc, s[60:61], vcc
	s_and_b64 vcc, exec, vcc
	s_or_b64 s[26:27], vcc, s[26:27]
	s_andn2_b64 exec, exec, s[26:27]
	s_cbranch_execz .LBB6_760
.LBB6_756:                              ;   Parent Loop BB6_47 Depth=1
                                        ;     Parent Loop BB6_745 Depth=2
                                        ;       Parent Loop BB6_748 Depth=3
                                        ; =>      This Inner Loop Header: Depth=4
	s_sleep 1
	flat_load_dwordx2 v[32:33], v[22:23] sc0 sc1
	v_and_b32_e32 v1, 64, v59
	v_cmp_eq_u32_e32 vcc, 0, v1
	s_andn2_b64 s[58:59], s[58:59], exec
	s_and_saveexec_b64 s[60:61], vcc
	s_cbranch_execz .LBB6_755
; %bb.757:                              ;   in Loop: Header=BB6_756 Depth=4
	v_add_u32_e32 v1, 1, v0
	v_cmp_lt_i32_e32 vcc, s82, v0
	s_mov_b64 s[64:65], -1
	s_and_saveexec_b64 s[62:63], vcc
	s_cbranch_execz .LBB6_754
; %bb.758:                              ;   in Loop: Header=BB6_756 Depth=4
	s_trap 2
	ds_read_b64 v[0:1], v0
	s_waitcnt vmcnt(0) lgkmcnt(0)
	flat_load_dword v0, v[0:1] sc0 sc1
	s_waitcnt vmcnt(0) lgkmcnt(0)
	buffer_inv sc0 sc1
	v_cmp_ne_u32_e32 vcc, 0, v0
	s_and_saveexec_b64 s[66:67], vcc
	s_cbranch_execz .LBB6_753
; %bb.759:                              ;   in Loop: Header=BB6_756 Depth=4
	v_or_b32_e32 v59, 64, v59
	s_xor_b64 s[64:65], exec, -1
	ds_write_b32 v0, v0
	s_trap 2
	s_branch .LBB6_753
.LBB6_760:                              ;   in Loop: Header=BB6_748 Depth=3
	s_or_b64 exec, exec, s[26:27]
	v_and_b32_e32 v0, 12, v59
.LBB6_761:                              ;   in Loop: Header=BB6_748 Depth=3
	s_or_b64 exec, exec, s[24:25]
	v_cmp_eq_u32_e32 vcc, 0, v0
	s_orn2_b64 s[24:25], vcc, exec
	;;#ASMSTART
	s_wakeup
	;;#ASMEND
.LBB6_762:                              ;   in Loop: Header=BB6_748 Depth=3
	s_or_b64 exec, exec, s[22:23]
	v_sub_u32_e32 v0, v24, v18
	s_xor_b64 s[22:23], s[24:25], -1
	v_min_i32_e32 v16, v16, v0
	s_and_saveexec_b64 s[24:25], s[22:23]
	s_cbranch_execz .LBB6_774
; %bb.763:                              ;   in Loop: Header=BB6_748 Depth=3
	v_and_b32_e32 v0, 0x108, v59
	v_cmp_ne_u32_e32 vcc, s83, v0
	v_and_b32_e32 v2, 7, v20
	s_and_saveexec_b64 s[22:23], vcc
	s_xor_b64 s[22:23], exec, s[22:23]
	s_andn2_saveexec_b64 s[22:23], s[22:23]
	s_cbranch_execz .LBB6_765
; %bb.764:                              ;   in Loop: Header=BB6_748 Depth=3
	v_ashrrev_i32_e32 v17, 31, v16
	v_mad_u64_u32 v[0:1], s[26:27], v2, 24, v[48:49]
	v_lshlrev_b64 v[4:5], 1, v[16:17]
	flat_store_dwordx2 v[0:1], v[4:5] offset:8
.LBB6_765:                              ;   in Loop: Header=BB6_748 Depth=3
	s_or_b64 exec, exec, s[22:23]
	v_and_b32_e32 v0, 0x100, v59
	v_cmp_ne_u32_e32 vcc, 0, v0
	s_mov_b64 s[22:23], -1
                                        ; implicit-def: $vgpr4_vgpr5
	s_and_saveexec_b64 s[26:27], vcc
	s_cbranch_execz .LBB6_769
; %bb.766:                              ;   in Loop: Header=BB6_748 Depth=3
	v_mad_u64_u32 v[8:9], s[22:23], v2, 24, v[48:49]
	v_mov_b32_e32 v0, v9
	v_mad_u64_u32 v[0:1], s[22:23], v3, 24, v[0:1]
	v_mov_b32_e32 v9, v0
	flat_load_dword v0, v[8:9]
                                        ; implicit-def: $vgpr4_vgpr5
	s_waitcnt vmcnt(0) lgkmcnt(0)
	v_cmp_ne_u32_e32 vcc, 1, v0
	v_cmp_eq_u32_e64 s[22:23], 1, v0
	s_and_saveexec_b64 s[58:59], s[22:23]
	s_cbranch_execz .LBB6_768
; %bb.767:                              ;   in Loop: Header=BB6_748 Depth=3
	flat_load_dword v0, v[8:9] offset:4 sc0 sc1
	s_waitcnt vmcnt(0) lgkmcnt(0)
	v_ashrrev_i32_e32 v1, 31, v0
	v_lshrrev_b64 v[4:5], 1, v[0:1]
.LBB6_768:                              ;   in Loop: Header=BB6_748 Depth=3
	s_or_b64 exec, exec, s[58:59]
	s_orn2_b64 s[22:23], vcc, exec
.LBB6_769:                              ;   in Loop: Header=BB6_748 Depth=3
	s_or_b64 exec, exec, s[26:27]
	s_and_saveexec_b64 s[26:27], s[22:23]
; %bb.770:                              ;   in Loop: Header=BB6_748 Depth=3
	v_mul_lo_u32 v0, v3, v56
	v_mul_lo_u32 v1, v2, v39
	v_mad_u64_u32 v[4:5], s[22:23], v2, v56, 0
	v_add3_u32 v5, v5, v1, v0
; %bb.771:                              ;   in Loop: Header=BB6_748 Depth=3
	s_or_b64 exec, exec, s[26:27]
	v_lshl_add_u64 v[0:1], v[4:5], 1, v[46:47]
	s_trap 2
	ds_write_b64 v0, v[0:1]
	v_and_b32_e32 v0, 0x2000, v59
	v_cmp_ne_u32_e32 vcc, 0, v0
	s_and_saveexec_b64 s[22:23], vcc
	s_cbranch_execz .LBB6_773
; %bb.772:                              ;   in Loop: Header=BB6_748 Depth=3
	ds_read_b64 v[0:1], v0 offset:584
	s_waitcnt lgkmcnt(0)
	v_lshl_add_u64 v[0:1], v[0:1], 0, 1
	ds_write_b64 v0, v[0:1] offset:584
.LBB6_773:                              ;   in Loop: Header=BB6_748 Depth=3
	s_or_b64 exec, exec, s[22:23]
	v_lshl_add_u64 v[20:21], v[20:21], 0, 2
.LBB6_774:                              ;   in Loop: Header=BB6_748 Depth=3
	s_or_b64 exec, exec, s[24:25]
	s_and_saveexec_b64 s[22:23], s[4:5]
	s_cbranch_execz .LBB6_793
; %bb.775:                              ;   in Loop: Header=BB6_748 Depth=3
	s_and_saveexec_b64 s[24:25], s[38:39]
	s_xor_b64 s[24:25], exec, s[24:25]
	s_cbranch_execz .LBB6_790
; %bb.776:                              ;   in Loop: Header=BB6_748 Depth=3
	s_and_saveexec_b64 s[26:27], s[12:13]
	s_cbranch_execz .LBB6_789
; %bb.777:                              ;   in Loop: Header=BB6_748 Depth=3
	s_mov_b64 s[60:61], exec
	v_mbcnt_lo_u32_b32 v0, s60, 0
	v_mbcnt_hi_u32_b32 v0, s61, v0
	v_cmp_eq_u32_e32 vcc, 0, v0
	s_waitcnt lgkmcnt(0)
	s_and_saveexec_b64 s[58:59], vcc
	s_cbranch_execz .LBB6_779
; %bb.778:                              ;   in Loop: Header=BB6_748 Depth=3
	s_bcnt1_i32_b64 vcc_lo, s[60:61]
	v_mov_b32_e32 v2, vcc_lo
	ds_add_u64 v0, v[2:3]
	s_trap 2
.LBB6_779:                              ;   in Loop: Header=BB6_748 Depth=3
	s_or_b64 exec, exec, s[58:59]
	s_trap 2
	ds_read_b64 v[0:1], v0
	v_lshl_add_u64 v[12:13], v[12:13], 0, v[34:35]
	s_waitcnt lgkmcnt(0)
	v_cmp_lt_u64_e32 vcc, v[0:1], v[12:13]
	s_and_saveexec_b64 s[58:59], vcc
	s_cbranch_execz .LBB6_788
; %bb.780:                              ;   in Loop: Header=BB6_748 Depth=3
	s_mov_b32 s84, 0
	s_mov_b64 s[60:61], 0
                                        ; implicit-def: $sgpr62_sgpr63
                                        ; implicit-def: $sgpr64_sgpr65
	s_branch .LBB6_782
.LBB6_781:                              ;   in Loop: Header=BB6_782 Depth=4
	s_or_b64 exec, exec, s[68:69]
	s_and_b64 vcc, exec, vcc
	s_or_b64 s[60:61], vcc, s[60:61]
	s_andn2_b64 vcc, s[62:63], exec
	s_and_b64 s[62:63], s[64:65], exec
	s_or_b64 s[62:63], vcc, s[62:63]
	s_andn2_b64 exec, exec, s[60:61]
	s_cbranch_execz .LBB6_786
.LBB6_782:                              ;   Parent Loop BB6_47 Depth=1
                                        ;     Parent Loop BB6_745 Depth=2
                                        ;       Parent Loop BB6_748 Depth=3
                                        ; =>      This Inner Loop Header: Depth=4
	s_add_i32 s84, s84, 1
	s_cmpk_lg_i32 s84, 0x2710
	s_cselect_b64 s[66:67], -1, 0
	s_and_b64 vcc, exec, s[66:67]
                                        ; implicit-def: $sgpr68_sgpr69
	s_cbranch_vccnz .LBB6_784
; %bb.783:                              ;   in Loop: Header=BB6_782 Depth=4
	s_trap 2
	ds_read_b64 v[0:1], v0
	s_andn2_b64 s[66:67], s[66:67], exec
	s_mov_b32 s84, 0
	s_mov_b64 s[68:69], -1
	s_waitcnt vmcnt(0) lgkmcnt(0)
	flat_load_dword v0, v[0:1] sc0 sc1
	s_waitcnt vmcnt(0) lgkmcnt(0)
	buffer_inv sc0 sc1
	v_cmp_eq_u32_e32 vcc, 0, v0
	s_and_b64 vcc, vcc, exec
	s_or_b64 s[66:67], s[66:67], vcc
.LBB6_784:                              ;   in Loop: Header=BB6_782 Depth=4
	s_andn2_b64 s[64:65], s[64:65], exec
	s_and_b64 s[68:69], s[68:69], exec
	s_mov_b64 vcc, -1
	s_or_b64 s[64:65], s[64:65], s[68:69]
	s_and_saveexec_b64 s[68:69], s[66:67]
	s_cbranch_execz .LBB6_781
; %bb.785:                              ;   in Loop: Header=BB6_782 Depth=4
	s_sleep 1
	s_trap 2
	ds_read_b64 v[0:1], v0
	s_andn2_b64 s[64:65], s[64:65], exec
	s_waitcnt lgkmcnt(0)
	v_cmp_ge_u64_e32 vcc, v[0:1], v[12:13]
	s_orn2_b64 vcc, vcc, exec
	s_branch .LBB6_781
.LBB6_786:                              ;   in Loop: Header=BB6_748 Depth=3
	s_or_b64 exec, exec, s[60:61]
	s_and_saveexec_b64 vcc, s[62:63]
	s_xor_b64 vcc, exec, vcc
	s_cbranch_execz .LBB6_788
; %bb.787:                              ;   in Loop: Header=BB6_748 Depth=3
	ds_write_b32 v0, v38
	s_trap 2
.LBB6_788:                              ;   in Loop: Header=BB6_748 Depth=3
	s_or_b64 exec, exec, s[58:59]
	;;#ASMSTART
	s_wakeup
	;;#ASMEND
.LBB6_789:                              ;   in Loop: Header=BB6_748 Depth=3
	s_or_b64 exec, exec, s[26:27]
.LBB6_790:                              ;   in Loop: Header=BB6_748 Depth=3
	s_andn2_saveexec_b64 s[24:25], s[24:25]
	s_cbranch_execz .LBB6_792
; %bb.791:                              ;   in Loop: Header=BB6_748 Depth=3
	s_waitcnt lgkmcnt(0)
	s_barrier
.LBB6_792:                              ;   in Loop: Header=BB6_748 Depth=3
	s_or_b64 exec, exec, s[24:25]
.LBB6_793:                              ;   in Loop: Header=BB6_748 Depth=3
	s_or_b64 exec, exec, s[22:23]
	s_trap 2
	ds_read_b32 v0, v0
	v_and_b32_e32 v1, 0x4000, v59
	v_cmp_ne_u32_e32 vcc, 0, v1
	s_xor_b64 s[22:23], s[2:3], -1
	s_and_b64 s[24:25], s[22:23], vcc
	s_and_saveexec_b64 s[22:23], s[24:25]
	s_cbranch_execz .LBB6_812
; %bb.794:                              ;   in Loop: Header=BB6_748 Depth=3
	s_and_saveexec_b64 s[24:25], s[38:39]
	s_xor_b64 s[24:25], exec, s[24:25]
	s_cbranch_execz .LBB6_809
; %bb.795:                              ;   in Loop: Header=BB6_748 Depth=3
	s_and_saveexec_b64 s[26:27], s[12:13]
	s_cbranch_execz .LBB6_808
; %bb.796:                              ;   in Loop: Header=BB6_748 Depth=3
	s_mov_b64 s[60:61], exec
	v_mbcnt_lo_u32_b32 v1, s60, 0
	v_mbcnt_hi_u32_b32 v1, s61, v1
	v_cmp_eq_u32_e32 vcc, 0, v1
	s_waitcnt lgkmcnt(0)
	s_and_saveexec_b64 s[58:59], vcc
	s_cbranch_execz .LBB6_798
; %bb.797:                              ;   in Loop: Header=BB6_748 Depth=3
	s_bcnt1_i32_b64 vcc_lo, s[60:61]
	v_mov_b32_e32 v2, vcc_lo
	ds_add_u64 v0, v[2:3]
	s_trap 2
.LBB6_798:                              ;   in Loop: Header=BB6_748 Depth=3
	s_or_b64 exec, exec, s[58:59]
	s_trap 2
	ds_read_b64 v[4:5], v0
	v_lshl_add_u64 v[12:13], v[12:13], 0, v[34:35]
	s_waitcnt lgkmcnt(0)
	v_cmp_lt_u64_e32 vcc, v[4:5], v[12:13]
	s_and_saveexec_b64 s[58:59], vcc
	s_cbranch_execz .LBB6_807
; %bb.799:                              ;   in Loop: Header=BB6_748 Depth=3
	s_mov_b32 s84, 0
	s_mov_b64 s[60:61], 0
                                        ; implicit-def: $sgpr62_sgpr63
                                        ; implicit-def: $sgpr64_sgpr65
	s_branch .LBB6_801
.LBB6_800:                              ;   in Loop: Header=BB6_801 Depth=4
	s_or_b64 exec, exec, s[68:69]
	s_and_b64 vcc, exec, vcc
	s_or_b64 s[60:61], vcc, s[60:61]
	s_andn2_b64 vcc, s[62:63], exec
	s_and_b64 s[62:63], s[64:65], exec
	s_or_b64 s[62:63], vcc, s[62:63]
	s_andn2_b64 exec, exec, s[60:61]
	s_cbranch_execz .LBB6_805
.LBB6_801:                              ;   Parent Loop BB6_47 Depth=1
                                        ;     Parent Loop BB6_745 Depth=2
                                        ;       Parent Loop BB6_748 Depth=3
                                        ; =>      This Inner Loop Header: Depth=4
	s_add_i32 s84, s84, 1
	s_cmpk_lg_i32 s84, 0x2710
	s_cselect_b64 s[66:67], -1, 0
	s_and_b64 vcc, exec, s[66:67]
                                        ; implicit-def: $sgpr68_sgpr69
	s_cbranch_vccnz .LBB6_803
; %bb.802:                              ;   in Loop: Header=BB6_801 Depth=4
	s_trap 2
	ds_read_b64 v[4:5], v0
	s_andn2_b64 s[66:67], s[66:67], exec
	s_mov_b32 s84, 0
	s_mov_b64 s[68:69], -1
	s_waitcnt vmcnt(0) lgkmcnt(0)
	flat_load_dword v1, v[4:5] sc0 sc1
	s_waitcnt vmcnt(0) lgkmcnt(0)
	buffer_inv sc0 sc1
	v_cmp_eq_u32_e32 vcc, 0, v1
	s_and_b64 vcc, vcc, exec
	s_or_b64 s[66:67], s[66:67], vcc
.LBB6_803:                              ;   in Loop: Header=BB6_801 Depth=4
	s_andn2_b64 s[64:65], s[64:65], exec
	s_and_b64 s[68:69], s[68:69], exec
	s_mov_b64 vcc, -1
	s_or_b64 s[64:65], s[64:65], s[68:69]
	s_and_saveexec_b64 s[68:69], s[66:67]
	s_cbranch_execz .LBB6_800
; %bb.804:                              ;   in Loop: Header=BB6_801 Depth=4
	s_sleep 1
	s_trap 2
	ds_read_b64 v[4:5], v0
	s_andn2_b64 s[64:65], s[64:65], exec
	s_waitcnt lgkmcnt(0)
	v_cmp_ge_u64_e32 vcc, v[4:5], v[12:13]
	s_orn2_b64 vcc, vcc, exec
	s_branch .LBB6_800
.LBB6_805:                              ;   in Loop: Header=BB6_748 Depth=3
	s_or_b64 exec, exec, s[60:61]
	s_and_saveexec_b64 vcc, s[62:63]
	s_xor_b64 vcc, exec, vcc
	s_cbranch_execz .LBB6_807
; %bb.806:                              ;   in Loop: Header=BB6_748 Depth=3
	ds_write_b32 v0, v38
	s_trap 2
.LBB6_807:                              ;   in Loop: Header=BB6_748 Depth=3
	s_or_b64 exec, exec, s[58:59]
	;;#ASMSTART
	s_wakeup
	;;#ASMEND
.LBB6_808:                              ;   in Loop: Header=BB6_748 Depth=3
	s_or_b64 exec, exec, s[26:27]
.LBB6_809:                              ;   in Loop: Header=BB6_748 Depth=3
	s_andn2_saveexec_b64 s[24:25], s[24:25]
	s_cbranch_execz .LBB6_811
; %bb.810:                              ;   in Loop: Header=BB6_748 Depth=3
	s_waitcnt lgkmcnt(0)
	s_barrier
.LBB6_811:                              ;   in Loop: Header=BB6_748 Depth=3
	s_or_b64 exec, exec, s[24:25]
.LBB6_812:                              ;   in Loop: Header=BB6_748 Depth=3
	s_or_b64 exec, exec, s[22:23]
	s_trap 2
	s_waitcnt lgkmcnt(0)
	ds_read_b64 v[4:5], v0
	v_mov_b32_e32 v25, 0
	s_waitcnt lgkmcnt(0)
	v_readfirstlane_b32 s22, v4
	v_readfirstlane_b32 s23, v5
	s_cmp_eq_u64 s[22:23], 0
	s_cselect_b64 s[22:23], -1, 0
	s_or_b64 s[22:23], s[22:23], s[22:23]
	s_and_b64 vcc, exec, s[22:23]
	s_cbranch_vccnz .LBB6_821
; %bb.813:                              ;   in Loop: Header=BB6_748 Depth=3
	s_trap 2
	ds_read_b64 v[4:5], v0
	v_cmp_eq_u32_e64 s[22:23], 0, v0
	s_waitcnt lgkmcnt(0)
	v_cmp_ne_u64_e32 vcc, 0, v[4:5]
	v_cndmask_b32_e64 v25, 0, v16, s[22:23]
	s_cbranch_vccz .LBB6_833
; %bb.814:                              ;   in Loop: Header=BB6_748 Depth=3
	s_trap 2
	ds_read_b64 v[14:15], v0
	s_mov_b64 s[22:23], -1
	s_and_saveexec_b64 s[24:25], s[16:17]
	s_cbranch_execz .LBB6_816
; %bb.815:                              ;   in Loop: Header=BB6_748 Depth=3
	ds_read_b32 v0, v0 offset:720
	s_waitcnt lgkmcnt(0)
	v_and_b32_e32 v0, 15, v0
	v_cmp_eq_u32_e32 vcc, 0, v0
	s_orn2_b64 s[22:23], vcc, exec
.LBB6_816:                              ;   in Loop: Header=BB6_748 Depth=3
	s_or_b64 exec, exec, s[24:25]
	s_and_saveexec_b64 s[24:25], s[18:19]
	s_cbranch_execz .LBB6_818
; %bb.817:                              ;   in Loop: Header=BB6_748 Depth=3
	ds_read_b32 v0, v0 offset:784
	s_waitcnt lgkmcnt(0)
	v_and_b32_e32 v0, 15, v0
	v_cmp_eq_u32_e32 vcc, 0, v0
	s_and_b64 s[26:27], s[22:23], vcc
	s_andn2_b64 s[22:23], s[22:23], exec
	s_and_b64 s[26:27], s[26:27], exec
	s_or_b64 s[22:23], s[22:23], s[26:27]
.LBB6_818:                              ;   in Loop: Header=BB6_748 Depth=3
	s_or_b64 exec, exec, s[24:25]
	s_xor_b64 s[22:23], s[22:23], -1
	v_cndmask_b32_e64 v0, 0, 1, s[22:23]
	v_lshlrev_b32_e32 v60, 1, v25
	s_mov_b64 s[24:25], -1
	;;#ASMSTART
	;;#ASMEND
	v_mov_b32_e32 v2, 0
	v_cmp_ne_u32_e32 vcc, 0, v0
	s_cbranch_vccz .LBB6_834
; %bb.819:                              ;   in Loop: Header=BB6_748 Depth=3
	v_accvgpr_read_b32 v17, a36
	v_mov_b32_e32 v8, v58
	s_and_saveexec_b64 s[26:27], s[24:25]
	s_cbranch_execnz .LBB6_851
.LBB6_820:                              ;   in Loop: Header=BB6_748 Depth=3
	s_or_b64 exec, exec, s[26:27]
.LBB6_821:                              ;   in Loop: Header=BB6_748 Depth=3
	s_and_saveexec_b64 s[22:23], s[4:5]
	s_cbranch_execz .LBB6_869
.LBB6_822:                              ;   in Loop: Header=BB6_748 Depth=3
	s_and_saveexec_b64 s[24:25], s[38:39]
	s_xor_b64 s[24:25], exec, s[24:25]
	s_cbranch_execz .LBB6_899
; %bb.823:                              ;   in Loop: Header=BB6_748 Depth=3
	s_and_saveexec_b64 s[26:27], s[12:13]
	s_cbranch_execz .LBB6_898
; %bb.824:                              ;   in Loop: Header=BB6_748 Depth=3
	s_mov_b64 s[60:61], exec
	v_mbcnt_lo_u32_b32 v0, s60, 0
	v_mbcnt_hi_u32_b32 v0, s61, v0
	v_cmp_eq_u32_e32 vcc, 0, v0
	s_waitcnt lgkmcnt(0)
	s_and_saveexec_b64 s[58:59], vcc
	s_cbranch_execz .LBB6_826
; %bb.825:                              ;   in Loop: Header=BB6_748 Depth=3
	s_bcnt1_i32_b64 vcc_lo, s[60:61]
	v_mov_b32_e32 v2, vcc_lo
	ds_add_u64 v0, v[2:3]
	s_trap 2
.LBB6_826:                              ;   in Loop: Header=BB6_748 Depth=3
	s_or_b64 exec, exec, s[58:59]
	s_trap 2
	ds_read_b64 v[0:1], v0
	v_lshl_add_u64 v[12:13], v[12:13], 0, v[34:35]
	s_waitcnt lgkmcnt(0)
	v_cmp_lt_u64_e32 vcc, v[0:1], v[12:13]
	s_and_saveexec_b64 s[58:59], vcc
	s_cbranch_execz .LBB6_897
; %bb.827:                              ;   in Loop: Header=BB6_748 Depth=3
	s_mov_b32 s84, 0
	s_mov_b64 s[60:61], 0
                                        ; implicit-def: $sgpr62_sgpr63
                                        ; implicit-def: $sgpr64_sgpr65
	s_branch .LBB6_829
.LBB6_828:                              ;   in Loop: Header=BB6_829 Depth=4
	s_or_b64 exec, exec, s[68:69]
	s_and_b64 vcc, exec, vcc
	s_or_b64 s[60:61], vcc, s[60:61]
	s_andn2_b64 vcc, s[62:63], exec
	s_and_b64 s[62:63], s[64:65], exec
	s_or_b64 s[62:63], vcc, s[62:63]
	s_andn2_b64 exec, exec, s[60:61]
	s_cbranch_execz .LBB6_895
.LBB6_829:                              ;   Parent Loop BB6_47 Depth=1
                                        ;     Parent Loop BB6_745 Depth=2
                                        ;       Parent Loop BB6_748 Depth=3
                                        ; =>      This Inner Loop Header: Depth=4
	s_add_i32 s84, s84, 1
	s_cmpk_lg_i32 s84, 0x2710
	s_cselect_b64 s[66:67], -1, 0
	s_and_b64 vcc, exec, s[66:67]
                                        ; implicit-def: $sgpr68_sgpr69
	s_cbranch_vccnz .LBB6_831
; %bb.830:                              ;   in Loop: Header=BB6_829 Depth=4
	s_trap 2
	ds_read_b64 v[0:1], v0
	s_andn2_b64 s[66:67], s[66:67], exec
	s_mov_b32 s84, 0
	s_mov_b64 s[68:69], -1
	s_waitcnt vmcnt(0) lgkmcnt(0)
	flat_load_dword v0, v[0:1] sc0 sc1
	s_waitcnt vmcnt(0) lgkmcnt(0)
	buffer_inv sc0 sc1
	v_cmp_eq_u32_e32 vcc, 0, v0
	s_and_b64 vcc, vcc, exec
	s_or_b64 s[66:67], s[66:67], vcc
.LBB6_831:                              ;   in Loop: Header=BB6_829 Depth=4
	s_andn2_b64 s[64:65], s[64:65], exec
	s_and_b64 s[68:69], s[68:69], exec
	s_mov_b64 vcc, -1
	s_or_b64 s[64:65], s[64:65], s[68:69]
	s_and_saveexec_b64 s[68:69], s[66:67]
	s_cbranch_execz .LBB6_828
; %bb.832:                              ;   in Loop: Header=BB6_829 Depth=4
	s_sleep 1
	s_trap 2
	ds_read_b64 v[0:1], v0
	s_andn2_b64 s[64:65], s[64:65], exec
	s_waitcnt lgkmcnt(0)
	v_cmp_ge_u64_e32 vcc, v[0:1], v[12:13]
	s_orn2_b64 vcc, vcc, exec
	s_branch .LBB6_828
.LBB6_833:                              ;   in Loop: Header=BB6_748 Depth=3
	s_cbranch_execnz .LBB6_862
	s_branch .LBB6_821
.LBB6_834:                              ;   in Loop: Header=BB6_748 Depth=3
	v_accvgpr_read_b32 v0, a20
	v_sub_u32_e32 v53, v60, v0
	v_ashrrev_i32_e32 v0, 31, v60
	v_lshrrev_b32_e32 v0, 22, v0
	v_accvgpr_read_b32 v1, a21
	v_add_u32_e32 v0, v60, v0
	v_ashrrev_i32_e32 v1, 10, v0
	v_and_b32_e32 v0, 0xfffffc00, v0
	v_sub_u32_e32 v52, v60, v0
	v_cmp_lt_i32_e64 s[22:23], 15, v52
	s_nop 1
	v_addc_co_u32_e64 v1, vcc, v1, v61, s[22:23]
	v_cmp_lt_i32_e32 vcc, 15, v53
	s_and_saveexec_b64 s[58:59], vcc
	s_cbranch_execz .LBB6_840
; %bb.835:                              ;   in Loop: Header=BB6_748 Depth=3
	s_trap 2
	ds_read_b64 v[10:11], v0
	ds_read_b128 v[6:9], v0
	v_accvgpr_read_b32 v27, a21
	v_accvgpr_read_b32 v26, a20
	s_waitcnt lgkmcnt(0)
	v_lshl_add_u64 v[4:5], v[14:15], 0, v[26:27]
	v_lshl_add_u64 v[48:49], v[10:11], 0, v[26:27]
	;; [unrolled: 1-line block ×4, first 2 shown]
	s_mov_b64 s[60:61], 0
.LBB6_836:                              ;   Parent Loop BB6_47 Depth=1
                                        ;     Parent Loop BB6_745 Depth=2
                                        ;       Parent Loop BB6_748 Depth=3
                                        ; =>      This Loop Header: Depth=4
                                        ;           Child Loop BB6_837 Depth 5
	global_load_dwordx4 v[8:11], v[48:49], off nt
	global_load_dwordx4 v[26:29], v[4:5], off nt
	s_mov_b64 s[64:65], -1
	s_mov_b64 s[62:63], 0
	s_waitcnt vmcnt(0)
	v_mul_f16_e32 v2, v8, v26
	v_mul_f16_sdwa v6, v8, v26 dst_sel:WORD_1 dst_unused:UNUSED_PAD src0_sel:WORD_1 src1_sel:WORD_1
	v_mul_f16_e32 v7, v9, v27
	v_mul_f16_sdwa v17, v9, v27 dst_sel:WORD_1 dst_unused:UNUSED_PAD src0_sel:WORD_1 src1_sel:WORD_1
	;; [unrolled: 2-line block ×4, first 2 shown]
	v_or_b32_e32 v17, v17, v7
	v_or_b32_e32 v2, v6, v2
	;; [unrolled: 1-line block ×4, first 2 shown]
.LBB6_837:                              ;   Parent Loop BB6_47 Depth=1
                                        ;     Parent Loop BB6_745 Depth=2
                                        ;       Parent Loop BB6_748 Depth=3
                                        ;         Parent Loop BB6_836 Depth=4
                                        ; =>        This Inner Loop Header: Depth=5
	v_cndmask_b32_e64 v6, 0, 1, s[64:65]
	v_cndmask_b32_e64 v27, v9, v17, s[64:65]
	v_readfirstlane_b32 s24, v6
	s_cmp_lg_u32 s24, 1
	s_cselect_b64 vcc, -1, 0
	s_cmp_eq_u32 s62, 1
	s_cselect_b64 s[24:25], -1, 0
	v_cndmask_b32_e64 v26, v8, v2, s[64:65]
	v_cndmask_b32_e64 v29, v11, v19, s[64:65]
	;; [unrolled: 1-line block ×3, first 2 shown]
	v_cndmask_b32_e32 v7, v47, v39, vcc
	v_cndmask_b32_e32 v6, v46, v38, vcc
	v_cndmask_b32_e64 v37, v47, v39, s[24:25]
	s_cmp_eq_u32 s62, 0
	v_cndmask_b32_e64 v36, v46, v38, s[24:25]
	global_store_dwordx4 v[6:7], v[26:29], off nt
	v_lshl_add_u64 v[6:7], v[36:37], 0, s[40:41]
	s_cselect_b64 s[26:27], -1, 0
	s_mov_b64 s[64:65], 0
	s_mov_b64 s[62:63], 1
	s_and_b64 vcc, exec, vcc
	v_cndmask_b32_e64 v39, v39, v7, s[24:25]
	v_cndmask_b32_e64 v38, v38, v6, s[24:25]
	;; [unrolled: 1-line block ×4, first 2 shown]
	s_cbranch_vccz .LBB6_837
; %bb.838:                              ;   in Loop: Header=BB6_836 Depth=4
	v_sub_u32_e32 v53, v53, v62
	v_cmp_gt_i32_e32 vcc, 16, v53
	v_lshl_add_u64 v[46:47], v[46:47], 0, v[50:51]
	v_lshl_add_u64 v[38:39], v[38:39], 0, v[50:51]
	;; [unrolled: 1-line block ×4, first 2 shown]
	s_or_b64 s[60:61], vcc, s[60:61]
	v_sub_u32_e32 v1, v1, v34
	s_andn2_b64 exec, exec, s[60:61]
	s_cbranch_execnz .LBB6_836
; %bb.839:                              ;   in Loop: Header=BB6_748 Depth=3
	s_or_b64 exec, exec, s[60:61]
	v_accvgpr_read_b32 v49, a13
	v_accvgpr_read_b32 v47, a17
	;; [unrolled: 1-line block ×6, first 2 shown]
	v_mov_b32_e32 v38, 1
.LBB6_840:                              ;   in Loop: Header=BB6_748 Depth=3
	s_or_b64 exec, exec, s[58:59]
	v_and_b32_e32 v4, 14, v60
	v_cndmask_b32_e64 v56, v52, v4, s[22:23]
	v_cmp_ne_u32_e32 vcc, 0, v56
	s_mov_b64 s[24:25], 0
	v_mov_b32_e32 v2, 0
                                        ; implicit-def: $vgpr60
                                        ; implicit-def: $vgpr17
                                        ; implicit-def: $vgpr8
	s_and_saveexec_b64 s[58:59], vcc
	s_cbranch_execz .LBB6_850
; %bb.841:                              ;   in Loop: Header=BB6_748 Depth=3
	v_sub_u32_e32 v2, v52, v4
	v_cndmask_b32_e64 v2, 0, v2, s[22:23]
	v_cmp_lt_i32_e32 vcc, 0, v1
	v_add_u32_e32 v61, v2, v0
	s_nop 0
	v_cndmask_b32_e32 v0, 0, v34, vcc
	v_sub_u32_e32 v0, v0, v1
	v_accvgpr_read_b32 v1, a32
	v_lshl_add_u32 v0, v0, 6, v1
	v_ashrrev_i32_e32 v1, 31, v0
	v_lshrrev_b32_e32 v1, 26, v1
	v_add_u32_e32 v1, v0, v1
	v_ashrrev_i32_e32 v4, 6, v1
	v_and_b32_e32 v1, 0xffffffc0, v1
	v_sub_u32_e32 v57, v0, v1
	v_lshlrev_b32_e32 v0, 4, v57
	v_lshl_add_u32 v2, v4, 10, v0
	v_ashrrev_i32_e32 v0, 31, v56
	v_lshrrev_b32_e32 v0, 22, v0
	v_add_u32_e32 v0, v56, v0
	v_and_b32_e32 v1, 0xfffffc00, v0
	v_sub_u32_e32 v52, v56, v1
	v_ashrrev_i32_e32 v5, 10, v0
	v_cmp_lt_i32_e64 s[22:23], 15, v52
	v_sub_u32_e32 v53, v56, v2
	s_nop 0
	v_addc_co_u32_e64 v0, vcc, 0, v5, s[22:23]
	v_sub_u32_e32 v0, v0, v4
	v_cmp_lt_i32_e32 vcc, 15, v53
	s_and_saveexec_b64 s[60:61], vcc
	s_cbranch_execz .LBB6_847
; %bb.842:                              ;   in Loop: Header=BB6_748 Depth=3
	s_trap 2
	ds_read_b64 v[4:5], v0
	ds_read_b128 v[6:9], v0
	v_add_u32_e32 v10, v2, v61
	v_ashrrev_i32_e32 v11, 31, v10
	s_waitcnt lgkmcnt(0)
	v_lshl_add_u64 v[48:49], v[10:11], 0, v[14:15]
	v_lshl_add_u64 v[4:5], v[4:5], 0, v[10:11]
	;; [unrolled: 1-line block ×4, first 2 shown]
	s_mov_b64 s[62:63], 0
.LBB6_843:                              ;   Parent Loop BB6_47 Depth=1
                                        ;     Parent Loop BB6_745 Depth=2
                                        ;       Parent Loop BB6_748 Depth=3
                                        ; =>      This Loop Header: Depth=4
                                        ;           Child Loop BB6_844 Depth 5
	global_load_dwordx4 v[8:11], v[4:5], off nt
	global_load_dwordx4 v[26:29], v[48:49], off nt
	s_mov_b64 s[66:67], -1
	s_mov_b64 s[64:65], 0
	s_waitcnt vmcnt(0)
	v_mul_f16_e32 v2, v8, v26
	v_mul_f16_sdwa v6, v8, v26 dst_sel:WORD_1 dst_unused:UNUSED_PAD src0_sel:WORD_1 src1_sel:WORD_1
	v_mul_f16_e32 v7, v9, v27
	v_mul_f16_sdwa v17, v9, v27 dst_sel:WORD_1 dst_unused:UNUSED_PAD src0_sel:WORD_1 src1_sel:WORD_1
	;; [unrolled: 2-line block ×4, first 2 shown]
	v_or_b32_e32 v17, v17, v7
	v_or_b32_e32 v2, v6, v2
	;; [unrolled: 1-line block ×4, first 2 shown]
.LBB6_844:                              ;   Parent Loop BB6_47 Depth=1
                                        ;     Parent Loop BB6_745 Depth=2
                                        ;       Parent Loop BB6_748 Depth=3
                                        ;         Parent Loop BB6_843 Depth=4
                                        ; =>        This Inner Loop Header: Depth=5
	v_cndmask_b32_e64 v6, 0, 1, s[66:67]
	v_cndmask_b32_e64 v27, v9, v17, s[66:67]
	v_readfirstlane_b32 s24, v6
	s_cmp_lg_u32 s24, 1
	s_cselect_b64 vcc, -1, 0
	s_cmp_eq_u32 s64, 1
	s_cselect_b64 s[24:25], -1, 0
	v_cndmask_b32_e64 v26, v8, v2, s[66:67]
	v_cndmask_b32_e64 v29, v11, v19, s[66:67]
	;; [unrolled: 1-line block ×3, first 2 shown]
	v_cndmask_b32_e32 v7, v47, v39, vcc
	v_cndmask_b32_e32 v6, v46, v38, vcc
	v_cndmask_b32_e64 v37, v47, v39, s[24:25]
	s_cmp_eq_u32 s64, 0
	v_cndmask_b32_e64 v36, v46, v38, s[24:25]
	global_store_dwordx4 v[6:7], v[26:29], off nt
	v_lshl_add_u64 v[6:7], v[36:37], 0, s[40:41]
	s_cselect_b64 s[26:27], -1, 0
	s_mov_b64 s[66:67], 0
	s_mov_b64 s[64:65], 1
	s_and_b64 vcc, exec, vcc
	v_cndmask_b32_e64 v39, v39, v7, s[24:25]
	v_cndmask_b32_e64 v38, v38, v6, s[24:25]
	;; [unrolled: 1-line block ×4, first 2 shown]
	s_cbranch_vccz .LBB6_844
; %bb.845:                              ;   in Loop: Header=BB6_843 Depth=4
	v_sub_u32_e32 v53, v53, v62
	v_cmp_gt_i32_e32 vcc, 16, v53
	v_lshl_add_u64 v[46:47], v[46:47], 0, v[50:51]
	v_lshl_add_u64 v[38:39], v[38:39], 0, v[50:51]
	;; [unrolled: 1-line block ×4, first 2 shown]
	s_or_b64 s[62:63], vcc, s[62:63]
	v_sub_u32_e32 v0, v0, v34
	s_andn2_b64 exec, exec, s[62:63]
	s_cbranch_execnz .LBB6_843
; %bb.846:                              ;   in Loop: Header=BB6_748 Depth=3
	s_or_b64 exec, exec, s[62:63]
	v_accvgpr_read_b32 v49, a13
	v_accvgpr_read_b32 v47, a17
	;; [unrolled: 1-line block ×6, first 2 shown]
	v_mov_b32_e32 v38, 1
.LBB6_847:                              ;   in Loop: Header=BB6_748 Depth=3
	s_or_b64 exec, exec, s[60:61]
	v_and_b32_e32 v4, 14, v56
	v_cndmask_b32_e64 v60, v52, v4, s[22:23]
	v_cmp_ne_u32_e32 vcc, 0, v60
	s_mov_b64 s[24:25], 0
	v_mov_b32_e32 v2, 0
                                        ; implicit-def: $vgpr17
                                        ; implicit-def: $vgpr8
	s_and_saveexec_b64 s[26:27], vcc
	s_cbranch_execz .LBB6_849
; %bb.848:                              ;   in Loop: Header=BB6_748 Depth=3
	v_sub_u32_e32 v2, v52, v4
	v_cndmask_b32_e64 v2, 0, v2, s[22:23]
	v_cmp_lt_i32_e32 vcc, 0, v0
	v_add3_u32 v2, v1, v61, v2
	s_mov_b64 s[24:25], exec
	v_cndmask_b32_e32 v1, 0, v34, vcc
	v_sub_u32_e32 v0, v1, v0
	v_lshl_add_u32 v17, v0, 6, v57
	v_ashrrev_i32_e32 v0, 31, v17
	v_lshrrev_b32_e32 v0, 26, v0
	v_add_u32_e32 v0, v17, v0
	v_ashrrev_i32_e32 v8, 6, v0
.LBB6_849:                              ;   in Loop: Header=BB6_748 Depth=3
	s_or_b64 exec, exec, s[26:27]
	s_and_b64 s[24:25], s[24:25], exec
	v_accvgpr_mov_b32 a36, a3
	v_accvgpr_read_b32 v57, a26
	v_accvgpr_read_b32 v61, a33
.LBB6_850:                              ;   in Loop: Header=BB6_748 Depth=3
	s_or_b64 exec, exec, s[58:59]
	v_accvgpr_read_b32 v53, a29
	v_accvgpr_read_b32 v56, a14
	;; [unrolled: 1-line block ×3, first 2 shown]
	s_and_saveexec_b64 s[26:27], s[24:25]
	s_cbranch_execz .LBB6_820
.LBB6_851:                              ;   in Loop: Header=BB6_748 Depth=3
	v_ashrrev_i32_e32 v0, 31, v60
	v_lshrrev_b32_e32 v0, 23, v0
	v_add_u32_e32 v0, v60, v0
	v_ashrrev_i32_e32 v19, 9, v0
	v_sub_u32_e32 v0, v19, v8
	v_ashrrev_i32_e32 v1, 31, v17
	v_cmp_lt_i32_e32 vcc, 0, v0
	v_lshrrev_b32_e32 v1, 26, v1
	s_and_saveexec_b64 s[22:23], vcc
	s_cbranch_execz .LBB6_855
; %bb.852:                              ;   in Loop: Header=BB6_748 Depth=3
	v_add_u32_e32 v4, v17, v1
	v_and_b32_e32 v4, 0x7fffffc0, v4
	s_trap 2
	v_sub_u32_e32 v6, v17, v4
	ds_read_b64 v[4:5], v0
	ds_read_b128 v[26:29], v0
	v_lshlrev_b32_e32 v6, 1, v6
	v_lshlrev_b32_e32 v7, 9, v8
	v_add3_u32 v8, v6, v2, v7
	v_ashrrev_i32_e32 v9, 31, v8
	s_waitcnt lgkmcnt(0)
	v_lshl_add_u64 v[10:11], v[26:27], 0, v[8:9]
	v_lshl_add_u64 v[38:39], v[28:29], 0, v[8:9]
	s_mov_b64 s[24:25], 0
	v_mov_b64_e32 v[48:49], v[14:15]
.LBB6_853:                              ;   Parent Loop BB6_47 Depth=1
                                        ;     Parent Loop BB6_745 Depth=2
                                        ;       Parent Loop BB6_748 Depth=3
                                        ; =>      This Inner Loop Header: Depth=4
	v_lshl_add_u64 v[6:7], v[8:9], 0, v[48:49]
	v_lshl_add_u64 v[26:27], v[8:9], 0, v[4:5]
	flat_load_ushort v28, v[6:7] offset:256 nt
	flat_load_ushort v29, v[6:7] offset:384 nt
	;; [unrolled: 1-line block ×3, first 2 shown]
	s_nop 0
	flat_load_ushort v6, v[6:7] nt
	s_nop 0
	flat_load_ushort v7, v[26:27] nt
	flat_load_ushort v37, v[26:27] offset:128 nt
	flat_load_ushort v52, v[26:27] offset:256 nt
	s_nop 0
	flat_load_ushort v26, v[26:27] offset:384 nt
	v_sub_u32_e32 v0, v0, v34
	v_cmp_gt_i32_e32 vcc, 1, v0
	v_lshl_add_u64 v[48:49], v[48:49], 0, v[40:41]
	v_lshl_add_u64 v[4:5], v[4:5], 0, v[40:41]
	s_or_b64 s[24:25], vcc, s[24:25]
	s_waitcnt vmcnt(0) lgkmcnt(0)
	v_mul_f16_e32 v6, v6, v7
	v_mul_f16_e32 v27, v36, v37
	;; [unrolled: 1-line block ×4, first 2 shown]
	flat_store_short v[10:11], v6 nt
	flat_store_short v[10:11], v27 offset:128 nt
	flat_store_short v[10:11], v28 offset:256 nt
	;; [unrolled: 1-line block ×3, first 2 shown]
	flat_store_short v[38:39], v7 nt
	flat_store_short v[38:39], v37 offset:128 nt
	flat_store_short v[38:39], v52 offset:256 nt
	;; [unrolled: 1-line block ×3, first 2 shown]
	v_lshl_add_u64 v[10:11], v[10:11], 0, v[40:41]
	v_lshl_add_u64 v[38:39], v[38:39], 0, v[40:41]
	s_andn2_b64 exec, exec, s[24:25]
	s_cbranch_execnz .LBB6_853
; %bb.854:                              ;   in Loop: Header=BB6_748 Depth=3
	s_or_b64 exec, exec, s[24:25]
	v_accvgpr_read_b32 v49, a13
	v_accvgpr_read_b32 v53, a29
	v_accvgpr_read_b32 v48, a12
	v_accvgpr_read_b32 v39, a15
	v_accvgpr_read_b32 v52, a28
	v_mov_b32_e32 v38, 1
.LBB6_855:                              ;   in Loop: Header=BB6_748 Depth=3
	s_or_b64 exec, exec, s[22:23]
	v_lshlrev_b32_e32 v4, 9, v19
	v_cmp_ne_u32_e32 vcc, v60, v4
	s_and_saveexec_b64 s[58:59], vcc
	s_cbranch_execz .LBB6_861
; %bb.856:                              ;   in Loop: Header=BB6_748 Depth=3
	v_add_u32_e32 v1, v17, v1
	v_and_b32_e32 v1, 0xffffffc0, v1
	v_sub_u32_e32 v1, v17, v1
	v_lshlrev_b32_e32 v0, 6, v0
	v_sub_u32_e32 v0, v1, v0
	v_ashrrev_i32_e32 v1, 31, v0
	v_lshrrev_b32_e32 v1, 26, v1
	v_add_u32_e32 v1, v0, v1
	v_and_b32_e32 v5, 0x7fffffc0, v1
	v_sub_u32_e32 v0, v0, v5
	v_lshlrev_b32_e32 v1, 1, v1
	v_and_b32_e32 v1, 0xffffff80, v1
	v_lshlrev_b32_e32 v0, 1, v0
	v_add3_u32 v1, v1, v0, v4
	v_sub_u32_e32 v0, v60, v1
	v_cmp_lt_i32_e32 vcc, 1, v0
	s_and_b64 exec, exec, vcc
	s_cbranch_execz .LBB6_861
; %bb.857:                              ;   in Loop: Header=BB6_748 Depth=3
	s_trap 2
	ds_read_b64 v[4:5], v0
	ds_read_b128 v[26:29], v0
	v_add_u32_e32 v6, v1, v2
	v_ashrrev_i32_e32 v7, 31, v6
	s_waitcnt lgkmcnt(0)
	v_lshl_add_u64 v[8:9], v[6:7], 0, v[14:15]
	v_lshl_add_u64 v[4:5], v[4:5], 0, v[6:7]
	;; [unrolled: 1-line block ×4, first 2 shown]
	s_mov_b64 s[60:61], 0
.LBB6_858:                              ;   Parent Loop BB6_47 Depth=1
                                        ;     Parent Loop BB6_745 Depth=2
                                        ;       Parent Loop BB6_748 Depth=3
                                        ; =>      This Loop Header: Depth=4
                                        ;           Child Loop BB6_859 Depth 5
	flat_load_ushort v1, v[4:5] nt
	flat_load_ushort v2, v[8:9] nt
	s_mov_b64 s[64:65], -1
	s_mov_b64 s[62:63], 0
	s_waitcnt vmcnt(0) lgkmcnt(0)
	v_mul_f16_e32 v2, v1, v2
.LBB6_859:                              ;   Parent Loop BB6_47 Depth=1
                                        ;     Parent Loop BB6_745 Depth=2
                                        ;       Parent Loop BB6_748 Depth=3
                                        ;         Parent Loop BB6_858 Depth=4
                                        ; =>        This Inner Loop Header: Depth=5
	v_cndmask_b32_e64 v6, 0, 1, s[64:65]
	v_cndmask_b32_e64 v17, v1, v2, s[64:65]
	v_readfirstlane_b32 s22, v6
	s_cmp_lg_u32 s22, 1
	s_cselect_b64 vcc, -1, 0
	s_cmp_eq_u32 s62, 1
	s_cselect_b64 s[22:23], -1, 0
	v_cndmask_b32_e32 v7, v11, v15, vcc
	v_cndmask_b32_e32 v6, v10, v14, vcc
	v_cndmask_b32_e64 v27, v11, v15, s[22:23]
	s_cmp_eq_u32 s62, 0
	v_cndmask_b32_e64 v26, v10, v14, s[22:23]
	flat_store_short v[6:7], v17 nt
	v_lshl_add_u64 v[6:7], v[26:27], 0, s[42:43]
	s_cselect_b64 s[24:25], -1, 0
	s_mov_b64 s[64:65], 0
	s_mov_b64 s[62:63], 1
	s_and_b64 vcc, exec, vcc
	v_cndmask_b32_e64 v15, v15, v7, s[22:23]
	v_cndmask_b32_e64 v14, v14, v6, s[22:23]
	v_cndmask_b32_e64 v11, v11, v7, s[24:25]
	v_cndmask_b32_e64 v10, v10, v6, s[24:25]
	s_cbranch_vccz .LBB6_859
; %bb.860:                              ;   in Loop: Header=BB6_858 Depth=4
	v_sub_u32_e32 v0, v0, v57
	v_cmp_gt_i32_e32 vcc, 2, v0
	v_lshl_add_u64 v[10:11], v[10:11], 0, v[52:53]
	v_lshl_add_u64 v[14:15], v[14:15], 0, v[52:53]
	;; [unrolled: 1-line block ×3, first 2 shown]
	s_or_b64 s[60:61], vcc, s[60:61]
	v_lshl_add_u64 v[8:9], v[8:9], 0, v[44:45]
	s_andn2_b64 exec, exec, s[60:61]
	s_cbranch_execnz .LBB6_858
.LBB6_861:                              ;   in Loop: Header=BB6_748 Depth=3
	s_or_b64 exec, exec, s[58:59]
	s_or_b64 exec, exec, s[26:27]
	s_branch .LBB6_821
.LBB6_862:                              ;   in Loop: Header=BB6_748 Depth=3
	s_mov_b64 s[22:23], -1
	s_and_saveexec_b64 s[24:25], s[16:17]
	s_cbranch_execz .LBB6_864
; %bb.863:                              ;   in Loop: Header=BB6_748 Depth=3
	ds_read_b32 v0, v0 offset:720
	s_waitcnt lgkmcnt(0)
	v_and_b32_e32 v0, 15, v0
	v_cmp_eq_u32_e32 vcc, 0, v0
	s_orn2_b64 s[22:23], vcc, exec
.LBB6_864:                              ;   in Loop: Header=BB6_748 Depth=3
	s_or_b64 exec, exec, s[24:25]
	s_and_saveexec_b64 s[24:25], s[14:15]
	s_cbranch_execz .LBB6_866
; %bb.865:                              ;   in Loop: Header=BB6_748 Depth=3
	ds_read_b32 v0, v0 offset:784
	s_waitcnt lgkmcnt(0)
	v_and_b32_e32 v0, 15, v0
	v_cmp_eq_u32_e32 vcc, 0, v0
	s_and_b64 s[26:27], s[22:23], vcc
	s_andn2_b64 s[22:23], s[22:23], exec
	s_and_b64 s[26:27], s[26:27], exec
	s_or_b64 s[22:23], s[22:23], s[26:27]
.LBB6_866:                              ;   in Loop: Header=BB6_748 Depth=3
	s_or_b64 exec, exec, s[24:25]
	s_xor_b64 s[22:23], s[22:23], -1
	v_cndmask_b32_e64 v0, 0, 1, s[22:23]
	v_lshlrev_b32_e32 v2, 1, v25
	s_mov_b64 s[26:27], -1
	;;#ASMSTART
	;;#ASMEND
	s_waitcnt lgkmcnt(0)
	v_mov_b32_e32 v14, 0
	v_cmp_ne_u32_e32 vcc, 0, v0
	s_cbranch_vccz .LBB6_873
; %bb.867:                              ;   in Loop: Header=BB6_748 Depth=3
	v_accvgpr_read_b32 v15, a36
	v_mov_b32_e32 v8, v58
	s_and_saveexec_b64 s[22:23], s[26:27]
	s_cbranch_execnz .LBB6_886
.LBB6_868:                              ;   in Loop: Header=BB6_748 Depth=3
	s_or_b64 exec, exec, s[22:23]
	s_and_saveexec_b64 s[22:23], s[4:5]
	s_cbranch_execnz .LBB6_822
.LBB6_869:                              ;   in Loop: Header=BB6_748 Depth=3
	s_or_b64 exec, exec, s[22:23]
                                        ; implicit-def: $vgpr0
	s_and_saveexec_b64 s[22:23], s[20:21]
	s_xor_b64 s[24:25], exec, s[22:23]
	s_cbranch_execz .LBB6_902
.LBB6_870:                              ;   in Loop: Header=BB6_748 Depth=3
	v_and_b32_e32 v1, 16, v59
	v_cmp_lt_i32_e32 vcc, 0, v25
	v_cmp_ne_u32_e64 s[22:23], 0, v1
	v_and_b32_e32 v0, 16, v59
	s_and_b64 s[26:27], s[22:23], vcc
	s_and_saveexec_b64 s[22:23], s[26:27]
	s_cbranch_execz .LBB6_872
; %bb.871:                              ;   in Loop: Header=BB6_748 Depth=3
	v_mov_b32_e32 v0, 1
	buffer_wbl2 sc1
	s_waitcnt vmcnt(0) lgkmcnt(0)
	buffer_inv sc1
.LBB6_872:                              ;   in Loop: Header=BB6_748 Depth=3
	s_or_b64 exec, exec, s[22:23]
	s_andn2_saveexec_b64 s[22:23], s[24:25]
	s_cbranch_execz .LBB6_921
	s_branch .LBB6_903
.LBB6_873:                              ;   in Loop: Header=BB6_748 Depth=3
	v_ashrrev_i32_e32 v0, 31, v2
	v_lshrrev_b32_e32 v0, 21, v0
	v_add_u32_e32 v0, v2, v0
	v_ashrrev_i32_e32 v0, 11, v0
	v_sub_u32_e32 v1, v0, v58
	v_cmp_lt_i32_e32 vcc, 0, v1
	s_and_saveexec_b64 s[22:23], vcc
	s_cbranch_execz .LBB6_877
; %bb.874:                              ;   in Loop: Header=BB6_748 Depth=3
	s_trap 2
	ds_read_b64 v[4:5], v0
	v_accvgpr_read_b32 v8, a34
	v_accvgpr_read_b32 v61, a31
	s_mov_b64 s[24:25], 0
	v_accvgpr_read_b32 v9, a35
	v_accvgpr_read_b32 v60, a30
.LBB6_875:                              ;   Parent Loop BB6_47 Depth=1
                                        ;     Parent Loop BB6_745 Depth=2
                                        ;       Parent Loop BB6_748 Depth=3
                                        ; =>      This Inner Loop Header: Depth=4
	s_waitcnt lgkmcnt(0)
	v_lshl_add_u64 v[10:11], v[4:5], 0, v[8:9]
	global_load_dwordx4 v[26:29], v[8:9], off nt
	global_load_dwordx4 v[52:55], v[8:9], off offset:1024 nt
	global_load_dwordx4 v[46:49], v[10:11], off nt
	global_load_dwordx4 v[36:39], v[10:11], off offset:1024 nt
	v_sub_u32_e32 v1, v1, v34
	v_cmp_gt_i32_e32 vcc, 1, v1
	v_lshl_add_u64 v[8:9], v[8:9], 0, v[60:61]
	s_or_b64 s[24:25], vcc, s[24:25]
	s_waitcnt vmcnt(0)
	v_mul_f16_e32 v6, v46, v26
	v_mul_f16_sdwa v7, v46, v26 dst_sel:WORD_1 dst_unused:UNUSED_PAD src0_sel:WORD_1 src1_sel:WORD_1
	v_mul_f16_e32 v14, v47, v27
	v_mul_f16_sdwa v15, v47, v27 dst_sel:WORD_1 dst_unused:UNUSED_PAD src0_sel:WORD_1 src1_sel:WORD_1
	;; [unrolled: 2-line block ×8, first 2 shown]
	v_or_b32_e32 v27, v15, v14
	v_or_b32_e32 v26, v7, v6
	;; [unrolled: 1-line block ×8, first 2 shown]
	global_store_dwordx4 v[10:11], v[26:29], off nt
	global_store_dwordx4 v[10:11], v[36:39], off offset:1024 nt
	s_andn2_b64 exec, exec, s[24:25]
	s_cbranch_execnz .LBB6_875
; %bb.876:                              ;   in Loop: Header=BB6_748 Depth=3
	s_or_b64 exec, exec, s[24:25]
	v_accvgpr_read_b32 v49, a13
	v_accvgpr_read_b32 v47, a17
	;; [unrolled: 1-line block ×10, first 2 shown]
	v_mov_b32_e32 v38, 1
.LBB6_877:                              ;   in Loop: Header=BB6_748 Depth=3
	s_or_b64 exec, exec, s[22:23]
	v_lshlrev_b32_e32 v0, 11, v0
	v_cmp_ne_u32_e32 vcc, v2, v0
	s_mov_b64 s[26:27], 0
	v_mov_b32_e32 v14, 0
                                        ; implicit-def: $vgpr15
                                        ; implicit-def: $vgpr8
	s_and_saveexec_b64 s[24:25], vcc
	s_cbranch_execz .LBB6_885
; %bb.878:                              ;   in Loop: Header=BB6_748 Depth=3
	v_lshlrev_b32_e32 v1, 6, v1
	v_accvgpr_read_b32 v5, a32
	v_sub_u32_e32 v1, v5, v1
	v_ashrrev_i32_e32 v5, 31, v1
	v_lshrrev_b32_e32 v5, 26, v5
	v_add_u32_e32 v5, v1, v5
	v_ashrrev_i32_e32 v6, 6, v5
	v_and_b32_e32 v5, 0xffffffc0, v5
	v_sub_u32_e32 v1, v1, v5
	v_sub_u32_e32 v4, v2, v0
	v_lshlrev_b32_e32 v5, 4, v1
	v_lshl_add_u32 v8, v6, 10, v5
	v_ashrrev_i32_e32 v5, 31, v4
	v_lshrrev_b32_e32 v5, 22, v5
	v_add_u32_e32 v5, v4, v5
	v_and_b32_e32 v10, 0xfffffc00, v5
	v_sub_u32_e32 v17, v4, v10
	v_ashrrev_i32_e32 v7, 10, v5
	v_cmp_lt_i32_e32 vcc, 15, v17
	v_sub_u32_e32 v14, v4, v8
	s_nop 0
	v_addc_co_u32_e64 v4, s[22:23], 0, v7, vcc
	v_sub_u32_e32 v11, v4, v6
	v_cmp_lt_i32_e64 s[22:23], 15, v14
	s_and_saveexec_b64 s[26:27], s[22:23]
	s_cbranch_execz .LBB6_882
; %bb.879:                              ;   in Loop: Header=BB6_748 Depth=3
	s_trap 2
	ds_read_b64 v[4:5], v0
	v_add_u32_e32 v8, v8, v0
	v_ashrrev_i32_e32 v9, 31, v8
	s_mov_b64 s[58:59], 0
.LBB6_880:                              ;   Parent Loop BB6_47 Depth=1
                                        ;     Parent Loop BB6_745 Depth=2
                                        ;       Parent Loop BB6_748 Depth=3
                                        ; =>      This Inner Loop Header: Depth=4
	s_waitcnt lgkmcnt(0)
	v_lshl_add_u64 v[6:7], v[4:5], 0, v[8:9]
	global_load_dwordx4 v[26:29], v[8:9], off nt
	global_load_dwordx4 v[36:39], v[6:7], off nt
	v_sub_u32_e32 v14, v14, v62
	v_cmp_gt_i32_e64 s[22:23], 16, v14
	v_lshl_add_u64 v[8:9], v[8:9], 0, v[42:43]
	v_sub_u32_e32 v11, v11, v34
	s_or_b64 s[58:59], s[22:23], s[58:59]
	s_waitcnt vmcnt(0)
	v_mul_f16_e32 v15, v36, v26
	v_mul_f16_sdwa v19, v36, v26 dst_sel:WORD_1 dst_unused:UNUSED_PAD src0_sel:WORD_1 src1_sel:WORD_1
	v_mul_f16_e32 v26, v37, v27
	v_mul_f16_sdwa v27, v37, v27 dst_sel:WORD_1 dst_unused:UNUSED_PAD src0_sel:WORD_1 src1_sel:WORD_1
	;; [unrolled: 2-line block ×4, first 2 shown]
	v_or_b32_e32 v27, v27, v26
	v_or_b32_e32 v26, v19, v15
	;; [unrolled: 1-line block ×4, first 2 shown]
	global_store_dwordx4 v[6:7], v[26:29], off nt
	s_andn2_b64 exec, exec, s[58:59]
	s_cbranch_execnz .LBB6_880
; %bb.881:                              ;   in Loop: Header=BB6_748 Depth=3
	s_or_b64 exec, exec, s[58:59]
	v_accvgpr_read_b32 v39, a15
	v_mov_b32_e32 v38, 1
.LBB6_882:                              ;   in Loop: Header=BB6_748 Depth=3
	s_or_b64 exec, exec, s[26:27]
	v_and_b32_e32 v4, 14, v2
	v_cndmask_b32_e32 v2, v17, v4, vcc
	v_cmp_ne_u32_e64 s[22:23], 0, v2
	s_mov_b64 s[26:27], 0
	v_mov_b32_e32 v14, 0
                                        ; implicit-def: $vgpr15
                                        ; implicit-def: $vgpr8
	s_and_saveexec_b64 s[58:59], s[22:23]
	s_cbranch_execz .LBB6_884
; %bb.883:                              ;   in Loop: Header=BB6_748 Depth=3
	v_sub_u32_e32 v4, v17, v4
	v_cndmask_b32_e32 v4, 0, v4, vcc
	v_cmp_lt_i32_e32 vcc, 0, v11
	v_add3_u32 v14, v10, v0, v4
	s_mov_b64 s[26:27], exec
	v_cndmask_b32_e32 v0, 0, v34, vcc
	v_sub_u32_e32 v0, v0, v11
	v_lshl_add_u32 v15, v0, 6, v1
	v_ashrrev_i32_e32 v0, 31, v15
	v_lshrrev_b32_e32 v0, 26, v0
	v_add_u32_e32 v0, v15, v0
	v_ashrrev_i32_e32 v8, 6, v0
.LBB6_884:                              ;   in Loop: Header=BB6_748 Depth=3
	s_or_b64 exec, exec, s[58:59]
	s_and_b64 s[26:27], s[26:27], exec
.LBB6_885:                              ;   in Loop: Header=BB6_748 Depth=3
	s_or_b64 exec, exec, s[24:25]
	s_and_saveexec_b64 s[22:23], s[26:27]
	s_cbranch_execz .LBB6_868
.LBB6_886:                              ;   in Loop: Header=BB6_748 Depth=3
	v_ashrrev_i32_e32 v0, 31, v2
	v_lshrrev_b32_e32 v0, 23, v0
	v_add_u32_e32 v0, v2, v0
	v_ashrrev_i32_e32 v17, 9, v0
	v_sub_u32_e32 v0, v17, v8
	v_ashrrev_i32_e32 v1, 31, v15
	v_cmp_lt_i32_e32 vcc, 0, v0
	v_lshrrev_b32_e32 v1, 26, v1
	s_and_saveexec_b64 s[24:25], vcc
	s_cbranch_execz .LBB6_890
; %bb.887:                              ;   in Loop: Header=BB6_748 Depth=3
	v_add_u32_e32 v6, v15, v1
	v_and_b32_e32 v6, 0x7fffffc0, v6
	s_trap 2
	ds_read_b64 v[4:5], v0
	v_sub_u32_e32 v6, v15, v6
	v_lshlrev_b32_e32 v6, 1, v6
	v_lshlrev_b32_e32 v7, 9, v8
	v_add3_u32 v6, v6, v14, v7
	v_ashrrev_i32_e32 v7, 31, v6
	v_lshl_add_u64 v[8:9], v[6:7], 0, s[52:53]
	s_mov_b64 s[26:27], 0
.LBB6_888:                              ;   Parent Loop BB6_47 Depth=1
                                        ;     Parent Loop BB6_745 Depth=2
                                        ;       Parent Loop BB6_748 Depth=3
                                        ; =>      This Inner Loop Header: Depth=4
	s_waitcnt lgkmcnt(0)
	v_lshl_add_u64 v[10:11], v[4:5], 0, v[8:9]
	v_add_co_u32_e32 v6, vcc, 0xfffffe80, v10
	flat_load_ushort v19, v[8:9] nt
	s_nop 0
	v_addc_co_u32_e32 v7, vcc, -1, v11, vcc
	v_add_co_u32_e32 v26, vcc, 0xfffffe80, v8
	flat_load_ushort v37, v[6:7] nt
	s_nop 0
	v_addc_co_u32_e32 v27, vcc, -1, v9, vcc
	;; [unrolled: 4-line block ×5, first 2 shown]
	flat_load_ushort v48, v[26:27] nt
	v_add_co_u32_e32 v26, vcc, s74, v8
	flat_load_ushort v49, v[6:7] nt
	s_nop 0
	v_addc_co_u32_e32 v27, vcc, -1, v9, vcc
	flat_load_ushort v52, v[26:27] nt
	v_sub_u32_e32 v0, v0, v34
	v_cmp_gt_i32_e32 vcc, 1, v0
	s_or_b64 s[26:27], vcc, s[26:27]
	v_add_co_u32_e32 v6, vcc, 0xfffffe80, v10
	v_lshl_add_u64 v[8:9], v[8:9], 0, v[40:41]
	s_nop 0
	v_addc_co_u32_e32 v7, vcc, -1, v11, vcc
	v_add_co_u32_e32 v26, vcc, 0xffffff00, v10
	s_waitcnt vmcnt(0) lgkmcnt(0)
	v_mul_f16_e32 v19, v36, v19
	v_addc_co_u32_e32 v27, vcc, -1, v11, vcc
	v_mul_f16_e32 v36, v37, v38
	v_add_co_u32_e32 v28, vcc, 0xffffff80, v10
	flat_store_short v[6:7], v36 nt
	v_mul_f16_e32 v6, v39, v48
	v_addc_co_u32_e32 v29, vcc, -1, v11, vcc
	flat_store_short v[26:27], v6 nt
	v_mul_f16_e32 v6, v49, v52
	flat_store_short v[28:29], v6 nt
	flat_store_short v[10:11], v19 nt
	s_andn2_b64 exec, exec, s[26:27]
	s_cbranch_execnz .LBB6_888
; %bb.889:                              ;   in Loop: Header=BB6_748 Depth=3
	s_or_b64 exec, exec, s[26:27]
	v_accvgpr_read_b32 v49, a13
	v_accvgpr_read_b32 v53, a29
	;; [unrolled: 1-line block ×5, first 2 shown]
	v_mov_b32_e32 v38, 1
.LBB6_890:                              ;   in Loop: Header=BB6_748 Depth=3
	s_or_b64 exec, exec, s[24:25]
	v_lshlrev_b32_e32 v4, 9, v17
	v_cmp_ne_u32_e32 vcc, v2, v4
	s_and_saveexec_b64 s[24:25], vcc
	s_cbranch_execz .LBB6_894
; %bb.891:                              ;   in Loop: Header=BB6_748 Depth=3
	v_add_u32_e32 v1, v15, v1
	v_and_b32_e32 v1, 0xffffffc0, v1
	v_sub_u32_e32 v1, v15, v1
	v_lshlrev_b32_e32 v0, 6, v0
	v_sub_u32_e32 v0, v1, v0
	v_ashrrev_i32_e32 v1, 31, v0
	v_lshrrev_b32_e32 v1, 26, v1
	v_add_u32_e32 v1, v0, v1
	v_and_b32_e32 v5, 0x7fffffc0, v1
	v_sub_u32_e32 v0, v0, v5
	v_lshlrev_b32_e32 v1, 1, v1
	v_and_b32_e32 v1, 0xffffff80, v1
	v_lshlrev_b32_e32 v0, 1, v0
	v_add3_u32 v1, v1, v0, v4
	v_sub_u32_e32 v0, v2, v1
	v_cmp_lt_i32_e32 vcc, 1, v0
	s_and_b64 exec, exec, vcc
	s_cbranch_execz .LBB6_894
; %bb.892:                              ;   in Loop: Header=BB6_748 Depth=3
	s_trap 2
	ds_read_b64 v[4:5], v0
	v_add_u32_e32 v8, v1, v14
	v_ashrrev_i32_e32 v9, 31, v8
	s_mov_b64 s[26:27], 0
.LBB6_893:                              ;   Parent Loop BB6_47 Depth=1
                                        ;     Parent Loop BB6_745 Depth=2
                                        ;       Parent Loop BB6_748 Depth=3
                                        ; =>      This Inner Loop Header: Depth=4
	s_waitcnt lgkmcnt(0)
	v_lshl_add_u64 v[6:7], v[4:5], 0, v[8:9]
	flat_load_ushort v1, v[8:9] nt
	flat_load_ushort v2, v[6:7] nt
	v_sub_u32_e32 v0, v0, v57
	v_cmp_gt_i32_e32 vcc, 2, v0
	v_lshl_add_u64 v[8:9], v[8:9], 0, v[44:45]
	s_or_b64 s[26:27], vcc, s[26:27]
	s_waitcnt vmcnt(0) lgkmcnt(0)
	v_mul_f16_e32 v1, v2, v1
	flat_store_short v[6:7], v1 nt
	s_andn2_b64 exec, exec, s[26:27]
	s_cbranch_execnz .LBB6_893
.LBB6_894:                              ;   in Loop: Header=BB6_748 Depth=3
	s_or_b64 exec, exec, s[24:25]
	s_or_b64 exec, exec, s[22:23]
	s_and_saveexec_b64 s[22:23], s[4:5]
	s_cbranch_execnz .LBB6_822
	s_branch .LBB6_869
.LBB6_895:                              ;   in Loop: Header=BB6_748 Depth=3
	s_or_b64 exec, exec, s[60:61]
	s_and_saveexec_b64 vcc, s[62:63]
	s_xor_b64 vcc, exec, vcc
	s_cbranch_execz .LBB6_897
; %bb.896:                              ;   in Loop: Header=BB6_748 Depth=3
	ds_write_b32 v0, v38
	s_trap 2
.LBB6_897:                              ;   in Loop: Header=BB6_748 Depth=3
	s_or_b64 exec, exec, s[58:59]
	;;#ASMSTART
	s_wakeup
	;;#ASMEND
.LBB6_898:                              ;   in Loop: Header=BB6_748 Depth=3
	s_or_b64 exec, exec, s[26:27]
.LBB6_899:                              ;   in Loop: Header=BB6_748 Depth=3
	s_andn2_saveexec_b64 s[24:25], s[24:25]
	s_cbranch_execz .LBB6_901
; %bb.900:                              ;   in Loop: Header=BB6_748 Depth=3
	s_waitcnt lgkmcnt(0)
	s_barrier
.LBB6_901:                              ;   in Loop: Header=BB6_748 Depth=3
	s_or_b64 exec, exec, s[24:25]
	s_or_b64 exec, exec, s[22:23]
                                        ; implicit-def: $vgpr0
	s_and_saveexec_b64 s[22:23], s[20:21]
	s_xor_b64 s[24:25], exec, s[22:23]
	s_cbranch_execnz .LBB6_870
.LBB6_902:                              ;   in Loop: Header=BB6_748 Depth=3
	s_andn2_saveexec_b64 s[22:23], s[24:25]
	s_cbranch_execz .LBB6_921
.LBB6_903:                              ;   in Loop: Header=BB6_748 Depth=3
	s_and_saveexec_b64 s[24:25], s[38:39]
	s_xor_b64 s[24:25], exec, s[24:25]
	s_cbranch_execz .LBB6_918
; %bb.904:                              ;   in Loop: Header=BB6_748 Depth=3
	s_and_saveexec_b64 s[26:27], s[12:13]
	s_cbranch_execz .LBB6_917
; %bb.905:                              ;   in Loop: Header=BB6_748 Depth=3
	s_mov_b64 s[60:61], exec
	v_mbcnt_lo_u32_b32 v0, s60, 0
	v_mbcnt_hi_u32_b32 v0, s61, v0
	v_cmp_eq_u32_e32 vcc, 0, v0
	;;#ASMSTART
	s_waitcnt lgkmcnt(0) vmcnt(0)
	;;#ASMEND
	s_and_saveexec_b64 s[58:59], vcc
	s_cbranch_execz .LBB6_907
; %bb.906:                              ;   in Loop: Header=BB6_748 Depth=3
	s_bcnt1_i32_b64 vcc_lo, s[60:61]
	v_mov_b32_e32 v2, vcc_lo
	ds_add_u64 v0, v[2:3]
	s_trap 2
.LBB6_907:                              ;   in Loop: Header=BB6_748 Depth=3
	s_or_b64 exec, exec, s[58:59]
	s_trap 2
	ds_read_b64 v[0:1], v0
	v_lshl_add_u64 v[12:13], v[12:13], 0, v[34:35]
	s_waitcnt lgkmcnt(0)
	v_cmp_lt_u64_e32 vcc, v[0:1], v[12:13]
	s_and_saveexec_b64 s[58:59], vcc
	s_cbranch_execz .LBB6_916
; %bb.908:                              ;   in Loop: Header=BB6_748 Depth=3
	s_mov_b32 s84, 0
	s_mov_b64 s[60:61], 0
                                        ; implicit-def: $sgpr62_sgpr63
                                        ; implicit-def: $sgpr64_sgpr65
	s_branch .LBB6_910
.LBB6_909:                              ;   in Loop: Header=BB6_910 Depth=4
	s_or_b64 exec, exec, s[68:69]
	s_and_b64 vcc, exec, vcc
	s_or_b64 s[60:61], vcc, s[60:61]
	s_andn2_b64 vcc, s[62:63], exec
	s_and_b64 s[62:63], s[64:65], exec
	s_or_b64 s[62:63], vcc, s[62:63]
	s_andn2_b64 exec, exec, s[60:61]
	s_cbranch_execz .LBB6_914
.LBB6_910:                              ;   Parent Loop BB6_47 Depth=1
                                        ;     Parent Loop BB6_745 Depth=2
                                        ;       Parent Loop BB6_748 Depth=3
                                        ; =>      This Inner Loop Header: Depth=4
	s_add_i32 s84, s84, 1
	s_cmpk_lg_i32 s84, 0x2710
	s_cselect_b64 s[66:67], -1, 0
	s_and_b64 vcc, exec, s[66:67]
                                        ; implicit-def: $sgpr68_sgpr69
	s_cbranch_vccnz .LBB6_912
; %bb.911:                              ;   in Loop: Header=BB6_910 Depth=4
	s_trap 2
	ds_read_b64 v[0:1], v0
	s_andn2_b64 s[66:67], s[66:67], exec
	s_mov_b32 s84, 0
	s_mov_b64 s[68:69], -1
	s_waitcnt vmcnt(0) lgkmcnt(0)
	flat_load_dword v0, v[0:1] sc0 sc1
	s_waitcnt vmcnt(0) lgkmcnt(0)
	buffer_inv sc0 sc1
	v_cmp_eq_u32_e32 vcc, 0, v0
	s_and_b64 vcc, vcc, exec
	s_or_b64 s[66:67], s[66:67], vcc
.LBB6_912:                              ;   in Loop: Header=BB6_910 Depth=4
	s_andn2_b64 s[64:65], s[64:65], exec
	s_and_b64 s[68:69], s[68:69], exec
	s_mov_b64 vcc, -1
	s_or_b64 s[64:65], s[64:65], s[68:69]
	s_and_saveexec_b64 s[68:69], s[66:67]
	s_cbranch_execz .LBB6_909
; %bb.913:                              ;   in Loop: Header=BB6_910 Depth=4
	s_sleep 1
	s_trap 2
	ds_read_b64 v[0:1], v0
	s_andn2_b64 s[64:65], s[64:65], exec
	s_waitcnt lgkmcnt(0)
	v_cmp_ge_u64_e32 vcc, v[0:1], v[12:13]
	s_orn2_b64 vcc, vcc, exec
	s_branch .LBB6_909
.LBB6_914:                              ;   in Loop: Header=BB6_748 Depth=3
	s_or_b64 exec, exec, s[60:61]
	s_and_saveexec_b64 vcc, s[62:63]
	s_xor_b64 vcc, exec, vcc
	s_cbranch_execz .LBB6_916
; %bb.915:                              ;   in Loop: Header=BB6_748 Depth=3
	ds_write_b32 v0, v38
	s_trap 2
.LBB6_916:                              ;   in Loop: Header=BB6_748 Depth=3
	s_or_b64 exec, exec, s[58:59]
	;;#ASMSTART
	s_wakeup
	;;#ASMEND
.LBB6_917:                              ;   in Loop: Header=BB6_748 Depth=3
	s_or_b64 exec, exec, s[26:27]
.LBB6_918:                              ;   in Loop: Header=BB6_748 Depth=3
	s_andn2_saveexec_b64 s[24:25], s[24:25]
	s_cbranch_execz .LBB6_920
; %bb.919:                              ;   in Loop: Header=BB6_748 Depth=3
	;;#ASMSTART
	s_waitcnt lgkmcnt(0) vmcnt(0)
	;;#ASMEND
	s_barrier
.LBB6_920:                              ;   in Loop: Header=BB6_748 Depth=3
	s_or_b64 exec, exec, s[24:25]
	v_and_b32_e32 v0, 16, v59
.LBB6_921:                              ;   in Loop: Header=BB6_748 Depth=3
	s_or_b64 exec, exec, s[22:23]
	v_cmp_ne_u32_e32 vcc, 0, v0
	s_xor_b64 s[22:23], s[6:7], -1
	s_and_b64 s[24:25], vcc, s[22:23]
	s_and_saveexec_b64 s[22:23], s[24:25]
	s_cbranch_execz .LBB6_923
; %bb.922:                              ;   in Loop: Header=BB6_748 Depth=3
	flat_store_dword v[54:55], v38 sc0 sc1
.LBB6_923:                              ;   in Loop: Header=BB6_748 Depth=3
	s_or_b64 exec, exec, s[22:23]
	v_and_b32_e32 v0, 48, v59
	v_cmp_ne_u32_e32 vcc, 0, v0
	s_and_saveexec_b64 s[22:23], vcc
	s_cbranch_execz .LBB6_747
; %bb.924:                              ;   in Loop: Header=BB6_748 Depth=3
	v_lshl_add_u64 v[20:21], v[20:21], 0, 2
	flat_store_dwordx2 v[22:23], v[20:21] sc0 sc1
	s_branch .LBB6_747
.LBB6_925:                              ;   in Loop: Header=BB6_745 Depth=2
	s_or_b64 exec, exec, s[28:29]
	v_cmp_gt_i32_e32 vcc, 2, v0
	s_and_saveexec_b64 s[24:25], vcc
	s_cbranch_execz .LBB6_999
.LBB6_926:                              ;   in Loop: Header=BB6_745 Depth=2
	v_cmp_eq_u32_e64 s[22:23], 0, v0
	s_mov_b64 s[26:27], 0
	s_branch .LBB6_928
.LBB6_927:                              ;   in Loop: Header=BB6_928 Depth=3
	s_or_b64 exec, exec, s[22:23]
	v_add_u32_e32 v18, v16, v18
	s_mov_b64 s[22:23], 0
	s_andn2_b64 exec, exec, s[26:27]
	s_cbranch_execz .LBB6_1000
.LBB6_928:                              ;   Parent Loop BB6_47 Depth=1
                                        ;     Parent Loop BB6_745 Depth=2
                                        ; =>    This Loop Header: Depth=3
                                        ;         Child Loop BB6_934 Depth 4
                                        ;         Child Loop BB6_964 Depth 4
	;; [unrolled: 1-line block ×3, first 2 shown]
	v_and_b32_e32 v0, 12, v59
	s_mov_b64 s[54:55], -1
	v_cmp_ne_u32_e32 vcc, 0, v0
	s_and_saveexec_b64 s[28:29], vcc
	s_cbranch_execz .LBB6_940
; %bb.929:                              ;   in Loop: Header=BB6_928 Depth=3
	v_and_b32_e32 v2, 8, v59
	v_lshl_add_u64 v[0:1], v[32:33], 0, v[2:3]
	v_lshl_add_u64 v[4:5], v[20:21], 0, 2
	v_cmp_lt_u64_e32 vcc, v[0:1], v[4:5]
	v_mov_b32_e32 v0, 1
	s_and_saveexec_b64 s[54:55], vcc
	s_cbranch_execz .LBB6_939
; %bb.930:                              ;   in Loop: Header=BB6_928 Depth=3
	s_mov_b64 s[56:57], 0
	v_mov_b32_e32 v0, 0
                                        ; implicit-def: $sgpr58_sgpr59
	s_branch .LBB6_934
.LBB6_931:                              ;   in Loop: Header=BB6_934 Depth=4
	s_or_b64 exec, exec, s[66:67]
	v_mov_b32_e32 v1, 0
	s_orn2_b64 s[64:65], s[64:65], exec
.LBB6_932:                              ;   in Loop: Header=BB6_934 Depth=4
	s_or_b64 exec, exec, s[62:63]
	s_andn2_b64 vcc, s[58:59], exec
	s_and_b64 s[58:59], s[64:65], exec
	s_or_b64 s[58:59], vcc, s[58:59]
	v_mov_b32_e32 v0, v1
.LBB6_933:                              ;   in Loop: Header=BB6_934 Depth=4
	s_or_b64 exec, exec, s[60:61]
	s_waitcnt vmcnt(0) lgkmcnt(0)
	v_lshl_add_u64 v[6:7], v[32:33], 0, v[2:3]
	v_cmp_ge_u64_e32 vcc, v[6:7], v[4:5]
	s_xor_b64 s[60:61], s[58:59], -1
	s_or_b64 vcc, s[60:61], vcc
	s_and_b64 vcc, exec, vcc
	s_or_b64 s[56:57], vcc, s[56:57]
	s_andn2_b64 exec, exec, s[56:57]
	s_cbranch_execz .LBB6_938
.LBB6_934:                              ;   Parent Loop BB6_47 Depth=1
                                        ;     Parent Loop BB6_745 Depth=2
                                        ;       Parent Loop BB6_928 Depth=3
                                        ; =>      This Inner Loop Header: Depth=4
	s_sleep 1
	flat_load_dwordx2 v[32:33], v[22:23] sc0 sc1
	v_and_b32_e32 v1, 64, v59
	v_cmp_eq_u32_e32 vcc, 0, v1
	s_andn2_b64 s[58:59], s[58:59], exec
	s_and_saveexec_b64 s[60:61], vcc
	s_cbranch_execz .LBB6_933
; %bb.935:                              ;   in Loop: Header=BB6_934 Depth=4
	v_add_u32_e32 v1, 1, v0
	v_cmp_lt_i32_e32 vcc, s82, v0
	s_mov_b64 s[64:65], -1
	s_and_saveexec_b64 s[62:63], vcc
	s_cbranch_execz .LBB6_932
; %bb.936:                              ;   in Loop: Header=BB6_934 Depth=4
	s_trap 2
	ds_read_b64 v[0:1], v0
	s_waitcnt vmcnt(0) lgkmcnt(0)
	flat_load_dword v0, v[0:1] sc0 sc1
	s_waitcnt vmcnt(0) lgkmcnt(0)
	buffer_inv sc0 sc1
	v_cmp_ne_u32_e32 vcc, 0, v0
	s_and_saveexec_b64 s[66:67], vcc
	s_cbranch_execz .LBB6_931
; %bb.937:                              ;   in Loop: Header=BB6_934 Depth=4
	v_or_b32_e32 v59, 64, v59
	s_xor_b64 s[64:65], exec, -1
	ds_write_b32 v0, v0
	s_trap 2
	s_branch .LBB6_931
.LBB6_938:                              ;   in Loop: Header=BB6_928 Depth=3
	s_or_b64 exec, exec, s[56:57]
	v_and_b32_e32 v0, 12, v59
.LBB6_939:                              ;   in Loop: Header=BB6_928 Depth=3
	s_or_b64 exec, exec, s[54:55]
	v_cmp_eq_u32_e32 vcc, 0, v0
	s_orn2_b64 s[54:55], vcc, exec
	;;#ASMSTART
	s_wakeup
	;;#ASMEND
.LBB6_940:                              ;   in Loop: Header=BB6_928 Depth=3
	s_or_b64 exec, exec, s[28:29]
	s_xor_b64 s[22:23], s[22:23], -1
	s_and_b64 s[22:23], exec, s[22:23]
	s_or_b64 s[26:27], s[22:23], s[26:27]
	v_sub_u32_e32 v0, v24, v18
	s_xor_b64 s[22:23], s[54:55], -1
	v_min_i32_e32 v16, v16, v0
	s_and_saveexec_b64 s[28:29], s[22:23]
	s_cbranch_execz .LBB6_956
; %bb.941:                              ;   in Loop: Header=BB6_928 Depth=3
	v_and_b32_e32 v0, 0x108, v59
	v_cmp_ne_u32_e32 vcc, s83, v0
	v_and_b32_e32 v2, 7, v20
	s_and_saveexec_b64 s[22:23], vcc
	s_xor_b64 s[22:23], exec, s[22:23]
	s_andn2_saveexec_b64 s[22:23], s[22:23]
	s_cbranch_execz .LBB6_943
; %bb.942:                              ;   in Loop: Header=BB6_928 Depth=3
	v_ashrrev_i32_e32 v17, 31, v16
	v_mad_u64_u32 v[0:1], vcc, v2, 24, v[48:49]
	v_lshlrev_b64 v[4:5], 1, v[16:17]
	flat_store_dwordx2 v[0:1], v[4:5] offset:8
.LBB6_943:                              ;   in Loop: Header=BB6_928 Depth=3
	s_or_b64 exec, exec, s[22:23]
	v_and_b32_e32 v0, 0x100, v59
	v_cmp_ne_u32_e32 vcc, 0, v0
	s_mov_b64 s[22:23], -1
                                        ; implicit-def: $vgpr4_vgpr5
	s_and_saveexec_b64 s[54:55], vcc
	s_cbranch_execz .LBB6_947
; %bb.944:                              ;   in Loop: Header=BB6_928 Depth=3
	v_mad_u64_u32 v[8:9], s[22:23], v2, 24, v[48:49]
	v_mov_b32_e32 v0, v9
	v_mad_u64_u32 v[0:1], s[22:23], v3, 24, v[0:1]
	v_mov_b32_e32 v9, v0
	flat_load_dword v0, v[8:9]
                                        ; implicit-def: $vgpr4_vgpr5
	s_waitcnt vmcnt(0) lgkmcnt(0)
	v_cmp_ne_u32_e32 vcc, 1, v0
	v_cmp_eq_u32_e64 s[22:23], 1, v0
	s_and_saveexec_b64 s[56:57], s[22:23]
	s_cbranch_execz .LBB6_946
; %bb.945:                              ;   in Loop: Header=BB6_928 Depth=3
	flat_load_dword v0, v[8:9] offset:4 sc0 sc1
	s_waitcnt vmcnt(0) lgkmcnt(0)
	v_ashrrev_i32_e32 v1, 31, v0
	v_lshrrev_b64 v[4:5], 1, v[0:1]
.LBB6_946:                              ;   in Loop: Header=BB6_928 Depth=3
	s_or_b64 exec, exec, s[56:57]
	s_orn2_b64 s[22:23], vcc, exec
.LBB6_947:                              ;   in Loop: Header=BB6_928 Depth=3
	s_or_b64 exec, exec, s[54:55]
	s_and_saveexec_b64 vcc, s[22:23]
; %bb.948:                              ;   in Loop: Header=BB6_928 Depth=3
	v_mul_lo_u32 v0, v3, v56
	v_mul_lo_u32 v1, v2, v39
	v_mad_u64_u32 v[4:5], s[22:23], v2, v56, 0
	v_add3_u32 v5, v5, v1, v0
; %bb.949:                              ;   in Loop: Header=BB6_928 Depth=3
	s_or_b64 exec, exec, vcc
	v_lshl_add_u64 v[0:1], v[4:5], 1, v[46:47]
	s_trap 2
	ds_write_b64 v0, v[0:1]
	v_and_b32_e32 v0, 0x2000, v59
	v_cmp_ne_u32_e32 vcc, 0, v0
	s_and_saveexec_b64 s[22:23], vcc
	s_cbranch_execz .LBB6_951
; %bb.950:                              ;   in Loop: Header=BB6_928 Depth=3
	ds_read_b64 v[0:1], v0 offset:584
	s_waitcnt lgkmcnt(0)
	v_lshl_add_u64 v[0:1], v[0:1], 0, 1
	ds_write_b64 v0, v[0:1] offset:584
.LBB6_951:                              ;   in Loop: Header=BB6_928 Depth=3
	s_or_b64 exec, exec, s[22:23]
	v_lshl_add_u64 v[20:21], v[20:21], 0, 2
	s_or_b64 exec, exec, s[28:29]
	s_and_saveexec_b64 s[22:23], s[4:5]
	s_cbranch_execnz .LBB6_957
.LBB6_952:                              ;   in Loop: Header=BB6_928 Depth=3
	s_or_b64 exec, exec, s[22:23]
                                        ; implicit-def: $vgpr0
	s_and_saveexec_b64 s[22:23], s[20:21]
	s_xor_b64 s[22:23], exec, s[22:23]
	s_cbranch_execz .LBB6_975
.LBB6_953:                              ;   in Loop: Header=BB6_928 Depth=3
	s_trap 2
	ds_read_b32 v1, v0
	v_cmp_lt_i32_e32 vcc, 0, v16
	v_and_b32_e32 v2, 16, v59
	v_and_b32_e32 v0, 16, v59
	s_waitcnt lgkmcnt(0)
	v_readfirstlane_b32 s28, v1
	s_cmp_eq_u32 s28, 0
	s_cselect_b64 s[28:29], -1, 0
	s_and_b64 s[28:29], vcc, s[28:29]
	v_cmp_ne_u32_e32 vcc, 0, v2
	s_and_b64 vcc, vcc, s[28:29]
	s_and_saveexec_b64 s[28:29], vcc
	s_cbranch_execz .LBB6_955
; %bb.954:                              ;   in Loop: Header=BB6_928 Depth=3
	v_mov_b32_e32 v0, 1
	buffer_wbl2 sc1
	s_waitcnt vmcnt(0)
	buffer_inv sc1
.LBB6_955:                              ;   in Loop: Header=BB6_928 Depth=3
	s_or_b64 exec, exec, s[28:29]
	s_andn2_saveexec_b64 s[22:23], s[22:23]
	s_cbranch_execz .LBB6_994
	s_branch .LBB6_976
.LBB6_956:                              ;   in Loop: Header=BB6_928 Depth=3
	s_or_b64 exec, exec, s[28:29]
	s_and_saveexec_b64 s[22:23], s[4:5]
	s_cbranch_execz .LBB6_952
.LBB6_957:                              ;   in Loop: Header=BB6_928 Depth=3
	s_and_saveexec_b64 s[28:29], s[38:39]
	s_xor_b64 s[28:29], exec, s[28:29]
	s_cbranch_execz .LBB6_972
; %bb.958:                              ;   in Loop: Header=BB6_928 Depth=3
	s_and_saveexec_b64 s[54:55], s[12:13]
	s_cbranch_execz .LBB6_971
; %bb.959:                              ;   in Loop: Header=BB6_928 Depth=3
	s_mov_b64 s[58:59], exec
	v_mbcnt_lo_u32_b32 v0, s58, 0
	v_mbcnt_hi_u32_b32 v0, s59, v0
	v_cmp_eq_u32_e32 vcc, 0, v0
	s_waitcnt lgkmcnt(0)
	s_and_saveexec_b64 s[56:57], vcc
	s_cbranch_execz .LBB6_961
; %bb.960:                              ;   in Loop: Header=BB6_928 Depth=3
	s_bcnt1_i32_b64 vcc_lo, s[58:59]
	v_mov_b32_e32 v2, vcc_lo
	ds_add_u64 v0, v[2:3]
	s_trap 2
.LBB6_961:                              ;   in Loop: Header=BB6_928 Depth=3
	s_or_b64 exec, exec, s[56:57]
	s_trap 2
	ds_read_b64 v[0:1], v0
	v_lshl_add_u64 v[12:13], v[12:13], 0, v[34:35]
	s_waitcnt lgkmcnt(0)
	v_cmp_lt_u64_e32 vcc, v[0:1], v[12:13]
	s_and_saveexec_b64 s[56:57], vcc
	s_cbranch_execz .LBB6_970
; %bb.962:                              ;   in Loop: Header=BB6_928 Depth=3
	s_mov_b32 s68, 0
	s_mov_b64 s[58:59], 0
                                        ; implicit-def: $sgpr60_sgpr61
                                        ; implicit-def: $sgpr62_sgpr63
	s_branch .LBB6_964
.LBB6_963:                              ;   in Loop: Header=BB6_964 Depth=4
	s_or_b64 exec, exec, s[66:67]
	s_and_b64 vcc, exec, vcc
	s_or_b64 s[58:59], vcc, s[58:59]
	s_andn2_b64 vcc, s[60:61], exec
	s_and_b64 s[60:61], s[62:63], exec
	s_or_b64 s[60:61], vcc, s[60:61]
	s_andn2_b64 exec, exec, s[58:59]
	s_cbranch_execz .LBB6_968
.LBB6_964:                              ;   Parent Loop BB6_47 Depth=1
                                        ;     Parent Loop BB6_745 Depth=2
                                        ;       Parent Loop BB6_928 Depth=3
                                        ; =>      This Inner Loop Header: Depth=4
	s_add_i32 s68, s68, 1
	s_cmpk_lg_i32 s68, 0x2710
	s_cselect_b64 s[64:65], -1, 0
	s_and_b64 vcc, exec, s[64:65]
                                        ; implicit-def: $sgpr66_sgpr67
	s_cbranch_vccnz .LBB6_966
; %bb.965:                              ;   in Loop: Header=BB6_964 Depth=4
	s_trap 2
	ds_read_b64 v[0:1], v0
	s_andn2_b64 s[64:65], s[64:65], exec
	s_mov_b32 s68, 0
	s_mov_b64 s[66:67], -1
	s_waitcnt vmcnt(0) lgkmcnt(0)
	flat_load_dword v0, v[0:1] sc0 sc1
	s_waitcnt vmcnt(0) lgkmcnt(0)
	buffer_inv sc0 sc1
	v_cmp_eq_u32_e32 vcc, 0, v0
	s_and_b64 vcc, vcc, exec
	s_or_b64 s[64:65], s[64:65], vcc
.LBB6_966:                              ;   in Loop: Header=BB6_964 Depth=4
	s_andn2_b64 s[62:63], s[62:63], exec
	s_and_b64 s[66:67], s[66:67], exec
	s_mov_b64 vcc, -1
	s_or_b64 s[62:63], s[62:63], s[66:67]
	s_and_saveexec_b64 s[66:67], s[64:65]
	s_cbranch_execz .LBB6_963
; %bb.967:                              ;   in Loop: Header=BB6_964 Depth=4
	s_sleep 1
	s_trap 2
	ds_read_b64 v[0:1], v0
	s_andn2_b64 s[62:63], s[62:63], exec
	s_waitcnt lgkmcnt(0)
	v_cmp_ge_u64_e32 vcc, v[0:1], v[12:13]
	s_orn2_b64 vcc, vcc, exec
	s_branch .LBB6_963
.LBB6_968:                              ;   in Loop: Header=BB6_928 Depth=3
	s_or_b64 exec, exec, s[58:59]
	s_and_saveexec_b64 vcc, s[60:61]
	s_xor_b64 vcc, exec, vcc
	s_cbranch_execz .LBB6_970
; %bb.969:                              ;   in Loop: Header=BB6_928 Depth=3
	ds_write_b32 v0, v38
	s_trap 2
.LBB6_970:                              ;   in Loop: Header=BB6_928 Depth=3
	s_or_b64 exec, exec, s[56:57]
	;;#ASMSTART
	s_wakeup
	;;#ASMEND
.LBB6_971:                              ;   in Loop: Header=BB6_928 Depth=3
	s_or_b64 exec, exec, s[54:55]
.LBB6_972:                              ;   in Loop: Header=BB6_928 Depth=3
	s_andn2_saveexec_b64 s[28:29], s[28:29]
	s_cbranch_execz .LBB6_974
; %bb.973:                              ;   in Loop: Header=BB6_928 Depth=3
	s_waitcnt lgkmcnt(0)
	s_barrier
.LBB6_974:                              ;   in Loop: Header=BB6_928 Depth=3
	s_or_b64 exec, exec, s[28:29]
	s_or_b64 exec, exec, s[22:23]
                                        ; implicit-def: $vgpr0
	s_and_saveexec_b64 s[22:23], s[20:21]
	s_xor_b64 s[22:23], exec, s[22:23]
	s_cbranch_execnz .LBB6_953
.LBB6_975:                              ;   in Loop: Header=BB6_928 Depth=3
	s_andn2_saveexec_b64 s[22:23], s[22:23]
	s_cbranch_execz .LBB6_994
.LBB6_976:                              ;   in Loop: Header=BB6_928 Depth=3
	s_and_saveexec_b64 s[28:29], s[38:39]
	s_xor_b64 s[28:29], exec, s[28:29]
	s_cbranch_execz .LBB6_991
; %bb.977:                              ;   in Loop: Header=BB6_928 Depth=3
	s_and_saveexec_b64 s[54:55], s[12:13]
	s_cbranch_execz .LBB6_990
; %bb.978:                              ;   in Loop: Header=BB6_928 Depth=3
	s_mov_b64 s[58:59], exec
	v_mbcnt_lo_u32_b32 v0, s58, 0
	v_mbcnt_hi_u32_b32 v0, s59, v0
	v_cmp_eq_u32_e32 vcc, 0, v0
	;;#ASMSTART
	s_waitcnt lgkmcnt(0) vmcnt(0)
	;;#ASMEND
	s_and_saveexec_b64 s[56:57], vcc
	s_cbranch_execz .LBB6_980
; %bb.979:                              ;   in Loop: Header=BB6_928 Depth=3
	s_bcnt1_i32_b64 vcc_lo, s[58:59]
	v_mov_b32_e32 v2, vcc_lo
	ds_add_u64 v0, v[2:3]
	s_trap 2
.LBB6_980:                              ;   in Loop: Header=BB6_928 Depth=3
	s_or_b64 exec, exec, s[56:57]
	s_trap 2
	ds_read_b64 v[0:1], v0
	v_lshl_add_u64 v[12:13], v[12:13], 0, v[34:35]
	s_waitcnt lgkmcnt(0)
	v_cmp_lt_u64_e32 vcc, v[0:1], v[12:13]
	s_and_saveexec_b64 s[56:57], vcc
	s_cbranch_execz .LBB6_989
; %bb.981:                              ;   in Loop: Header=BB6_928 Depth=3
	s_mov_b32 s68, 0
	s_mov_b64 s[58:59], 0
                                        ; implicit-def: $sgpr60_sgpr61
                                        ; implicit-def: $sgpr62_sgpr63
	s_branch .LBB6_983
.LBB6_982:                              ;   in Loop: Header=BB6_983 Depth=4
	s_or_b64 exec, exec, s[66:67]
	s_and_b64 vcc, exec, vcc
	s_or_b64 s[58:59], vcc, s[58:59]
	s_andn2_b64 vcc, s[60:61], exec
	s_and_b64 s[60:61], s[62:63], exec
	s_or_b64 s[60:61], vcc, s[60:61]
	s_andn2_b64 exec, exec, s[58:59]
	s_cbranch_execz .LBB6_987
.LBB6_983:                              ;   Parent Loop BB6_47 Depth=1
                                        ;     Parent Loop BB6_745 Depth=2
                                        ;       Parent Loop BB6_928 Depth=3
                                        ; =>      This Inner Loop Header: Depth=4
	s_add_i32 s68, s68, 1
	s_cmpk_lg_i32 s68, 0x2710
	s_cselect_b64 s[64:65], -1, 0
	s_and_b64 vcc, exec, s[64:65]
                                        ; implicit-def: $sgpr66_sgpr67
	s_cbranch_vccnz .LBB6_985
; %bb.984:                              ;   in Loop: Header=BB6_983 Depth=4
	s_trap 2
	ds_read_b64 v[0:1], v0
	s_andn2_b64 s[64:65], s[64:65], exec
	s_mov_b32 s68, 0
	s_mov_b64 s[66:67], -1
	s_waitcnt vmcnt(0) lgkmcnt(0)
	flat_load_dword v0, v[0:1] sc0 sc1
	s_waitcnt vmcnt(0) lgkmcnt(0)
	buffer_inv sc0 sc1
	v_cmp_eq_u32_e32 vcc, 0, v0
	s_and_b64 vcc, vcc, exec
	s_or_b64 s[64:65], s[64:65], vcc
.LBB6_985:                              ;   in Loop: Header=BB6_983 Depth=4
	s_andn2_b64 s[62:63], s[62:63], exec
	s_and_b64 s[66:67], s[66:67], exec
	s_mov_b64 vcc, -1
	s_or_b64 s[62:63], s[62:63], s[66:67]
	s_and_saveexec_b64 s[66:67], s[64:65]
	s_cbranch_execz .LBB6_982
; %bb.986:                              ;   in Loop: Header=BB6_983 Depth=4
	s_sleep 1
	s_trap 2
	ds_read_b64 v[0:1], v0
	s_andn2_b64 s[62:63], s[62:63], exec
	s_waitcnt lgkmcnt(0)
	v_cmp_ge_u64_e32 vcc, v[0:1], v[12:13]
	s_orn2_b64 vcc, vcc, exec
	s_branch .LBB6_982
.LBB6_987:                              ;   in Loop: Header=BB6_928 Depth=3
	s_or_b64 exec, exec, s[58:59]
	s_and_saveexec_b64 vcc, s[60:61]
	s_xor_b64 vcc, exec, vcc
	s_cbranch_execz .LBB6_989
; %bb.988:                              ;   in Loop: Header=BB6_928 Depth=3
	ds_write_b32 v0, v38
	s_trap 2
.LBB6_989:                              ;   in Loop: Header=BB6_928 Depth=3
	s_or_b64 exec, exec, s[56:57]
	;;#ASMSTART
	s_wakeup
	;;#ASMEND
.LBB6_990:                              ;   in Loop: Header=BB6_928 Depth=3
	s_or_b64 exec, exec, s[54:55]
.LBB6_991:                              ;   in Loop: Header=BB6_928 Depth=3
	s_andn2_saveexec_b64 s[28:29], s[28:29]
	s_cbranch_execz .LBB6_993
; %bb.992:                              ;   in Loop: Header=BB6_928 Depth=3
	;;#ASMSTART
	s_waitcnt lgkmcnt(0) vmcnt(0)
	;;#ASMEND
	s_barrier
.LBB6_993:                              ;   in Loop: Header=BB6_928 Depth=3
	s_or_b64 exec, exec, s[28:29]
	v_and_b32_e32 v0, 16, v59
.LBB6_994:                              ;   in Loop: Header=BB6_928 Depth=3
	s_or_b64 exec, exec, s[22:23]
	v_cmp_ne_u32_e32 vcc, 0, v0
	s_xor_b64 s[22:23], s[6:7], -1
	s_and_b64 s[28:29], vcc, s[22:23]
	s_and_saveexec_b64 s[22:23], s[28:29]
	s_cbranch_execz .LBB6_996
; %bb.995:                              ;   in Loop: Header=BB6_928 Depth=3
	flat_store_dword v[54:55], v38 sc0 sc1
.LBB6_996:                              ;   in Loop: Header=BB6_928 Depth=3
	s_or_b64 exec, exec, s[22:23]
	v_and_b32_e32 v0, 48, v59
	v_cmp_ne_u32_e32 vcc, 0, v0
	s_and_saveexec_b64 s[22:23], vcc
	s_cbranch_execz .LBB6_927
; %bb.997:                              ;   in Loop: Header=BB6_928 Depth=3
	v_lshl_add_u64 v[20:21], v[20:21], 0, 2
	flat_store_dwordx2 v[22:23], v[20:21] sc0 sc1
	s_branch .LBB6_927
.LBB6_998:                              ;   in Loop: Header=BB6_745 Depth=2
	s_or_b64 exec, exec, s[54:55]
	v_accvgpr_read_b32 v26, a30
	v_accvgpr_read_b32 v27, a31
	s_or_b64 exec, exec, s[28:29]
	v_cmp_gt_i32_e32 vcc, 2, v0
	s_and_saveexec_b64 s[24:25], vcc
	s_cbranch_execnz .LBB6_926
.LBB6_999:                              ;   in Loop: Header=BB6_745 Depth=2
	s_or_b64 exec, exec, s[24:25]
	s_add_i32 s22, s70, 1
	s_cmp_eq_u32 s70, s79
	s_cbranch_scc0 .LBB6_1001
	s_branch .LBB6_1002
.LBB6_1000:                             ;   in Loop: Header=BB6_745 Depth=2
	s_or_b64 exec, exec, s[26:27]
	s_or_b64 exec, exec, s[24:25]
	s_add_i32 s22, s70, 1
	s_cmp_eq_u32 s70, s79
	s_cbranch_scc1 .LBB6_1002
.LBB6_1001:                             ;   in Loop: Header=BB6_745 Depth=2
	s_mov_b32 s70, s22
	s_branch .LBB6_745
.LBB6_1002:                             ;   in Loop: Header=BB6_47 Depth=1
	v_accvgpr_read_b32 v6, a38
	v_accvgpr_read_b32 v7, a39
	v_mul_lo_u32 v0, v7, s80
	v_mul_lo_u32 v1, v6, s81
	v_mad_u64_u32 v[4:5], s[22:23], v6, s80, 0
	v_add3_u32 v5, v5, v1, v0
	v_accvgpr_read_b32 v0, a40
	v_accvgpr_read_b32 v1, a41
	v_sub_co_u32_e32 v0, vcc, v0, v4
	v_mov_b32_e32 v8, 0
	s_nop 0
	v_subb_co_u32_e32 v1, vcc, v1, v5, vcc
	v_cmp_lt_i64_e32 vcc, v[6:7], v[0:1]
	s_nop 1
	v_cndmask_b32_e32 v0, v0, v6, vcc
	v_max_i32_e32 v28, 0, v0
	v_add_u32_e32 v1, 31, v28
	v_ashrrev_i32_e32 v2, 31, v1
	v_lshrrev_b32_e32 v2, 27, v2
	v_add_u32_e32 v1, v1, v2
	v_ashrrev_i32_e32 v1, 5, v1
	v_lshlrev_b32_e32 v1, 4, v1
	v_cmp_lt_i32_e32 vcc, 0, v0
	v_max_i32_e32 v29, s78, v1
	s_and_b64 s[22:23], s[50:51], vcc
	v_mov_b32_e32 v0, 0
	s_and_saveexec_b64 s[24:25], s[22:23]
	s_cbranch_execz .LBB6_1142
; %bb.1003:                             ;   in Loop: Header=BB6_47 Depth=1
	v_accvgpr_read_b32 v0, a42
	v_accvgpr_read_b32 v1, a43
	v_lshl_add_u64 v[0:1], v[4:5], 0, v[0:1]
	s_mov_b32 s70, 1
	s_mov_b64 s[28:29], -1
	s_mov_b64 s[26:27], 0
	v_mov_b32_e32 v8, 0
	v_lshlrev_b64 v[10:11], 1, v[0:1]
	s_branch .LBB6_1005
.LBB6_1004:                             ;   in Loop: Header=BB6_1005 Depth=2
	s_or_b64 exec, exec, s[22:23]
	v_add_u32_e32 v8, v29, v8
	v_cmp_ge_i32_e32 vcc, v8, v28
	s_xor_b64 s[22:23], s[28:29], -1
	s_or_b64 s[22:23], s[22:23], vcc
	s_and_b64 s[22:23], exec, s[22:23]
	s_or_b64 s[26:27], s[22:23], s[26:27]
	s_mov_b64 s[28:29], 0
	v_mov_b32_e32 v0, s70
	s_mov_b32 s70, 2
	s_andn2_b64 exec, exec, s[26:27]
	s_cbranch_execz .LBB6_1141
.LBB6_1005:                             ;   Parent Loop BB6_47 Depth=1
                                        ; =>  This Loop Header: Depth=2
                                        ;       Child Loop BB6_1013 Depth 3
                                        ;       Child Loop BB6_1037 Depth 3
	;; [unrolled: 1-line block ×9, first 2 shown]
	s_and_saveexec_b64 s[22:23], s[0:1]
	s_cbranch_execz .LBB6_1007
; %bb.1006:                             ;   in Loop: Header=BB6_1005 Depth=2
	s_trap 2
	ds_read_b128 v[4:7], v0
	v_ashrrev_i32_e32 v9, 31, v8
	v_lshlrev_b64 v[0:1], 1, v[8:9]
	s_waitcnt lgkmcnt(0)
	v_lshl_add_u64 v[4:5], v[4:5], 0, v[10:11]
	v_lshl_add_u64 v[14:15], v[6:7], 0, v[10:11]
	;; [unrolled: 1-line block ×3, first 2 shown]
	ds_write_b64 v0, v[4:5]
	v_lshl_add_u64 v[0:1], v[14:15], 0, v[0:1]
	v_cmp_ne_u64_e32 vcc, 0, v[6:7]
	s_nop 1
	v_cndmask_b32_e32 v1, 0, v1, vcc
	v_cndmask_b32_e32 v0, 0, v0, vcc
	ds_write_b64 v0, v[0:1]
.LBB6_1007:                             ;   in Loop: Header=BB6_1005 Depth=2
	s_or_b64 exec, exec, s[22:23]
	v_and_b32_e32 v0, 4, v59
	v_cmp_ne_u32_e32 vcc, 0, v0
	s_mov_b64 s[54:55], -1
	s_and_saveexec_b64 s[22:23], vcc
	s_cbranch_execz .LBB6_1017
; %bb.1008:                             ;   in Loop: Header=BB6_1005 Depth=2
	v_lshl_add_u64 v[4:5], v[20:21], 0, 2
	v_cmp_lt_u64_e32 vcc, v[32:33], v[4:5]
	v_mov_b32_e32 v0, 1
	s_and_saveexec_b64 s[54:55], vcc
	s_cbranch_execz .LBB6_1028
; %bb.1009:                             ;   in Loop: Header=BB6_1005 Depth=2
	s_mov_b64 s[56:57], 0
	v_mov_b32_e32 v0, 0
                                        ; implicit-def: $sgpr58_sgpr59
	s_branch .LBB6_1013
.LBB6_1010:                             ;   in Loop: Header=BB6_1013 Depth=3
	s_or_b64 exec, exec, s[66:67]
	v_mov_b32_e32 v1, 0
	s_orn2_b64 s[64:65], s[64:65], exec
.LBB6_1011:                             ;   in Loop: Header=BB6_1013 Depth=3
	s_or_b64 exec, exec, s[62:63]
	s_andn2_b64 vcc, s[58:59], exec
	s_and_b64 s[58:59], s[64:65], exec
	s_or_b64 s[58:59], vcc, s[58:59]
	v_mov_b32_e32 v0, v1
.LBB6_1012:                             ;   in Loop: Header=BB6_1013 Depth=3
	s_or_b64 exec, exec, s[60:61]
	s_waitcnt vmcnt(0) lgkmcnt(0)
	v_cmp_ge_u64_e32 vcc, v[32:33], v[4:5]
	s_xor_b64 s[60:61], s[58:59], -1
	s_or_b64 vcc, s[60:61], vcc
	s_and_b64 vcc, exec, vcc
	s_or_b64 s[56:57], vcc, s[56:57]
	s_andn2_b64 exec, exec, s[56:57]
	s_cbranch_execz .LBB6_1027
.LBB6_1013:                             ;   Parent Loop BB6_47 Depth=1
                                        ;     Parent Loop BB6_1005 Depth=2
                                        ; =>    This Inner Loop Header: Depth=3
	s_sleep 1
	flat_load_dwordx2 v[32:33], v[22:23] sc0 sc1
	v_and_b32_e32 v1, 64, v59
	v_cmp_eq_u32_e32 vcc, 0, v1
	s_andn2_b64 s[58:59], s[58:59], exec
	s_and_saveexec_b64 s[60:61], vcc
	s_cbranch_execz .LBB6_1012
; %bb.1014:                             ;   in Loop: Header=BB6_1013 Depth=3
	v_add_u32_e32 v1, 1, v0
	v_cmp_lt_i32_e32 vcc, s82, v0
	s_mov_b64 s[64:65], -1
	s_and_saveexec_b64 s[62:63], vcc
	s_cbranch_execz .LBB6_1011
; %bb.1015:                             ;   in Loop: Header=BB6_1013 Depth=3
	s_trap 2
	ds_read_b64 v[0:1], v0
	s_waitcnt vmcnt(0) lgkmcnt(0)
	flat_load_dword v0, v[0:1] sc0 sc1
	s_waitcnt vmcnt(0) lgkmcnt(0)
	buffer_inv sc0 sc1
	v_cmp_ne_u32_e32 vcc, 0, v0
	s_and_saveexec_b64 s[66:67], vcc
	s_cbranch_execz .LBB6_1010
; %bb.1016:                             ;   in Loop: Header=BB6_1013 Depth=3
	v_or_b32_e32 v59, 64, v59
	s_xor_b64 s[64:65], exec, -1
	ds_write_b32 v0, v0
	s_trap 2
	s_branch .LBB6_1010
.LBB6_1017:                             ;   in Loop: Header=BB6_1005 Depth=2
	s_or_b64 exec, exec, s[22:23]
	s_xor_b64 s[22:23], s[54:55], -1
	s_and_saveexec_b64 s[54:55], s[22:23]
	s_cbranch_execz .LBB6_1029
.LBB6_1018:                             ;   in Loop: Header=BB6_1005 Depth=2
	v_and_b32_e32 v0, 0x100, v59
	v_cmp_ne_u32_e32 vcc, 0, v0
	v_and_b32_e32 v0, 7, v20
	s_mov_b64 s[22:23], -1
                                        ; implicit-def: $vgpr4_vgpr5
	s_and_saveexec_b64 s[56:57], vcc
	s_cbranch_execz .LBB6_1022
; %bb.1019:                             ;   in Loop: Header=BB6_1005 Depth=2
	s_waitcnt lgkmcnt(0)
	v_mad_u64_u32 v[14:15], s[22:23], v0, 24, v[48:49]
	flat_load_dword v1, v[14:15]
                                        ; implicit-def: $vgpr4_vgpr5
	s_waitcnt vmcnt(0) lgkmcnt(0)
	v_cmp_ne_u32_e32 vcc, 1, v1
	v_cmp_eq_u32_e64 s[22:23], 1, v1
	s_and_saveexec_b64 s[58:59], s[22:23]
	s_cbranch_execz .LBB6_1021
; %bb.1020:                             ;   in Loop: Header=BB6_1005 Depth=2
	flat_load_dword v4, v[14:15] offset:4 sc0 sc1
	s_waitcnt vmcnt(0) lgkmcnt(0)
	v_ashrrev_i32_e32 v5, 31, v4
	v_lshrrev_b64 v[4:5], 1, v[4:5]
.LBB6_1021:                             ;   in Loop: Header=BB6_1005 Depth=2
	s_or_b64 exec, exec, s[58:59]
	s_orn2_b64 s[22:23], vcc, exec
.LBB6_1022:                             ;   in Loop: Header=BB6_1005 Depth=2
	s_or_b64 exec, exec, s[56:57]
	s_and_saveexec_b64 vcc, s[22:23]
; %bb.1023:                             ;   in Loop: Header=BB6_1005 Depth=2
	v_mad_i64_i32 v[4:5], s[22:23], v0, v56, 0
; %bb.1024:                             ;   in Loop: Header=BB6_1005 Depth=2
	s_or_b64 exec, exec, vcc
	v_lshl_add_u64 v[0:1], v[4:5], 1, v[46:47]
	ds_write_b64 v0, v[0:1] offset:720
	v_and_b32_e32 v0, 0x2000, v59
	v_cmp_ne_u32_e32 vcc, 0, v0
	s_and_saveexec_b64 s[22:23], vcc
	s_cbranch_execz .LBB6_1026
; %bb.1025:                             ;   in Loop: Header=BB6_1005 Depth=2
	ds_read_b64 v[0:1], v0 offset:584
	s_waitcnt lgkmcnt(0)
	v_lshl_add_u64 v[0:1], v[0:1], 0, 1
	ds_write_b64 v0, v[0:1] offset:584
.LBB6_1026:                             ;   in Loop: Header=BB6_1005 Depth=2
	s_or_b64 exec, exec, s[22:23]
	v_lshl_add_u64 v[20:21], v[20:21], 0, 2
	s_or_b64 exec, exec, s[54:55]
	s_and_saveexec_b64 s[22:23], s[4:5]
	s_cbranch_execz .LBB6_1048
	s_branch .LBB6_1030
.LBB6_1027:                             ;   in Loop: Header=BB6_1005 Depth=2
	s_or_b64 exec, exec, s[56:57]
	v_and_b32_e32 v0, 4, v59
.LBB6_1028:                             ;   in Loop: Header=BB6_1005 Depth=2
	s_or_b64 exec, exec, s[54:55]
	v_cmp_eq_u32_e32 vcc, 0, v0
	s_orn2_b64 s[54:55], vcc, exec
	;;#ASMSTART
	s_wakeup
	;;#ASMEND
	s_or_b64 exec, exec, s[22:23]
	s_xor_b64 s[22:23], s[54:55], -1
	s_and_saveexec_b64 s[54:55], s[22:23]
	s_cbranch_execnz .LBB6_1018
.LBB6_1029:                             ;   in Loop: Header=BB6_1005 Depth=2
	s_or_b64 exec, exec, s[54:55]
	s_and_saveexec_b64 s[22:23], s[4:5]
	s_cbranch_execz .LBB6_1048
.LBB6_1030:                             ;   in Loop: Header=BB6_1005 Depth=2
	s_and_saveexec_b64 vcc, s[38:39]
	s_xor_b64 s[54:55], exec, vcc
	s_cbranch_execz .LBB6_1045
; %bb.1031:                             ;   in Loop: Header=BB6_1005 Depth=2
	s_and_saveexec_b64 s[56:57], s[12:13]
	s_cbranch_execz .LBB6_1044
; %bb.1032:                             ;   in Loop: Header=BB6_1005 Depth=2
	s_mov_b64 s[60:61], exec
	v_mbcnt_lo_u32_b32 v0, s60, 0
	v_mbcnt_hi_u32_b32 v0, s61, v0
	v_cmp_eq_u32_e32 vcc, 0, v0
	s_waitcnt lgkmcnt(0)
	s_and_saveexec_b64 s[58:59], vcc
	s_cbranch_execz .LBB6_1034
; %bb.1033:                             ;   in Loop: Header=BB6_1005 Depth=2
	s_bcnt1_i32_b64 vcc_lo, s[60:61]
	v_mov_b32_e32 v2, vcc_lo
	ds_add_u64 v0, v[2:3]
	s_trap 2
.LBB6_1034:                             ;   in Loop: Header=BB6_1005 Depth=2
	s_or_b64 exec, exec, s[58:59]
	s_trap 2
	ds_read_b64 v[0:1], v0
	v_lshl_add_u64 v[12:13], v[12:13], 0, v[34:35]
	s_waitcnt lgkmcnt(0)
	v_cmp_lt_u64_e32 vcc, v[0:1], v[12:13]
	s_and_saveexec_b64 s[58:59], vcc
	s_cbranch_execz .LBB6_1043
; %bb.1035:                             ;   in Loop: Header=BB6_1005 Depth=2
	s_mov_b32 s71, 0
	s_mov_b64 s[60:61], 0
                                        ; implicit-def: $sgpr62_sgpr63
                                        ; implicit-def: $sgpr64_sgpr65
	s_branch .LBB6_1037
.LBB6_1036:                             ;   in Loop: Header=BB6_1037 Depth=3
	s_or_b64 exec, exec, s[68:69]
	s_and_b64 vcc, exec, vcc
	s_or_b64 s[60:61], vcc, s[60:61]
	s_andn2_b64 vcc, s[62:63], exec
	s_and_b64 s[62:63], s[64:65], exec
	s_or_b64 s[62:63], vcc, s[62:63]
	s_andn2_b64 exec, exec, s[60:61]
	s_cbranch_execz .LBB6_1041
.LBB6_1037:                             ;   Parent Loop BB6_47 Depth=1
                                        ;     Parent Loop BB6_1005 Depth=2
                                        ; =>    This Inner Loop Header: Depth=3
	s_add_i32 s71, s71, 1
	s_cmpk_lg_i32 s71, 0x2710
	s_cselect_b64 s[66:67], -1, 0
	s_and_b64 vcc, exec, s[66:67]
                                        ; implicit-def: $sgpr68_sgpr69
	s_cbranch_vccnz .LBB6_1039
; %bb.1038:                             ;   in Loop: Header=BB6_1037 Depth=3
	s_trap 2
	ds_read_b64 v[0:1], v0
	s_andn2_b64 s[66:67], s[66:67], exec
	s_mov_b32 s71, 0
	s_mov_b64 s[68:69], -1
	s_waitcnt vmcnt(0) lgkmcnt(0)
	flat_load_dword v0, v[0:1] sc0 sc1
	s_waitcnt vmcnt(0) lgkmcnt(0)
	buffer_inv sc0 sc1
	v_cmp_eq_u32_e32 vcc, 0, v0
	s_and_b64 vcc, vcc, exec
	s_or_b64 s[66:67], s[66:67], vcc
.LBB6_1039:                             ;   in Loop: Header=BB6_1037 Depth=3
	s_andn2_b64 s[64:65], s[64:65], exec
	s_and_b64 s[68:69], s[68:69], exec
	s_mov_b64 vcc, -1
	s_or_b64 s[64:65], s[64:65], s[68:69]
	s_and_saveexec_b64 s[68:69], s[66:67]
	s_cbranch_execz .LBB6_1036
; %bb.1040:                             ;   in Loop: Header=BB6_1037 Depth=3
	s_sleep 1
	s_trap 2
	ds_read_b64 v[0:1], v0
	s_andn2_b64 s[64:65], s[64:65], exec
	s_waitcnt lgkmcnt(0)
	v_cmp_ge_u64_e32 vcc, v[0:1], v[12:13]
	s_orn2_b64 vcc, vcc, exec
	s_branch .LBB6_1036
.LBB6_1041:                             ;   in Loop: Header=BB6_1005 Depth=2
	s_or_b64 exec, exec, s[60:61]
	s_and_saveexec_b64 vcc, s[62:63]
	s_xor_b64 vcc, exec, vcc
	s_cbranch_execz .LBB6_1043
; %bb.1042:                             ;   in Loop: Header=BB6_1005 Depth=2
	ds_write_b32 v0, v38
	s_trap 2
.LBB6_1043:                             ;   in Loop: Header=BB6_1005 Depth=2
	s_or_b64 exec, exec, s[58:59]
	;;#ASMSTART
	s_wakeup
	;;#ASMEND
.LBB6_1044:                             ;   in Loop: Header=BB6_1005 Depth=2
	s_or_b64 exec, exec, s[56:57]
.LBB6_1045:                             ;   in Loop: Header=BB6_1005 Depth=2
	s_andn2_saveexec_b64 vcc, s[54:55]
	s_cbranch_execz .LBB6_1047
; %bb.1046:                             ;   in Loop: Header=BB6_1005 Depth=2
	s_waitcnt lgkmcnt(0)
	s_barrier
.LBB6_1047:                             ;   in Loop: Header=BB6_1005 Depth=2
	s_or_b64 exec, exec, vcc
.LBB6_1048:                             ;   in Loop: Header=BB6_1005 Depth=2
	s_or_b64 exec, exec, s[22:23]
	s_trap 2
	ds_read_b32 v4, v0
	v_and_b32_e32 v0, 0x4000, v59
	v_cmp_ne_u32_e32 vcc, 0, v0
	s_xor_b64 s[22:23], s[2:3], -1
	s_and_b64 vcc, s[22:23], vcc
	s_and_saveexec_b64 s[22:23], vcc
	s_cbranch_execz .LBB6_1067
; %bb.1049:                             ;   in Loop: Header=BB6_1005 Depth=2
	s_and_saveexec_b64 vcc, s[38:39]
	s_xor_b64 s[54:55], exec, vcc
	s_cbranch_execz .LBB6_1064
; %bb.1050:                             ;   in Loop: Header=BB6_1005 Depth=2
	s_and_saveexec_b64 s[56:57], s[12:13]
	s_cbranch_execz .LBB6_1063
; %bb.1051:                             ;   in Loop: Header=BB6_1005 Depth=2
	s_mov_b64 s[60:61], exec
	v_mbcnt_lo_u32_b32 v0, s60, 0
	v_mbcnt_hi_u32_b32 v0, s61, v0
	v_cmp_eq_u32_e32 vcc, 0, v0
	s_waitcnt lgkmcnt(0)
	s_and_saveexec_b64 s[58:59], vcc
	s_cbranch_execz .LBB6_1053
; %bb.1052:                             ;   in Loop: Header=BB6_1005 Depth=2
	s_bcnt1_i32_b64 vcc_lo, s[60:61]
	v_mov_b32_e32 v2, vcc_lo
	ds_add_u64 v0, v[2:3]
	s_trap 2
.LBB6_1053:                             ;   in Loop: Header=BB6_1005 Depth=2
	s_or_b64 exec, exec, s[58:59]
	s_trap 2
	ds_read_b64 v[0:1], v0
	v_lshl_add_u64 v[12:13], v[12:13], 0, v[34:35]
	s_waitcnt lgkmcnt(0)
	v_cmp_lt_u64_e32 vcc, v[0:1], v[12:13]
	s_and_saveexec_b64 s[58:59], vcc
	s_cbranch_execz .LBB6_1062
; %bb.1054:                             ;   in Loop: Header=BB6_1005 Depth=2
	s_mov_b32 s71, 0
	s_mov_b64 s[60:61], 0
                                        ; implicit-def: $sgpr62_sgpr63
                                        ; implicit-def: $sgpr64_sgpr65
	s_branch .LBB6_1056
.LBB6_1055:                             ;   in Loop: Header=BB6_1056 Depth=3
	s_or_b64 exec, exec, s[68:69]
	s_and_b64 vcc, exec, vcc
	s_or_b64 s[60:61], vcc, s[60:61]
	s_andn2_b64 vcc, s[62:63], exec
	s_and_b64 s[62:63], s[64:65], exec
	s_or_b64 s[62:63], vcc, s[62:63]
	s_andn2_b64 exec, exec, s[60:61]
	s_cbranch_execz .LBB6_1060
.LBB6_1056:                             ;   Parent Loop BB6_47 Depth=1
                                        ;     Parent Loop BB6_1005 Depth=2
                                        ; =>    This Inner Loop Header: Depth=3
	s_add_i32 s71, s71, 1
	s_cmpk_lg_i32 s71, 0x2710
	s_cselect_b64 s[66:67], -1, 0
	s_and_b64 vcc, exec, s[66:67]
                                        ; implicit-def: $sgpr68_sgpr69
	s_cbranch_vccnz .LBB6_1058
; %bb.1057:                             ;   in Loop: Header=BB6_1056 Depth=3
	s_trap 2
	ds_read_b64 v[0:1], v0
	s_andn2_b64 s[66:67], s[66:67], exec
	s_mov_b32 s71, 0
	s_mov_b64 s[68:69], -1
	s_waitcnt vmcnt(0) lgkmcnt(0)
	flat_load_dword v0, v[0:1] sc0 sc1
	s_waitcnt vmcnt(0) lgkmcnt(0)
	buffer_inv sc0 sc1
	v_cmp_eq_u32_e32 vcc, 0, v0
	s_and_b64 vcc, vcc, exec
	s_or_b64 s[66:67], s[66:67], vcc
.LBB6_1058:                             ;   in Loop: Header=BB6_1056 Depth=3
	s_andn2_b64 s[64:65], s[64:65], exec
	s_and_b64 s[68:69], s[68:69], exec
	s_mov_b64 vcc, -1
	s_or_b64 s[64:65], s[64:65], s[68:69]
	s_and_saveexec_b64 s[68:69], s[66:67]
	s_cbranch_execz .LBB6_1055
; %bb.1059:                             ;   in Loop: Header=BB6_1056 Depth=3
	s_sleep 1
	s_trap 2
	ds_read_b64 v[0:1], v0
	s_andn2_b64 s[64:65], s[64:65], exec
	s_waitcnt lgkmcnt(0)
	v_cmp_ge_u64_e32 vcc, v[0:1], v[12:13]
	s_orn2_b64 vcc, vcc, exec
	s_branch .LBB6_1055
.LBB6_1060:                             ;   in Loop: Header=BB6_1005 Depth=2
	s_or_b64 exec, exec, s[60:61]
	s_and_saveexec_b64 vcc, s[62:63]
	s_xor_b64 vcc, exec, vcc
	s_cbranch_execz .LBB6_1062
; %bb.1061:                             ;   in Loop: Header=BB6_1005 Depth=2
	ds_write_b32 v0, v38
	s_trap 2
.LBB6_1062:                             ;   in Loop: Header=BB6_1005 Depth=2
	s_or_b64 exec, exec, s[58:59]
	;;#ASMSTART
	s_wakeup
	;;#ASMEND
.LBB6_1063:                             ;   in Loop: Header=BB6_1005 Depth=2
	s_or_b64 exec, exec, s[56:57]
.LBB6_1064:                             ;   in Loop: Header=BB6_1005 Depth=2
	s_andn2_saveexec_b64 vcc, s[54:55]
	s_cbranch_execz .LBB6_1066
; %bb.1065:                             ;   in Loop: Header=BB6_1005 Depth=2
	s_waitcnt lgkmcnt(0)
	s_barrier
.LBB6_1066:                             ;   in Loop: Header=BB6_1005 Depth=2
	s_or_b64 exec, exec, vcc
.LBB6_1067:                             ;   in Loop: Header=BB6_1005 Depth=2
	s_or_b64 exec, exec, s[22:23]
	s_trap 2
	ds_read_b64 v[0:1], v0
	v_sub_u32_e32 v2, v28, v8
	v_min_i32_e32 v29, v29, v2
	v_mov_b32_e32 v9, 0
	s_waitcnt lgkmcnt(0)
	v_readfirstlane_b32 s22, v0
	v_readfirstlane_b32 s23, v1
	s_cmp_eq_u64 s[22:23], 0
	s_cselect_b64 s[22:23], -1, 0
	s_or_b64 s[22:23], s[22:23], s[22:23]
	s_and_b64 vcc, exec, s[22:23]
	s_cbranch_vccnz .LBB6_1083
; %bb.1068:                             ;   in Loop: Header=BB6_1005 Depth=2
	s_trap 2
	ds_read_b64 v[14:15], v0
	s_mov_b64 s[22:23], -1
	s_and_saveexec_b64 s[54:55], s[16:17]
	s_cbranch_execz .LBB6_1070
; %bb.1069:                             ;   in Loop: Header=BB6_1005 Depth=2
	ds_read_b32 v0, v0 offset:720
	s_waitcnt lgkmcnt(0)
	v_and_b32_e32 v0, 15, v0
	v_cmp_eq_u32_e32 vcc, 0, v0
	s_orn2_b64 s[22:23], vcc, exec
.LBB6_1070:                             ;   in Loop: Header=BB6_1005 Depth=2
	s_or_b64 exec, exec, s[54:55]
	s_and_saveexec_b64 s[54:55], s[14:15]
	s_cbranch_execz .LBB6_1072
; %bb.1071:                             ;   in Loop: Header=BB6_1005 Depth=2
	ds_read_b32 v0, v0 offset:784
	s_waitcnt lgkmcnt(0)
	v_and_b32_e32 v0, 15, v0
	v_cmp_eq_u32_e32 vcc, 0, v0
	s_and_b64 vcc, s[22:23], vcc
	s_andn2_b64 s[22:23], s[22:23], exec
	s_and_b64 vcc, vcc, exec
	s_or_b64 s[22:23], s[22:23], vcc
.LBB6_1072:                             ;   in Loop: Header=BB6_1005 Depth=2
	s_or_b64 exec, exec, s[54:55]
	v_cmp_eq_u32_e32 vcc, 0, v4
	s_xor_b64 s[22:23], s[22:23], -1
	v_cndmask_b32_e64 v0, 0, 1, s[22:23]
	v_cndmask_b32_e32 v9, 0, v29, vcc
	v_mov_b32_e32 v25, 0
	v_lshlrev_b32_e32 v2, 1, v9
	s_mov_b64 s[56:57], -1
	;;#ASMSTART
	;;#ASMEND
	s_nop 0
	v_cmp_ne_u32_e32 vcc, 0, v0
	s_cbranch_vccz .LBB6_1095
; %bb.1073:                             ;   in Loop: Header=BB6_1005 Depth=2
	v_accvgpr_read_b32 v0, a36
	v_mov_b32_e32 v16, v58
	s_and_saveexec_b64 s[22:23], s[56:57]
	s_cbranch_execz .LBB6_1108
.LBB6_1074:                             ;   in Loop: Header=BB6_1005 Depth=2
	v_ashrrev_i32_e32 v1, 31, v2
	v_lshrrev_b32_e32 v1, 23, v1
	v_add_u32_e32 v1, v2, v1
	v_ashrrev_i32_e32 v48, 9, v1
	v_sub_u32_e32 v1, v48, v16
	v_ashrrev_i32_e32 v4, 31, v0
	v_cmp_lt_i32_e32 vcc, 0, v1
	v_lshrrev_b32_e32 v39, 26, v4
	s_and_saveexec_b64 s[54:55], vcc
	s_cbranch_execz .LBB6_1078
; %bb.1075:                             ;   in Loop: Header=BB6_1005 Depth=2
	s_trap 2
	ds_read_b64 v[4:5], v0
	v_add_u32_e32 v6, v0, v39
	v_and_b32_e32 v6, 0x7fffffc0, v6
	v_sub_u32_e32 v6, v0, v6
	v_lshlrev_b32_e32 v6, 1, v6
	v_lshlrev_b32_e32 v7, 9, v16
	v_add3_u32 v16, v6, v25, v7
	v_ashrrev_i32_e32 v17, 31, v16
	s_mov_b64 s[56:57], 0
	s_waitcnt lgkmcnt(0)
	v_mov_b64_e32 v[18:19], v[4:5]
	v_mov_b64_e32 v[30:31], v[14:15]
.LBB6_1076:                             ;   Parent Loop BB6_47 Depth=1
                                        ;     Parent Loop BB6_1005 Depth=2
                                        ; =>    This Inner Loop Header: Depth=3
	v_lshl_add_u64 v[26:27], v[16:17], 0, v[18:19]
	v_lshl_add_u64 v[6:7], v[16:17], 0, v[30:31]
	flat_load_ushort v24, v[26:27] nt
	flat_load_ushort v36, v[26:27] offset:128 nt
	flat_load_ushort v37, v[26:27] offset:256 nt
	s_nop 0
	flat_load_ushort v26, v[26:27] offset:384 nt
	s_nop 0
	flat_load_ushort v27, v[6:7] nt
	flat_load_ushort v38, v[6:7] offset:128 nt
	flat_load_ushort v49, v[6:7] offset:256 nt
	;; [unrolled: 1-line block ×3, first 2 shown]
	v_sub_u32_e32 v1, v1, v34
	v_cmp_gt_i32_e32 vcc, 1, v1
	v_lshl_add_u64 v[6:7], v[16:17], 0, v[4:5]
	v_lshl_add_u64 v[30:31], v[30:31], 0, v[40:41]
	;; [unrolled: 1-line block ×4, first 2 shown]
	s_or_b64 s[56:57], vcc, s[56:57]
	s_waitcnt vmcnt(0) lgkmcnt(0)
	v_mul_f16_e32 v24, v24, v27
	v_mul_f16_e32 v27, v36, v38
	;; [unrolled: 1-line block ×4, first 2 shown]
	flat_store_short v[6:7], v24 nt
	flat_store_short v[6:7], v27 offset:128 nt
	flat_store_short v[6:7], v36 offset:256 nt
	;; [unrolled: 1-line block ×3, first 2 shown]
	s_andn2_b64 exec, exec, s[56:57]
	s_cbranch_execnz .LBB6_1076
; %bb.1077:                             ;   in Loop: Header=BB6_1005 Depth=2
	s_or_b64 exec, exec, s[56:57]
	v_accvgpr_read_b32 v53, a29
	v_accvgpr_read_b32 v26, a30
	;; [unrolled: 1-line block ×4, first 2 shown]
	v_mov_b32_e32 v38, 1
.LBB6_1078:                             ;   in Loop: Header=BB6_1005 Depth=2
	s_or_b64 exec, exec, s[54:55]
	v_lshlrev_b32_e32 v4, 9, v48
	v_cmp_ne_u32_e32 vcc, v2, v4
	s_and_saveexec_b64 s[54:55], vcc
	s_cbranch_execz .LBB6_1082
; %bb.1079:                             ;   in Loop: Header=BB6_1005 Depth=2
	v_add_u32_e32 v5, v0, v39
	v_and_b32_e32 v5, 0xffffffc0, v5
	v_sub_u32_e32 v0, v0, v5
	v_lshlrev_b32_e32 v1, 6, v1
	v_sub_u32_e32 v0, v0, v1
	v_ashrrev_i32_e32 v1, 31, v0
	v_lshrrev_b32_e32 v1, 26, v1
	v_add_u32_e32 v1, v0, v1
	v_and_b32_e32 v5, 0x7fffffc0, v1
	v_sub_u32_e32 v0, v0, v5
	v_lshlrev_b32_e32 v1, 1, v1
	v_and_b32_e32 v1, 0xffffff80, v1
	v_lshlrev_b32_e32 v0, 1, v0
	v_add3_u32 v1, v1, v0, v4
	v_sub_u32_e32 v0, v2, v1
	v_cmp_lt_i32_e32 vcc, 1, v0
	s_and_b64 exec, exec, vcc
	s_cbranch_execz .LBB6_1082
; %bb.1080:                             ;   in Loop: Header=BB6_1005 Depth=2
	s_trap 2
	ds_read_b64 v[4:5], v0
	v_add_u32_e32 v16, v1, v25
	v_ashrrev_i32_e32 v17, 31, v16
	s_mov_b64 s[56:57], 0
.LBB6_1081:                             ;   Parent Loop BB6_47 Depth=1
                                        ;     Parent Loop BB6_1005 Depth=2
                                        ; =>    This Inner Loop Header: Depth=3
	s_waitcnt lgkmcnt(0)
	v_lshl_add_u64 v[18:19], v[4:5], 0, v[16:17]
	v_lshl_add_u64 v[6:7], v[14:15], 0, v[16:17]
	flat_load_ushort v1, v[18:19] nt
	flat_load_ushort v2, v[6:7] nt
	v_sub_u32_e32 v0, v0, v57
	v_cmp_gt_i32_e32 vcc, 2, v0
	v_lshl_add_u64 v[16:17], v[16:17], 0, v[44:45]
	s_or_b64 s[56:57], vcc, s[56:57]
	s_waitcnt vmcnt(0) lgkmcnt(0)
	v_mul_f16_e32 v1, v1, v2
	flat_store_short v[18:19], v1 nt
	s_andn2_b64 exec, exec, s[56:57]
	s_cbranch_execnz .LBB6_1081
.LBB6_1082:                             ;   in Loop: Header=BB6_1005 Depth=2
	s_or_b64 exec, exec, s[54:55]
	v_accvgpr_read_b32 v49, a13
	v_accvgpr_read_b32 v48, a12
	;; [unrolled: 1-line block ×3, first 2 shown]
	s_or_b64 exec, exec, s[22:23]
	s_and_saveexec_b64 s[22:23], s[4:5]
	s_cbranch_execz .LBB6_1109
	s_branch .LBB6_1084
.LBB6_1083:                             ;   in Loop: Header=BB6_1005 Depth=2
	s_and_saveexec_b64 s[22:23], s[4:5]
	s_cbranch_execz .LBB6_1109
.LBB6_1084:                             ;   in Loop: Header=BB6_1005 Depth=2
	s_and_saveexec_b64 vcc, s[38:39]
	s_xor_b64 s[54:55], exec, vcc
	s_cbranch_execz .LBB6_1117
; %bb.1085:                             ;   in Loop: Header=BB6_1005 Depth=2
	s_and_saveexec_b64 s[56:57], s[12:13]
	s_cbranch_execz .LBB6_1116
; %bb.1086:                             ;   in Loop: Header=BB6_1005 Depth=2
	s_mov_b64 s[60:61], exec
	v_mbcnt_lo_u32_b32 v0, s60, 0
	v_mbcnt_hi_u32_b32 v0, s61, v0
	v_cmp_eq_u32_e32 vcc, 0, v0
	s_waitcnt lgkmcnt(0)
	s_and_saveexec_b64 s[58:59], vcc
	s_cbranch_execz .LBB6_1088
; %bb.1087:                             ;   in Loop: Header=BB6_1005 Depth=2
	s_bcnt1_i32_b64 vcc_lo, s[60:61]
	v_mov_b32_e32 v2, vcc_lo
	ds_add_u64 v0, v[2:3]
	s_trap 2
.LBB6_1088:                             ;   in Loop: Header=BB6_1005 Depth=2
	s_or_b64 exec, exec, s[58:59]
	s_trap 2
	ds_read_b64 v[0:1], v0
	v_lshl_add_u64 v[12:13], v[12:13], 0, v[34:35]
	s_waitcnt lgkmcnt(0)
	v_cmp_lt_u64_e32 vcc, v[0:1], v[12:13]
	s_and_saveexec_b64 s[58:59], vcc
	s_cbranch_execz .LBB6_1115
; %bb.1089:                             ;   in Loop: Header=BB6_1005 Depth=2
	s_mov_b32 s71, 0
	s_mov_b64 s[60:61], 0
                                        ; implicit-def: $sgpr62_sgpr63
                                        ; implicit-def: $sgpr64_sgpr65
	s_branch .LBB6_1091
.LBB6_1090:                             ;   in Loop: Header=BB6_1091 Depth=3
	s_or_b64 exec, exec, s[68:69]
	s_and_b64 vcc, exec, vcc
	s_or_b64 s[60:61], vcc, s[60:61]
	s_andn2_b64 vcc, s[62:63], exec
	s_and_b64 s[62:63], s[64:65], exec
	s_or_b64 s[62:63], vcc, s[62:63]
	s_andn2_b64 exec, exec, s[60:61]
	s_cbranch_execz .LBB6_1113
.LBB6_1091:                             ;   Parent Loop BB6_47 Depth=1
                                        ;     Parent Loop BB6_1005 Depth=2
                                        ; =>    This Inner Loop Header: Depth=3
	s_add_i32 s71, s71, 1
	s_cmpk_lg_i32 s71, 0x2710
	s_cselect_b64 s[66:67], -1, 0
	s_and_b64 vcc, exec, s[66:67]
                                        ; implicit-def: $sgpr68_sgpr69
	s_cbranch_vccnz .LBB6_1093
; %bb.1092:                             ;   in Loop: Header=BB6_1091 Depth=3
	s_trap 2
	ds_read_b64 v[0:1], v0
	s_andn2_b64 s[66:67], s[66:67], exec
	s_mov_b32 s71, 0
	s_mov_b64 s[68:69], -1
	s_waitcnt vmcnt(0) lgkmcnt(0)
	flat_load_dword v0, v[0:1] sc0 sc1
	s_waitcnt vmcnt(0) lgkmcnt(0)
	buffer_inv sc0 sc1
	v_cmp_eq_u32_e32 vcc, 0, v0
	s_and_b64 vcc, vcc, exec
	s_or_b64 s[66:67], s[66:67], vcc
.LBB6_1093:                             ;   in Loop: Header=BB6_1091 Depth=3
	s_andn2_b64 s[64:65], s[64:65], exec
	s_and_b64 s[68:69], s[68:69], exec
	s_mov_b64 vcc, -1
	s_or_b64 s[64:65], s[64:65], s[68:69]
	s_and_saveexec_b64 s[68:69], s[66:67]
	s_cbranch_execz .LBB6_1090
; %bb.1094:                             ;   in Loop: Header=BB6_1091 Depth=3
	s_sleep 1
	s_trap 2
	ds_read_b64 v[0:1], v0
	s_andn2_b64 s[64:65], s[64:65], exec
	s_waitcnt lgkmcnt(0)
	v_cmp_ge_u64_e32 vcc, v[0:1], v[12:13]
	s_orn2_b64 vcc, vcc, exec
	s_branch .LBB6_1090
.LBB6_1095:                             ;   in Loop: Header=BB6_1005 Depth=2
	v_ashrrev_i32_e32 v0, 31, v2
	v_lshrrev_b32_e32 v0, 21, v0
	v_add_u32_e32 v0, v2, v0
	v_ashrrev_i32_e32 v0, 11, v0
	v_sub_u32_e32 v30, v0, v58
	v_cmp_lt_i32_e32 vcc, 0, v30
	s_and_saveexec_b64 s[22:23], vcc
	s_cbranch_execz .LBB6_1099
; %bb.1096:                             ;   in Loop: Header=BB6_1005 Depth=2
	s_trap 2
	ds_read_b64 v[4:5], v0
	v_accvgpr_write_b32 a41, v11
	v_accvgpr_write_b32 a40, v10
	v_accvgpr_read_b32 v16, a34
	v_accvgpr_read_b32 v10, a30
	s_mov_b64 s[54:55], 0
	v_accvgpr_read_b32 v17, a35
	v_accvgpr_read_b32 v11, a31
.LBB6_1097:                             ;   Parent Loop BB6_47 Depth=1
                                        ;     Parent Loop BB6_1005 Depth=2
                                        ; =>    This Inner Loop Header: Depth=3
	s_waitcnt lgkmcnt(0)
	v_lshl_add_u64 v[6:7], v[14:15], 0, v[16:17]
	v_lshl_add_u64 v[18:19], v[4:5], 0, v[16:17]
	global_load_dwordx4 v[24:27], v[6:7], off nt
	global_load_dwordx4 v[52:55], v[18:19], off nt
	global_load_dwordx4 v[46:49], v[18:19], off offset:1024 nt
	global_load_dwordx4 v[36:39], v[6:7], off offset:1024 nt
	v_sub_u32_e32 v30, v30, v34
	v_cmp_gt_i32_e32 vcc, 1, v30
	v_lshl_add_u64 v[16:17], v[16:17], 0, v[10:11]
	s_or_b64 s[54:55], vcc, s[54:55]
	s_waitcnt vmcnt(0)
	v_mul_f16_e32 v1, v52, v24
	v_mul_f16_sdwa v6, v52, v24 dst_sel:WORD_1 dst_unused:UNUSED_PAD src0_sel:WORD_1 src1_sel:WORD_1
	v_mul_f16_e32 v7, v53, v25
	v_mul_f16_sdwa v24, v53, v25 dst_sel:WORD_1 dst_unused:UNUSED_PAD src0_sel:WORD_1 src1_sel:WORD_1
	;; [unrolled: 2-line block ×8, first 2 shown]
	v_or_b32_e32 v25, v24, v7
	v_or_b32_e32 v24, v6, v1
	;; [unrolled: 1-line block ×8, first 2 shown]
	global_store_dwordx4 v[18:19], v[24:27], off nt
	global_store_dwordx4 v[18:19], v[36:39], off offset:1024 nt
	s_andn2_b64 exec, exec, s[54:55]
	s_cbranch_execnz .LBB6_1097
; %bb.1098:                             ;   in Loop: Header=BB6_1005 Depth=2
	s_or_b64 exec, exec, s[54:55]
	v_accvgpr_read_b32 v49, a13
	v_accvgpr_read_b32 v47, a17
	;; [unrolled: 1-line block ×10, first 2 shown]
	v_mov_b32_e32 v38, 1
	v_accvgpr_read_b32 v11, a41
.LBB6_1099:                             ;   in Loop: Header=BB6_1005 Depth=2
	s_or_b64 exec, exec, s[22:23]
	v_lshlrev_b32_e32 v1, 11, v0
	v_cmp_ne_u32_e32 vcc, v2, v1
	s_mov_b64 s[56:57], 0
	v_mov_b32_e32 v25, 0
                                        ; implicit-def: $vgpr0
                                        ; implicit-def: $vgpr16
	s_and_saveexec_b64 s[54:55], vcc
	s_cbranch_execz .LBB6_1107
; %bb.1100:                             ;   in Loop: Header=BB6_1005 Depth=2
	v_lshlrev_b32_e32 v0, 6, v30
	v_accvgpr_read_b32 v5, a32
	v_sub_u32_e32 v0, v5, v0
	v_ashrrev_i32_e32 v5, 31, v0
	v_lshrrev_b32_e32 v5, 26, v5
	v_add_u32_e32 v5, v0, v5
	v_sub_u32_e32 v4, v2, v1
	v_ashrrev_i32_e32 v6, 6, v5
	v_and_b32_e32 v5, 0xffffffc0, v5
	v_sub_u32_e32 v18, v0, v5
	v_ashrrev_i32_e32 v5, 31, v4
	v_lshrrev_b32_e32 v5, 22, v5
	v_add_u32_e32 v5, v4, v5
	v_and_b32_e32 v19, 0xfffffc00, v5
	v_lshlrev_b32_e32 v0, 4, v18
	v_sub_u32_e32 v31, v4, v19
	v_lshl_add_u32 v16, v6, 10, v0
	v_ashrrev_i32_e32 v7, 10, v5
	v_cmp_lt_i32_e32 vcc, 15, v31
	v_sub_u32_e32 v0, v4, v16
	s_nop 0
	v_addc_co_u32_e64 v4, s[22:23], 0, v7, vcc
	v_sub_u32_e32 v30, v4, v6
	v_cmp_lt_i32_e64 s[22:23], 15, v0
	s_and_saveexec_b64 s[56:57], s[22:23]
	s_cbranch_execz .LBB6_1104
; %bb.1101:                             ;   in Loop: Header=BB6_1005 Depth=2
	s_trap 2
	ds_read_b64 v[4:5], v0
	v_add_u32_e32 v16, v16, v1
	v_ashrrev_i32_e32 v17, 31, v16
	s_mov_b64 s[58:59], 0
.LBB6_1102:                             ;   Parent Loop BB6_47 Depth=1
                                        ;     Parent Loop BB6_1005 Depth=2
                                        ; =>    This Inner Loop Header: Depth=3
	s_waitcnt lgkmcnt(0)
	v_lshl_add_u64 v[48:49], v[4:5], 0, v[16:17]
	v_lshl_add_u64 v[6:7], v[14:15], 0, v[16:17]
	global_load_dwordx4 v[24:27], v[48:49], off nt
	global_load_dwordx4 v[36:39], v[6:7], off nt
	v_sub_u32_e32 v0, v0, v62
	v_cmp_gt_i32_e64 s[22:23], 16, v0
	v_sub_u32_e32 v30, v30, v34
	v_lshl_add_u64 v[16:17], v[16:17], 0, v[42:43]
	s_or_b64 s[58:59], s[22:23], s[58:59]
	s_waitcnt vmcnt(0)
	v_mul_f16_e32 v6, v24, v36
	v_mul_f16_sdwa v7, v24, v36 dst_sel:WORD_1 dst_unused:UNUSED_PAD src0_sel:WORD_1 src1_sel:WORD_1
	v_mul_f16_e32 v24, v25, v37
	v_mul_f16_sdwa v25, v25, v37 dst_sel:WORD_1 dst_unused:UNUSED_PAD src0_sel:WORD_1 src1_sel:WORD_1
	;; [unrolled: 2-line block ×4, first 2 shown]
	v_or_b32_e32 v25, v25, v24
	v_or_b32_e32 v24, v7, v6
	;; [unrolled: 1-line block ×4, first 2 shown]
	global_store_dwordx4 v[48:49], v[24:27], off nt
	s_andn2_b64 exec, exec, s[58:59]
	s_cbranch_execnz .LBB6_1102
; %bb.1103:                             ;   in Loop: Header=BB6_1005 Depth=2
	s_or_b64 exec, exec, s[58:59]
	v_accvgpr_read_b32 v49, a13
	v_accvgpr_read_b32 v48, a12
	;; [unrolled: 1-line block ×3, first 2 shown]
	v_mov_b32_e32 v38, 1
.LBB6_1104:                             ;   in Loop: Header=BB6_1005 Depth=2
	s_or_b64 exec, exec, s[56:57]
	v_and_b32_e32 v4, 14, v2
	v_cndmask_b32_e32 v2, v31, v4, vcc
	v_cmp_ne_u32_e64 s[22:23], 0, v2
	s_mov_b64 s[56:57], 0
	v_mov_b32_e32 v25, 0
                                        ; implicit-def: $vgpr0
                                        ; implicit-def: $vgpr16
	s_and_saveexec_b64 s[58:59], s[22:23]
	s_cbranch_execz .LBB6_1106
; %bb.1105:                             ;   in Loop: Header=BB6_1005 Depth=2
	v_sub_u32_e32 v0, v31, v4
	v_cndmask_b32_e32 v0, 0, v0, vcc
	v_cmp_lt_i32_e32 vcc, 0, v30
	v_add3_u32 v25, v19, v1, v0
	s_mov_b64 s[56:57], exec
	v_cndmask_b32_e32 v0, 0, v34, vcc
	v_sub_u32_e32 v0, v0, v30
	v_lshl_add_u32 v0, v0, 6, v18
	v_ashrrev_i32_e32 v1, 31, v0
	v_lshrrev_b32_e32 v1, 26, v1
	v_add_u32_e32 v1, v0, v1
	v_ashrrev_i32_e32 v16, 6, v1
.LBB6_1106:                             ;   in Loop: Header=BB6_1005 Depth=2
	s_or_b64 exec, exec, s[58:59]
	s_and_b64 s[56:57], s[56:57], exec
.LBB6_1107:                             ;   in Loop: Header=BB6_1005 Depth=2
	s_or_b64 exec, exec, s[54:55]
	v_accvgpr_read_b32 v26, a30
	v_accvgpr_read_b32 v27, a31
	s_and_saveexec_b64 s[22:23], s[56:57]
	s_cbranch_execnz .LBB6_1074
.LBB6_1108:                             ;   in Loop: Header=BB6_1005 Depth=2
	s_or_b64 exec, exec, s[22:23]
	s_and_saveexec_b64 s[22:23], s[4:5]
	s_cbranch_execnz .LBB6_1084
.LBB6_1109:                             ;   in Loop: Header=BB6_1005 Depth=2
	s_or_b64 exec, exec, s[22:23]
	s_and_saveexec_b64 s[22:23], s[20:21]
	s_xor_b64 s[54:55], exec, s[22:23]
	s_cbranch_execz .LBB6_1120
.LBB6_1110:                             ;   in Loop: Header=BB6_1005 Depth=2
	v_and_b32_e32 v0, 16, v59
	v_cmp_lt_i32_e32 vcc, 0, v9
	v_cmp_ne_u32_e64 s[22:23], 0, v0
	s_and_b64 vcc, s[22:23], vcc
	s_and_saveexec_b64 s[22:23], vcc
	s_cbranch_execz .LBB6_1112
; %bb.1111:                             ;   in Loop: Header=BB6_1005 Depth=2
	buffer_wbl2 sc1
	s_waitcnt vmcnt(0) lgkmcnt(0)
	buffer_inv sc1
.LBB6_1112:                             ;   in Loop: Header=BB6_1005 Depth=2
	s_or_b64 exec, exec, s[22:23]
	s_andn2_saveexec_b64 s[22:23], s[54:55]
	s_cbranch_execz .LBB6_1139
	s_branch .LBB6_1121
.LBB6_1113:                             ;   in Loop: Header=BB6_1005 Depth=2
	s_or_b64 exec, exec, s[60:61]
	s_and_saveexec_b64 vcc, s[62:63]
	s_xor_b64 vcc, exec, vcc
	s_cbranch_execz .LBB6_1115
; %bb.1114:                             ;   in Loop: Header=BB6_1005 Depth=2
	ds_write_b32 v0, v38
	s_trap 2
.LBB6_1115:                             ;   in Loop: Header=BB6_1005 Depth=2
	s_or_b64 exec, exec, s[58:59]
	;;#ASMSTART
	s_wakeup
	;;#ASMEND
.LBB6_1116:                             ;   in Loop: Header=BB6_1005 Depth=2
	s_or_b64 exec, exec, s[56:57]
.LBB6_1117:                             ;   in Loop: Header=BB6_1005 Depth=2
	s_andn2_saveexec_b64 vcc, s[54:55]
	s_cbranch_execz .LBB6_1119
; %bb.1118:                             ;   in Loop: Header=BB6_1005 Depth=2
	s_waitcnt lgkmcnt(0)
	s_barrier
.LBB6_1119:                             ;   in Loop: Header=BB6_1005 Depth=2
	s_or_b64 exec, exec, vcc
	s_or_b64 exec, exec, s[22:23]
	s_and_saveexec_b64 s[22:23], s[20:21]
	s_xor_b64 s[54:55], exec, s[22:23]
	s_cbranch_execnz .LBB6_1110
.LBB6_1120:                             ;   in Loop: Header=BB6_1005 Depth=2
	s_andn2_saveexec_b64 s[22:23], s[54:55]
	s_cbranch_execz .LBB6_1139
.LBB6_1121:                             ;   in Loop: Header=BB6_1005 Depth=2
	s_and_saveexec_b64 vcc, s[38:39]
	s_xor_b64 s[54:55], exec, vcc
	s_cbranch_execz .LBB6_1136
; %bb.1122:                             ;   in Loop: Header=BB6_1005 Depth=2
	s_and_saveexec_b64 s[56:57], s[12:13]
	s_cbranch_execz .LBB6_1135
; %bb.1123:                             ;   in Loop: Header=BB6_1005 Depth=2
	s_mov_b64 s[60:61], exec
	v_mbcnt_lo_u32_b32 v0, s60, 0
	v_mbcnt_hi_u32_b32 v0, s61, v0
	v_cmp_eq_u32_e32 vcc, 0, v0
	;;#ASMSTART
	s_waitcnt lgkmcnt(0) vmcnt(0)
	;;#ASMEND
	s_and_saveexec_b64 s[58:59], vcc
	s_cbranch_execz .LBB6_1125
; %bb.1124:                             ;   in Loop: Header=BB6_1005 Depth=2
	s_bcnt1_i32_b64 vcc_lo, s[60:61]
	v_mov_b32_e32 v2, vcc_lo
	ds_add_u64 v0, v[2:3]
	s_trap 2
.LBB6_1125:                             ;   in Loop: Header=BB6_1005 Depth=2
	s_or_b64 exec, exec, s[58:59]
	s_trap 2
	ds_read_b64 v[0:1], v0
	v_lshl_add_u64 v[12:13], v[12:13], 0, v[34:35]
	s_waitcnt lgkmcnt(0)
	v_cmp_lt_u64_e32 vcc, v[0:1], v[12:13]
	s_and_saveexec_b64 s[58:59], vcc
	s_cbranch_execz .LBB6_1134
; %bb.1126:                             ;   in Loop: Header=BB6_1005 Depth=2
	s_mov_b32 s71, 0
	s_mov_b64 s[60:61], 0
                                        ; implicit-def: $sgpr62_sgpr63
                                        ; implicit-def: $sgpr64_sgpr65
	s_branch .LBB6_1128
.LBB6_1127:                             ;   in Loop: Header=BB6_1128 Depth=3
	s_or_b64 exec, exec, s[68:69]
	s_and_b64 vcc, exec, vcc
	s_or_b64 s[60:61], vcc, s[60:61]
	s_andn2_b64 vcc, s[62:63], exec
	s_and_b64 s[62:63], s[64:65], exec
	s_or_b64 s[62:63], vcc, s[62:63]
	s_andn2_b64 exec, exec, s[60:61]
	s_cbranch_execz .LBB6_1132
.LBB6_1128:                             ;   Parent Loop BB6_47 Depth=1
                                        ;     Parent Loop BB6_1005 Depth=2
                                        ; =>    This Inner Loop Header: Depth=3
	s_add_i32 s71, s71, 1
	s_cmpk_lg_i32 s71, 0x2710
	s_cselect_b64 s[66:67], -1, 0
	s_and_b64 vcc, exec, s[66:67]
                                        ; implicit-def: $sgpr68_sgpr69
	s_cbranch_vccnz .LBB6_1130
; %bb.1129:                             ;   in Loop: Header=BB6_1128 Depth=3
	s_trap 2
	ds_read_b64 v[0:1], v0
	s_andn2_b64 s[66:67], s[66:67], exec
	s_mov_b32 s71, 0
	s_mov_b64 s[68:69], -1
	s_waitcnt vmcnt(0) lgkmcnt(0)
	flat_load_dword v0, v[0:1] sc0 sc1
	s_waitcnt vmcnt(0) lgkmcnt(0)
	buffer_inv sc0 sc1
	v_cmp_eq_u32_e32 vcc, 0, v0
	s_and_b64 vcc, vcc, exec
	s_or_b64 s[66:67], s[66:67], vcc
.LBB6_1130:                             ;   in Loop: Header=BB6_1128 Depth=3
	s_andn2_b64 s[64:65], s[64:65], exec
	s_and_b64 s[68:69], s[68:69], exec
	s_mov_b64 vcc, -1
	s_or_b64 s[64:65], s[64:65], s[68:69]
	s_and_saveexec_b64 s[68:69], s[66:67]
	s_cbranch_execz .LBB6_1127
; %bb.1131:                             ;   in Loop: Header=BB6_1128 Depth=3
	s_sleep 1
	s_trap 2
	ds_read_b64 v[0:1], v0
	s_andn2_b64 s[64:65], s[64:65], exec
	s_waitcnt lgkmcnt(0)
	v_cmp_ge_u64_e32 vcc, v[0:1], v[12:13]
	s_orn2_b64 vcc, vcc, exec
	s_branch .LBB6_1127
.LBB6_1132:                             ;   in Loop: Header=BB6_1005 Depth=2
	s_or_b64 exec, exec, s[60:61]
	s_and_saveexec_b64 vcc, s[62:63]
	s_xor_b64 vcc, exec, vcc
	s_cbranch_execz .LBB6_1134
; %bb.1133:                             ;   in Loop: Header=BB6_1005 Depth=2
	ds_write_b32 v0, v38
	s_trap 2
.LBB6_1134:                             ;   in Loop: Header=BB6_1005 Depth=2
	s_or_b64 exec, exec, s[58:59]
	;;#ASMSTART
	s_wakeup
	;;#ASMEND
.LBB6_1135:                             ;   in Loop: Header=BB6_1005 Depth=2
	s_or_b64 exec, exec, s[56:57]
.LBB6_1136:                             ;   in Loop: Header=BB6_1005 Depth=2
	s_andn2_saveexec_b64 vcc, s[54:55]
	s_cbranch_execz .LBB6_1138
; %bb.1137:                             ;   in Loop: Header=BB6_1005 Depth=2
	;;#ASMSTART
	s_waitcnt lgkmcnt(0) vmcnt(0)
	;;#ASMEND
	s_barrier
.LBB6_1138:                             ;   in Loop: Header=BB6_1005 Depth=2
	s_or_b64 exec, exec, vcc
.LBB6_1139:                             ;   in Loop: Header=BB6_1005 Depth=2
	s_or_b64 exec, exec, s[22:23]
	v_and_b32_e32 v0, 32, v59
	v_cmp_ne_u32_e32 vcc, 0, v0
	s_and_saveexec_b64 s[22:23], vcc
	s_cbranch_execz .LBB6_1004
; %bb.1140:                             ;   in Loop: Header=BB6_1005 Depth=2
	v_lshl_add_u64 v[20:21], v[20:21], 0, 2
	flat_store_dwordx2 v[22:23], v[20:21] sc0 sc1
	s_branch .LBB6_1004
.LBB6_1141:                             ;   in Loop: Header=BB6_47 Depth=1
	s_or_b64 exec, exec, s[26:27]
.LBB6_1142:                             ;   in Loop: Header=BB6_47 Depth=1
	s_or_b64 exec, exec, s[24:25]
	v_cmp_gt_i32_e32 vcc, 2, v0
	s_and_saveexec_b64 s[24:25], vcc
	s_cbranch_execz .LBB6_46
; %bb.1143:                             ;   in Loop: Header=BB6_47 Depth=1
	v_cmp_eq_u32_e64 s[22:23], 0, v0
	s_mov_b64 s[26:27], 0
	s_branch .LBB6_1145
.LBB6_1144:                             ;   in Loop: Header=BB6_1145 Depth=2
	s_or_b64 exec, exec, s[22:23]
	v_add_u32_e32 v8, v29, v8
	s_mov_b64 s[22:23], 0
	s_andn2_b64 exec, exec, s[26:27]
	s_cbranch_execz .LBB6_45
.LBB6_1145:                             ;   Parent Loop BB6_47 Depth=1
                                        ; =>  This Loop Header: Depth=2
                                        ;       Child Loop BB6_1151 Depth 3
                                        ;       Child Loop BB6_1175 Depth 3
	;; [unrolled: 1-line block ×3, first 2 shown]
	v_and_b32_e32 v0, 4, v59
	s_mov_b64 s[54:55], -1
	v_cmp_ne_u32_e32 vcc, 0, v0
	s_and_saveexec_b64 s[28:29], vcc
	s_cbranch_execz .LBB6_1157
; %bb.1146:                             ;   in Loop: Header=BB6_1145 Depth=2
	v_lshl_add_u64 v[4:5], v[20:21], 0, 2
	v_cmp_lt_u64_e32 vcc, v[32:33], v[4:5]
	v_mov_b32_e32 v0, 1
	s_and_saveexec_b64 s[54:55], vcc
	s_cbranch_execz .LBB6_1156
; %bb.1147:                             ;   in Loop: Header=BB6_1145 Depth=2
	s_mov_b64 s[56:57], 0
	v_mov_b32_e32 v0, 0
                                        ; implicit-def: $sgpr58_sgpr59
	s_branch .LBB6_1151
.LBB6_1148:                             ;   in Loop: Header=BB6_1151 Depth=3
	s_or_b64 exec, exec, s[66:67]
	v_mov_b32_e32 v1, 0
	s_orn2_b64 s[64:65], s[64:65], exec
.LBB6_1149:                             ;   in Loop: Header=BB6_1151 Depth=3
	s_or_b64 exec, exec, s[62:63]
	s_andn2_b64 vcc, s[58:59], exec
	s_and_b64 s[58:59], s[64:65], exec
	s_or_b64 s[58:59], vcc, s[58:59]
	v_mov_b32_e32 v0, v1
.LBB6_1150:                             ;   in Loop: Header=BB6_1151 Depth=3
	s_or_b64 exec, exec, s[60:61]
	s_waitcnt vmcnt(0) lgkmcnt(0)
	v_cmp_ge_u64_e32 vcc, v[32:33], v[4:5]
	s_xor_b64 s[60:61], s[58:59], -1
	s_or_b64 vcc, s[60:61], vcc
	s_and_b64 vcc, exec, vcc
	s_or_b64 s[56:57], vcc, s[56:57]
	s_andn2_b64 exec, exec, s[56:57]
	s_cbranch_execz .LBB6_1155
.LBB6_1151:                             ;   Parent Loop BB6_47 Depth=1
                                        ;     Parent Loop BB6_1145 Depth=2
                                        ; =>    This Inner Loop Header: Depth=3
	s_sleep 1
	flat_load_dwordx2 v[32:33], v[22:23] sc0 sc1
	v_and_b32_e32 v1, 64, v59
	v_cmp_eq_u32_e32 vcc, 0, v1
	s_andn2_b64 s[58:59], s[58:59], exec
	s_and_saveexec_b64 s[60:61], vcc
	s_cbranch_execz .LBB6_1150
; %bb.1152:                             ;   in Loop: Header=BB6_1151 Depth=3
	v_add_u32_e32 v1, 1, v0
	v_cmp_lt_i32_e32 vcc, s82, v0
	s_mov_b64 s[64:65], -1
	s_and_saveexec_b64 s[62:63], vcc
	s_cbranch_execz .LBB6_1149
; %bb.1153:                             ;   in Loop: Header=BB6_1151 Depth=3
	s_trap 2
	ds_read_b64 v[0:1], v0
	s_waitcnt vmcnt(0) lgkmcnt(0)
	flat_load_dword v0, v[0:1] sc0 sc1
	s_waitcnt vmcnt(0) lgkmcnt(0)
	buffer_inv sc0 sc1
	v_cmp_ne_u32_e32 vcc, 0, v0
	s_and_saveexec_b64 s[66:67], vcc
	s_cbranch_execz .LBB6_1148
; %bb.1154:                             ;   in Loop: Header=BB6_1151 Depth=3
	v_or_b32_e32 v59, 64, v59
	s_xor_b64 s[64:65], exec, -1
	ds_write_b32 v0, v0
	s_trap 2
	s_branch .LBB6_1148
.LBB6_1155:                             ;   in Loop: Header=BB6_1145 Depth=2
	s_or_b64 exec, exec, s[56:57]
	v_and_b32_e32 v0, 4, v59
.LBB6_1156:                             ;   in Loop: Header=BB6_1145 Depth=2
	s_or_b64 exec, exec, s[54:55]
	v_cmp_eq_u32_e32 vcc, 0, v0
	s_orn2_b64 s[54:55], vcc, exec
	;;#ASMSTART
	s_wakeup
	;;#ASMEND
.LBB6_1157:                             ;   in Loop: Header=BB6_1145 Depth=2
	s_or_b64 exec, exec, s[28:29]
	s_xor_b64 s[22:23], s[22:23], -1
	s_and_b64 s[22:23], exec, s[22:23]
	s_or_b64 s[26:27], s[22:23], s[26:27]
	s_xor_b64 s[22:23], s[54:55], -1
	s_and_saveexec_b64 s[28:29], s[22:23]
	s_cbranch_execz .LBB6_1167
; %bb.1158:                             ;   in Loop: Header=BB6_1145 Depth=2
	v_and_b32_e32 v0, 0x100, v59
	v_cmp_ne_u32_e32 vcc, 0, v0
	v_and_b32_e32 v0, 7, v20
	s_mov_b64 s[22:23], -1
                                        ; implicit-def: $vgpr4_vgpr5
	s_and_saveexec_b64 s[54:55], vcc
	s_cbranch_execz .LBB6_1162
; %bb.1159:                             ;   in Loop: Header=BB6_1145 Depth=2
	v_mad_u64_u32 v[10:11], s[22:23], v0, 24, v[48:49]
	flat_load_dword v1, v[10:11]
                                        ; implicit-def: $vgpr4_vgpr5
	s_waitcnt vmcnt(0) lgkmcnt(0)
	v_cmp_ne_u32_e32 vcc, 1, v1
	v_cmp_eq_u32_e64 s[22:23], 1, v1
	s_and_saveexec_b64 s[56:57], s[22:23]
	s_cbranch_execz .LBB6_1161
; %bb.1160:                             ;   in Loop: Header=BB6_1145 Depth=2
	flat_load_dword v4, v[10:11] offset:4 sc0 sc1
	s_waitcnt vmcnt(0) lgkmcnt(0)
	v_ashrrev_i32_e32 v5, 31, v4
	v_lshrrev_b64 v[4:5], 1, v[4:5]
.LBB6_1161:                             ;   in Loop: Header=BB6_1145 Depth=2
	s_or_b64 exec, exec, s[56:57]
	s_orn2_b64 s[22:23], vcc, exec
.LBB6_1162:                             ;   in Loop: Header=BB6_1145 Depth=2
	s_or_b64 exec, exec, s[54:55]
	s_and_saveexec_b64 vcc, s[22:23]
; %bb.1163:                             ;   in Loop: Header=BB6_1145 Depth=2
	v_mad_i64_i32 v[4:5], s[22:23], v0, v56, 0
; %bb.1164:                             ;   in Loop: Header=BB6_1145 Depth=2
	s_or_b64 exec, exec, vcc
	v_lshl_add_u64 v[0:1], v[4:5], 1, v[46:47]
	ds_write_b64 v0, v[0:1] offset:720
	v_and_b32_e32 v0, 0x2000, v59
	v_cmp_ne_u32_e32 vcc, 0, v0
	s_and_saveexec_b64 s[22:23], vcc
	s_cbranch_execz .LBB6_1166
; %bb.1165:                             ;   in Loop: Header=BB6_1145 Depth=2
	ds_read_b64 v[0:1], v0 offset:584
	s_waitcnt lgkmcnt(0)
	v_lshl_add_u64 v[0:1], v[0:1], 0, 1
	ds_write_b64 v0, v[0:1] offset:584
.LBB6_1166:                             ;   in Loop: Header=BB6_1145 Depth=2
	s_or_b64 exec, exec, s[22:23]
	v_lshl_add_u64 v[20:21], v[20:21], 0, 2
.LBB6_1167:                             ;   in Loop: Header=BB6_1145 Depth=2
	s_or_b64 exec, exec, s[28:29]
	s_and_saveexec_b64 s[22:23], s[4:5]
	s_cbranch_execz .LBB6_1186
; %bb.1168:                             ;   in Loop: Header=BB6_1145 Depth=2
	s_and_saveexec_b64 s[28:29], s[38:39]
	s_xor_b64 s[28:29], exec, s[28:29]
	s_cbranch_execz .LBB6_1183
; %bb.1169:                             ;   in Loop: Header=BB6_1145 Depth=2
	s_and_saveexec_b64 s[54:55], s[12:13]
	s_cbranch_execz .LBB6_1182
; %bb.1170:                             ;   in Loop: Header=BB6_1145 Depth=2
	s_mov_b64 s[58:59], exec
	v_mbcnt_lo_u32_b32 v0, s58, 0
	v_mbcnt_hi_u32_b32 v0, s59, v0
	v_cmp_eq_u32_e32 vcc, 0, v0
	s_waitcnt lgkmcnt(0)
	s_and_saveexec_b64 s[56:57], vcc
	s_cbranch_execz .LBB6_1172
; %bb.1171:                             ;   in Loop: Header=BB6_1145 Depth=2
	s_bcnt1_i32_b64 vcc_lo, s[58:59]
	v_mov_b32_e32 v2, vcc_lo
	ds_add_u64 v0, v[2:3]
	s_trap 2
.LBB6_1172:                             ;   in Loop: Header=BB6_1145 Depth=2
	s_or_b64 exec, exec, s[56:57]
	s_trap 2
	ds_read_b64 v[0:1], v0
	v_lshl_add_u64 v[12:13], v[12:13], 0, v[34:35]
	s_waitcnt lgkmcnt(0)
	v_cmp_lt_u64_e32 vcc, v[0:1], v[12:13]
	s_and_saveexec_b64 s[56:57], vcc
	s_cbranch_execz .LBB6_1181
; %bb.1173:                             ;   in Loop: Header=BB6_1145 Depth=2
	s_mov_b32 s68, 0
	s_mov_b64 s[58:59], 0
                                        ; implicit-def: $sgpr60_sgpr61
                                        ; implicit-def: $sgpr62_sgpr63
	s_branch .LBB6_1175
.LBB6_1174:                             ;   in Loop: Header=BB6_1175 Depth=3
	s_or_b64 exec, exec, s[66:67]
	s_and_b64 vcc, exec, vcc
	s_or_b64 s[58:59], vcc, s[58:59]
	s_andn2_b64 vcc, s[60:61], exec
	s_and_b64 s[60:61], s[62:63], exec
	s_or_b64 s[60:61], vcc, s[60:61]
	s_andn2_b64 exec, exec, s[58:59]
	s_cbranch_execz .LBB6_1179
.LBB6_1175:                             ;   Parent Loop BB6_47 Depth=1
                                        ;     Parent Loop BB6_1145 Depth=2
                                        ; =>    This Inner Loop Header: Depth=3
	s_add_i32 s68, s68, 1
	s_cmpk_lg_i32 s68, 0x2710
	s_cselect_b64 s[64:65], -1, 0
	s_and_b64 vcc, exec, s[64:65]
                                        ; implicit-def: $sgpr66_sgpr67
	s_cbranch_vccnz .LBB6_1177
; %bb.1176:                             ;   in Loop: Header=BB6_1175 Depth=3
	s_trap 2
	ds_read_b64 v[0:1], v0
	s_andn2_b64 s[64:65], s[64:65], exec
	s_mov_b32 s68, 0
	s_mov_b64 s[66:67], -1
	s_waitcnt vmcnt(0) lgkmcnt(0)
	flat_load_dword v0, v[0:1] sc0 sc1
	s_waitcnt vmcnt(0) lgkmcnt(0)
	buffer_inv sc0 sc1
	v_cmp_eq_u32_e32 vcc, 0, v0
	s_and_b64 vcc, vcc, exec
	s_or_b64 s[64:65], s[64:65], vcc
.LBB6_1177:                             ;   in Loop: Header=BB6_1175 Depth=3
	s_andn2_b64 s[62:63], s[62:63], exec
	s_and_b64 s[66:67], s[66:67], exec
	s_mov_b64 vcc, -1
	s_or_b64 s[62:63], s[62:63], s[66:67]
	s_and_saveexec_b64 s[66:67], s[64:65]
	s_cbranch_execz .LBB6_1174
; %bb.1178:                             ;   in Loop: Header=BB6_1175 Depth=3
	s_sleep 1
	s_trap 2
	ds_read_b64 v[0:1], v0
	s_andn2_b64 s[62:63], s[62:63], exec
	s_waitcnt lgkmcnt(0)
	v_cmp_ge_u64_e32 vcc, v[0:1], v[12:13]
	s_orn2_b64 vcc, vcc, exec
	s_branch .LBB6_1174
.LBB6_1179:                             ;   in Loop: Header=BB6_1145 Depth=2
	s_or_b64 exec, exec, s[58:59]
	s_and_saveexec_b64 vcc, s[60:61]
	s_xor_b64 vcc, exec, vcc
	s_cbranch_execz .LBB6_1181
; %bb.1180:                             ;   in Loop: Header=BB6_1145 Depth=2
	ds_write_b32 v0, v38
	s_trap 2
.LBB6_1181:                             ;   in Loop: Header=BB6_1145 Depth=2
	s_or_b64 exec, exec, s[56:57]
	;;#ASMSTART
	s_wakeup
	;;#ASMEND
.LBB6_1182:                             ;   in Loop: Header=BB6_1145 Depth=2
	s_or_b64 exec, exec, s[54:55]
.LBB6_1183:                             ;   in Loop: Header=BB6_1145 Depth=2
	s_andn2_saveexec_b64 s[28:29], s[28:29]
	s_cbranch_execz .LBB6_1185
; %bb.1184:                             ;   in Loop: Header=BB6_1145 Depth=2
	s_waitcnt lgkmcnt(0)
	s_barrier
.LBB6_1185:                             ;   in Loop: Header=BB6_1145 Depth=2
	s_or_b64 exec, exec, s[28:29]
.LBB6_1186:                             ;   in Loop: Header=BB6_1145 Depth=2
	s_or_b64 exec, exec, s[22:23]
	v_sub_u32_e32 v0, v28, v8
	v_min_i32_e32 v29, v29, v0
	s_and_saveexec_b64 s[22:23], s[20:21]
	s_xor_b64 s[22:23], exec, s[22:23]
	s_cbranch_execz .LBB6_1190
; %bb.1187:                             ;   in Loop: Header=BB6_1145 Depth=2
	s_trap 2
	ds_read_b32 v0, v0
	v_cmp_lt_i32_e32 vcc, 0, v29
	v_and_b32_e32 v1, 16, v59
	s_waitcnt lgkmcnt(0)
	v_readfirstlane_b32 s28, v0
	s_cmp_eq_u32 s28, 0
	s_cselect_b64 s[28:29], -1, 0
	s_and_b64 s[28:29], vcc, s[28:29]
	v_cmp_ne_u32_e32 vcc, 0, v1
	s_and_b64 vcc, vcc, s[28:29]
	s_and_saveexec_b64 s[28:29], vcc
	s_cbranch_execz .LBB6_1189
; %bb.1188:                             ;   in Loop: Header=BB6_1145 Depth=2
	buffer_wbl2 sc1
	s_waitcnt vmcnt(0)
	buffer_inv sc1
.LBB6_1189:                             ;   in Loop: Header=BB6_1145 Depth=2
	s_or_b64 exec, exec, s[28:29]
.LBB6_1190:                             ;   in Loop: Header=BB6_1145 Depth=2
	s_andn2_saveexec_b64 s[22:23], s[22:23]
	s_cbranch_execz .LBB6_1209
; %bb.1191:                             ;   in Loop: Header=BB6_1145 Depth=2
	s_and_saveexec_b64 s[28:29], s[38:39]
	s_xor_b64 s[28:29], exec, s[28:29]
	s_cbranch_execz .LBB6_1206
; %bb.1192:                             ;   in Loop: Header=BB6_1145 Depth=2
	s_and_saveexec_b64 s[54:55], s[12:13]
	s_cbranch_execz .LBB6_1205
; %bb.1193:                             ;   in Loop: Header=BB6_1145 Depth=2
	s_mov_b64 s[58:59], exec
	v_mbcnt_lo_u32_b32 v0, s58, 0
	v_mbcnt_hi_u32_b32 v0, s59, v0
	v_cmp_eq_u32_e32 vcc, 0, v0
	;;#ASMSTART
	s_waitcnt lgkmcnt(0) vmcnt(0)
	;;#ASMEND
	s_and_saveexec_b64 s[56:57], vcc
	s_cbranch_execz .LBB6_1195
; %bb.1194:                             ;   in Loop: Header=BB6_1145 Depth=2
	s_bcnt1_i32_b64 vcc_lo, s[58:59]
	v_mov_b32_e32 v2, vcc_lo
	ds_add_u64 v0, v[2:3]
	s_trap 2
.LBB6_1195:                             ;   in Loop: Header=BB6_1145 Depth=2
	s_or_b64 exec, exec, s[56:57]
	s_trap 2
	ds_read_b64 v[0:1], v0
	v_lshl_add_u64 v[12:13], v[12:13], 0, v[34:35]
	s_waitcnt lgkmcnt(0)
	v_cmp_lt_u64_e32 vcc, v[0:1], v[12:13]
	s_and_saveexec_b64 s[56:57], vcc
	s_cbranch_execz .LBB6_1204
; %bb.1196:                             ;   in Loop: Header=BB6_1145 Depth=2
	s_mov_b32 s68, 0
	s_mov_b64 s[58:59], 0
                                        ; implicit-def: $sgpr60_sgpr61
                                        ; implicit-def: $sgpr62_sgpr63
	s_branch .LBB6_1198
.LBB6_1197:                             ;   in Loop: Header=BB6_1198 Depth=3
	s_or_b64 exec, exec, s[66:67]
	s_and_b64 vcc, exec, vcc
	s_or_b64 s[58:59], vcc, s[58:59]
	s_andn2_b64 vcc, s[60:61], exec
	s_and_b64 s[60:61], s[62:63], exec
	s_or_b64 s[60:61], vcc, s[60:61]
	s_andn2_b64 exec, exec, s[58:59]
	s_cbranch_execz .LBB6_1202
.LBB6_1198:                             ;   Parent Loop BB6_47 Depth=1
                                        ;     Parent Loop BB6_1145 Depth=2
                                        ; =>    This Inner Loop Header: Depth=3
	s_add_i32 s68, s68, 1
	s_cmpk_lg_i32 s68, 0x2710
	s_cselect_b64 s[64:65], -1, 0
	s_and_b64 vcc, exec, s[64:65]
                                        ; implicit-def: $sgpr66_sgpr67
	s_cbranch_vccnz .LBB6_1200
; %bb.1199:                             ;   in Loop: Header=BB6_1198 Depth=3
	s_trap 2
	ds_read_b64 v[0:1], v0
	s_andn2_b64 s[64:65], s[64:65], exec
	s_mov_b32 s68, 0
	s_mov_b64 s[66:67], -1
	s_waitcnt vmcnt(0) lgkmcnt(0)
	flat_load_dword v0, v[0:1] sc0 sc1
	s_waitcnt vmcnt(0) lgkmcnt(0)
	buffer_inv sc0 sc1
	v_cmp_eq_u32_e32 vcc, 0, v0
	s_and_b64 vcc, vcc, exec
	s_or_b64 s[64:65], s[64:65], vcc
.LBB6_1200:                             ;   in Loop: Header=BB6_1198 Depth=3
	s_andn2_b64 s[62:63], s[62:63], exec
	s_and_b64 s[66:67], s[66:67], exec
	s_mov_b64 vcc, -1
	s_or_b64 s[62:63], s[62:63], s[66:67]
	s_and_saveexec_b64 s[66:67], s[64:65]
	s_cbranch_execz .LBB6_1197
; %bb.1201:                             ;   in Loop: Header=BB6_1198 Depth=3
	s_sleep 1
	s_trap 2
	ds_read_b64 v[0:1], v0
	s_andn2_b64 s[62:63], s[62:63], exec
	s_waitcnt lgkmcnt(0)
	v_cmp_ge_u64_e32 vcc, v[0:1], v[12:13]
	s_orn2_b64 vcc, vcc, exec
	s_branch .LBB6_1197
.LBB6_1202:                             ;   in Loop: Header=BB6_1145 Depth=2
	s_or_b64 exec, exec, s[58:59]
	s_and_saveexec_b64 vcc, s[60:61]
	s_xor_b64 vcc, exec, vcc
	s_cbranch_execz .LBB6_1204
; %bb.1203:                             ;   in Loop: Header=BB6_1145 Depth=2
	ds_write_b32 v0, v38
	s_trap 2
.LBB6_1204:                             ;   in Loop: Header=BB6_1145 Depth=2
	s_or_b64 exec, exec, s[56:57]
	;;#ASMSTART
	s_wakeup
	;;#ASMEND
.LBB6_1205:                             ;   in Loop: Header=BB6_1145 Depth=2
	s_or_b64 exec, exec, s[54:55]
.LBB6_1206:                             ;   in Loop: Header=BB6_1145 Depth=2
	s_andn2_saveexec_b64 s[28:29], s[28:29]
	s_cbranch_execz .LBB6_1208
; %bb.1207:                             ;   in Loop: Header=BB6_1145 Depth=2
	;;#ASMSTART
	s_waitcnt lgkmcnt(0) vmcnt(0)
	;;#ASMEND
	s_barrier
.LBB6_1208:                             ;   in Loop: Header=BB6_1145 Depth=2
	s_or_b64 exec, exec, s[28:29]
.LBB6_1209:                             ;   in Loop: Header=BB6_1145 Depth=2
	s_or_b64 exec, exec, s[22:23]
	v_and_b32_e32 v0, 32, v59
	v_cmp_ne_u32_e32 vcc, 0, v0
	s_and_saveexec_b64 s[22:23], vcc
	s_cbranch_execz .LBB6_1144
; %bb.1210:                             ;   in Loop: Header=BB6_1145 Depth=2
	v_lshl_add_u64 v[20:21], v[20:21], 0, 2
	flat_store_dwordx2 v[22:23], v[20:21] sc0 sc1
	s_branch .LBB6_1144
.LBB6_1211:
	s_or_b64 exec, exec, s[36:37]
	v_accvgpr_read_b32 v25, a11
	v_accvgpr_read_b32 v18, a0
	v_accvgpr_read_b32 v31, a1
	v_accvgpr_read_b32 v15, a2
	v_accvgpr_read_b32 v24, a10
.LBB6_1212:
	s_or_b64 exec, exec, s[34:35]
	v_and_b32_e32 v0, 0x800, v59
	v_cmp_eq_u32_e32 vcc, 0, v0
	s_and_saveexec_b64 s[0:1], vcc
	s_cbranch_execz .LBB6_1247
; %bb.1213:
	v_and_b32_e32 v0, 48, v59
	v_cmp_ne_u32_e32 vcc, 0, v0
	s_and_saveexec_b64 s[2:3], vcc
	s_cbranch_execz .LBB6_1215
; %bb.1214:
	flat_store_dwordx2 v[24:25], v[20:21] offset:104
.LBB6_1215:
	s_or_b64 exec, exec, s[2:3]
	s_movk_i32 s2, 0x88
	v_and_b32_e32 v0, 0x88, v59
	v_cmp_eq_u32_e32 vcc, s2, v0
	s_and_saveexec_b64 s[2:3], vcc
	s_cbranch_execz .LBB6_1227
; %bb.1216:
	v_add_u32_e32 v0, 6, v20
	v_and_b32_e32 v0, 7, v0
	v_mad_u64_u32 v[0:1], s[4:5], v0, 24, v[48:49]
	v_lshl_add_u64 v[2:3], v[0:1], 0, 8
	s_mov_b64 s[4:5], 0
	v_mov_b32_e32 v0, 0
	s_movk_i32 s20, 0x270e
                                        ; implicit-def: $sgpr6_sgpr7
	s_branch .LBB6_1221
.LBB6_1217:                             ;   in Loop: Header=BB6_1221 Depth=1
	s_or_b64 exec, exec, s[18:19]
	v_mov_b32_e32 v1, 0
	s_orn2_b64 s[16:17], s[16:17], exec
.LBB6_1218:                             ;   in Loop: Header=BB6_1221 Depth=1
	s_or_b64 exec, exec, s[14:15]
	s_and_b64 s[14:15], s[16:17], exec
	v_mov_b32_e32 v0, v1
.LBB6_1219:                             ;   in Loop: Header=BB6_1221 Depth=1
	s_or_b64 exec, exec, s[12:13]
	s_xor_b64 s[12:13], s[14:15], -1
	s_andn2_b64 s[6:7], s[6:7], exec
	s_and_b64 s[12:13], s[12:13], exec
	s_or_b64 s[6:7], s[6:7], s[12:13]
.LBB6_1220:                             ;   in Loop: Header=BB6_1221 Depth=1
	s_or_b64 exec, exec, s[10:11]
	s_and_b64 s[10:11], exec, s[6:7]
	s_or_b64 s[4:5], s[10:11], s[4:5]
	s_andn2_b64 exec, exec, s[4:5]
	s_cbranch_execz .LBB6_1226
.LBB6_1221:                             ; =>This Inner Loop Header: Depth=1
	flat_load_dwordx2 v[4:5], v[2:3] sc0 sc1
	s_waitcnt vmcnt(0)
	s_or_b64 s[6:7], s[6:7], exec
	s_waitcnt lgkmcnt(0)
	v_cmp_ne_u64_e32 vcc, -1, v[4:5]
	s_and_saveexec_b64 s[10:11], vcc
	s_cbranch_execz .LBB6_1220
; %bb.1222:                             ;   in Loop: Header=BB6_1221 Depth=1
	v_and_b32_e32 v1, 64, v59
	v_cmp_eq_u32_e32 vcc, 0, v1
	s_mov_b64 s[14:15], 0
	s_and_saveexec_b64 s[12:13], vcc
	s_cbranch_execz .LBB6_1219
; %bb.1223:                             ;   in Loop: Header=BB6_1221 Depth=1
	v_add_u32_e32 v1, 1, v0
	v_cmp_lt_i32_e32 vcc, s20, v0
	s_mov_b64 s[16:17], -1
	s_and_saveexec_b64 s[14:15], vcc
	s_cbranch_execz .LBB6_1218
; %bb.1224:                             ;   in Loop: Header=BB6_1221 Depth=1
	s_trap 2
	ds_read_b64 v[0:1], v0
	s_waitcnt lgkmcnt(0)
	flat_load_dword v0, v[0:1] sc0 sc1
	s_waitcnt vmcnt(0) lgkmcnt(0)
	buffer_inv sc0 sc1
	v_cmp_ne_u32_e32 vcc, 0, v0
	s_and_saveexec_b64 s[18:19], vcc
	s_cbranch_execz .LBB6_1217
; %bb.1225:                             ;   in Loop: Header=BB6_1221 Depth=1
	v_or_b32_e32 v59, 64, v59
	s_xor_b64 s[16:17], exec, -1
	ds_write_b32 v0, v0
	s_trap 2
	s_branch .LBB6_1217
.LBB6_1226:
	s_or_b64 exec, exec, s[4:5]
.LBB6_1227:
	s_or_b64 exec, exec, s[2:3]
	v_and_b32_e32 v0, 0x2000, v59
	v_cmp_ne_u32_e32 vcc, 0, v0
	s_and_saveexec_b64 s[2:3], vcc
	s_cbranch_execz .LBB6_1229
; %bb.1228:
	s_trap 2
	ds_read_b64 v[0:1], v0
	v_accvgpr_read_b32 v2, a8
	v_accvgpr_read_b32 v3, a9
	s_waitcnt lgkmcnt(0)
	flat_store_dwordx2 v[2:3], v[0:1] offset:16
.LBB6_1229:
	s_or_b64 exec, exec, s[2:3]
	v_cmp_ne_u32_e32 vcc, 64, v18
	s_and_b64 exec, exec, vcc
	s_cbranch_execz .LBB6_1247
; %bb.1230:
	v_cmp_ne_u32_sdwa s[2:3], v15, v18 src0_sel:WORD_0 src1_sel:DWORD
	s_and_saveexec_b64 s[4:5], s[2:3]
	s_xor_b64 s[2:3], exec, s[4:5]
	s_cbranch_execz .LBB6_1245
; %bb.1231:
	v_and_b32_e32 v0, 63, v31
	v_cmp_eq_u32_e32 vcc, 0, v0
	s_and_saveexec_b64 s[4:5], vcc
	s_cbranch_execz .LBB6_1244
; %bb.1232:
	s_mov_b64 s[10:11], exec
	v_mbcnt_lo_u32_b32 v0, s10, 0
	v_mbcnt_hi_u32_b32 v0, s11, v0
	v_cmp_eq_u32_e32 vcc, 0, v0
	s_waitcnt lgkmcnt(0)
	s_and_saveexec_b64 s[6:7], vcc
	s_cbranch_execz .LBB6_1234
; %bb.1233:
	s_bcnt1_i32_b64 s10, s[10:11]
	v_mov_b32_e32 v0, s10
	v_mov_b32_e32 v1, 0
	ds_add_u64 v0, v[0:1]
	s_trap 2
.LBB6_1234:
	s_or_b64 exec, exec, s[6:7]
	v_ashrrev_i32_e32 v0, 31, v18
	v_lshrrev_b32_e32 v0, 26, v0
	s_trap 2
	ds_read_b64 v[2:3], v0
	v_add_u32_e32 v0, v18, v0
	v_ashrrev_i32_e32 v0, 6, v0
	v_ashrrev_i32_e32 v1, 31, v0
	v_lshl_add_u64 v[0:1], v[12:13], 0, v[0:1]
	s_waitcnt lgkmcnt(0)
	v_cmp_lt_u64_e32 vcc, v[2:3], v[0:1]
	s_and_saveexec_b64 s[6:7], vcc
	s_cbranch_execz .LBB6_1243
; %bb.1235:
	s_mov_b32 s22, 0
	s_mov_b64 s[10:11], 0
                                        ; implicit-def: $sgpr12_sgpr13
                                        ; implicit-def: $sgpr14_sgpr15
	s_branch .LBB6_1237
.LBB6_1236:                             ;   in Loop: Header=BB6_1237 Depth=1
	s_or_b64 exec, exec, s[20:21]
	s_and_b64 s[16:17], exec, s[18:19]
	s_or_b64 s[10:11], s[16:17], s[10:11]
	s_andn2_b64 s[12:13], s[12:13], exec
	s_and_b64 s[16:17], s[14:15], exec
	s_or_b64 s[12:13], s[12:13], s[16:17]
	s_andn2_b64 exec, exec, s[10:11]
	s_cbranch_execz .LBB6_1241
.LBB6_1237:                             ; =>This Inner Loop Header: Depth=1
	s_add_i32 s22, s22, 1
	s_cmpk_lg_i32 s22, 0x2710
	s_cselect_b64 s[16:17], -1, 0
	s_and_b64 vcc, exec, s[16:17]
                                        ; implicit-def: $sgpr20_sgpr21
	s_cbranch_vccnz .LBB6_1239
; %bb.1238:                             ;   in Loop: Header=BB6_1237 Depth=1
	s_trap 2
	ds_read_b64 v[2:3], v0
	s_andn2_b64 s[16:17], s[16:17], exec
	s_mov_b32 s22, 0
	s_mov_b64 s[20:21], -1
	s_waitcnt vmcnt(0) lgkmcnt(0)
	flat_load_dword v2, v[2:3] sc0 sc1
	s_waitcnt vmcnt(0) lgkmcnt(0)
	buffer_inv sc0 sc1
	v_cmp_eq_u32_e32 vcc, 0, v2
	s_and_b64 s[18:19], vcc, exec
	s_or_b64 s[16:17], s[16:17], s[18:19]
.LBB6_1239:                             ;   in Loop: Header=BB6_1237 Depth=1
	s_andn2_b64 s[14:15], s[14:15], exec
	s_and_b64 s[20:21], s[20:21], exec
	s_mov_b64 s[18:19], -1
	s_or_b64 s[14:15], s[14:15], s[20:21]
	s_and_saveexec_b64 s[20:21], s[16:17]
	s_cbranch_execz .LBB6_1236
; %bb.1240:                             ;   in Loop: Header=BB6_1237 Depth=1
	s_sleep 1
	s_trap 2
	ds_read_b64 v[2:3], v0
	s_andn2_b64 s[14:15], s[14:15], exec
	s_waitcnt lgkmcnt(0)
	v_cmp_ge_u64_e32 vcc, v[2:3], v[0:1]
	s_orn2_b64 s[18:19], vcc, exec
	s_branch .LBB6_1236
.LBB6_1241:
	s_or_b64 exec, exec, s[10:11]
	s_and_saveexec_b64 s[10:11], s[12:13]
	s_xor_b64 s[10:11], exec, s[10:11]
	s_cbranch_execz .LBB6_1243
; %bb.1242:
	v_mov_b32_e32 v0, 1
	ds_write_b32 v0, v0
	s_trap 2
.LBB6_1243:
	s_or_b64 exec, exec, s[6:7]
	;;#ASMSTART
	s_wakeup
	;;#ASMEND
.LBB6_1244:
	s_or_b64 exec, exec, s[4:5]
.LBB6_1245:
	s_andn2_saveexec_b64 s[2:3], s[2:3]
	s_cbranch_execz .LBB6_1247
; %bb.1246:
	s_waitcnt lgkmcnt(0)
	s_barrier
.LBB6_1247:
	s_or_b64 exec, exec, s[0:1]
.LBB6_1248:
	s_andn2_saveexec_b64 s[22:23], s[30:31]
	s_cbranch_execz .LBB6_1250
; %bb.1249:
	s_getpc_b64 s[0:1]
	s_add_u32 s0, s0, __PRETTY_FUNCTION__._ZN10PrimitivesI6__half8FuncProdIS0_E12FanSymmetricILi1EELi0E11ProtoSimpleILi2ELi2ELi1ELi1ELi0ELi0EELi0ELb0ELi0ELi0ELi1EEC2EiiPKiS9_PKvPvmhhhP15ncclDevWorkCollP14ncclDevWorkP2pii@rel32@lo+4
	s_addc_u32 s1, s1, __PRETTY_FUNCTION__._ZN10PrimitivesI6__half8FuncProdIS0_E12FanSymmetricILi1EELi0E11ProtoSimpleILi2ELi2ELi1ELi1ELi0ELi0EELi0ELb0ELi0ELi0ELi1EEC2EiiPKiS9_PKvPvmhhhP15ncclDevWorkCollP14ncclDevWorkP2pii@rel32@hi+12
	v_mov_b32_e32 v0, s0
	v_mov_b32_e32 v1, s1
	s_getpc_b64 s[2:3]
	s_add_u32 s2, s2, __assert_fail@rel32@lo+4
	s_addc_u32 s3, s3, __assert_fail@rel32@hi+12
	s_swappc_b64 s[30:31], s[2:3]
	; divergent unreachable
.LBB6_1250:
	s_or_b64 exec, exec, s[22:23]
	scratch_load_dword a50, off, s33        ; 4-byte Folded Reload
	scratch_load_dword a49, off, s33 offset:4 ; 4-byte Folded Reload
	scratch_load_dword a48, off, s33 offset:8 ; 4-byte Folded Reload
	;; [unrolled: 1-line block ×25, first 2 shown]
	s_waitcnt lgkmcnt(0)
	scratch_load_dword v47, off, s33 offset:104 ; 4-byte Folded Reload
	scratch_load_dword v46, off, s33 offset:108 ; 4-byte Folded Reload
	;; [unrolled: 1-line block ×8, first 2 shown]
	v_readlane_b32 s30, v63, 53
	v_readlane_b32 s31, v63, 54
	;; [unrolled: 1-line block ×56, first 2 shown]
	s_or_saveexec_b64 s[2:3], -1
	scratch_load_dword v63, off, s33 offset:136 ; 4-byte Folded Reload
	s_mov_b64 exec, s[2:3]
	s_addk_i32 s32, 0xff70
	s_mov_b32 s33, s0
	s_waitcnt vmcnt(0)
	s_setpc_b64 s[30:31]
.Lfunc_end6:
	.size	_ZN12_GLOBAL__N_17runRingI6__half8FuncProdIS1_E11ProtoSimpleILi2ELi2ELi1ELi1ELi0ELi0EELi0ELi1ELi1ELi0EEEviiP15ncclDevWorkColl, .Lfunc_end6-_ZN12_GLOBAL__N_17runRingI6__half8FuncProdIS1_E11ProtoSimpleILi2ELi2ELi1ELi1ELi0ELi0EELi0ELi1ELi1ELi0EEEviiP15ncclDevWorkColl
                                        ; -- End function
	.section	.AMDGPU.csdata,"",@progbits
; Function info:
; codeLenInByte = 40988
; NumSgprs: 93
; NumVgprs: 64
; NumAgprs: 51
; TotalNumVgprs: 115
; ScratchSize: 208
; MemoryBound: 1
	.text
	.p2align	2                               ; -- Begin function _Z48ncclDevFunc_AllReduce_RING_SIMPLE_Prod_f16_1_0_1v
	.type	_Z48ncclDevFunc_AllReduce_RING_SIMPLE_Prod_f16_1_0_1v,@function
_Z48ncclDevFunc_AllReduce_RING_SIMPLE_Prod_f16_1_0_1v: ; @_Z48ncclDevFunc_AllReduce_RING_SIMPLE_Prod_f16_1_0_1v
; %bb.0:
	s_waitcnt vmcnt(0) expcnt(0) lgkmcnt(0)
	s_mov_b32 s0, s33
	s_mov_b32 s33, s32
	s_or_saveexec_b64 s[2:3], -1
	scratch_store_dword off, v44, s33 offset:20 ; 4-byte Folded Spill
	s_mov_b64 exec, s[2:3]
	v_writelane_b32 v44, s0, 63
	s_add_i32 s32, s32, 32
	scratch_store_dword off, v40, s33 offset:16 ; 4-byte Folded Spill
	scratch_store_dword off, v41, s33 offset:12 ; 4-byte Folded Spill
	;; [unrolled: 1-line block ×4, first 2 shown]
	scratch_store_dword off, v63, s33       ; 4-byte Folded Spill
	v_writelane_b32 v44, s34, 0
	v_writelane_b32 v44, s35, 1
	;; [unrolled: 1-line block ×62, first 2 shown]
	s_nop 1
	v_writelane_b32 v44, s31, 62
	s_trap 2
	ds_read_b32 v0, v0
	v_mov_b32_e32 v40, v31
	s_mov_b32 s87, s12
	s_mov_b64 s[88:89], s[8:9]
	s_waitcnt lgkmcnt(0)
	v_cmp_gt_i32_e32 vcc, 1, v0
	s_cbranch_vccnz .LBB7_11
; %bb.1:
	s_mov_b32 s94, 0
	v_and_b32_e32 v41, 0x3ff, v40
	s_mov_b64 s[90:91], src_shared_base
	v_mov_b32_e32 v43, 6
	s_branch .LBB7_3
.LBB7_2:                                ;   in Loop: Header=BB7_3 Depth=1
	s_or_b64 exec, exec, s[92:93]
	s_trap 2
	ds_read_b32 v0, v0
	s_add_i32 s94, s94, 1
	s_waitcnt lgkmcnt(0)
	v_cmp_lt_i32_e32 vcc, s94, v0
	s_cbranch_vccz .LBB7_11
.LBB7_3:                                ; =>This Inner Loop Header: Depth=1
	s_trap 2
	ds_read_b32 v0, v0
	s_cmp_eq_u32 s94, 0
	s_cbranch_scc1 .LBB7_6
; %bb.4:                                ;   in Loop: Header=BB7_3 Depth=1
	s_trap 2
	s_waitcnt lgkmcnt(0)
	ds_read_b32 v1, v0
	s_waitcnt lgkmcnt(0)
	v_xor_b32_e32 v1, v1, v0
	v_and_b32_e32 v1, 0xff0000, v1
	v_cmp_eq_u32_e32 vcc, 0, v1
	s_cbranch_vccnz .LBB7_6
; %bb.5:                                ;   in Loop: Header=BB7_3 Depth=1
	s_barrier
	ds_read_b32 v0, v0
.LBB7_6:                                ;   in Loop: Header=BB7_3 Depth=1
	s_waitcnt lgkmcnt(0)
	v_lshlrev_b32_sdwa v42, v43, v0 dst_sel:DWORD dst_unused:UNUSED_PAD src0_sel:DWORD src1_sel:BYTE_2
	v_cmp_lt_u32_e32 vcc, v41, v42
	s_and_saveexec_b64 s[92:93], vcc
	s_cbranch_execz .LBB7_2
; %bb.7:                                ;   in Loop: Header=BB7_3 Depth=1
	v_cmp_lt_i32_e32 vcc, -1, v0
	s_mov_b64 s[0:1], -1
	s_cbranch_vccnz .LBB7_9
; %bb.8:                                ;   in Loop: Header=BB7_3 Depth=1
	s_mov_b64 s[8:9], s[88:89]
	s_mov_b32 s12, s87
	v_mov_b32_e32 v31, v40
	v_mov_b32_e32 v0, v41
	;; [unrolled: 1-line block ×4, first 2 shown]
	s_getpc_b64 s[0:1]
	s_add_u32 s0, s0, _ZN12_GLOBAL__N_17runRingI6__half8FuncProdIS1_E11ProtoSimpleILi1ELi4ELi1ELi1ELi0ELi0EELi0ELi1ELi1ELi0EEEviiP15ncclDevWorkColl@rel32@lo+4
	s_addc_u32 s1, s1, _ZN12_GLOBAL__N_17runRingI6__half8FuncProdIS1_E11ProtoSimpleILi1ELi4ELi1ELi1ELi0ELi0EELi0ELi1ELi1ELi0EEEviiP15ncclDevWorkColl@rel32@hi+12
	s_swappc_b64 s[30:31], s[0:1]
	s_mov_b64 s[0:1], 0
.LBB7_9:                                ;   in Loop: Header=BB7_3 Depth=1
	s_andn2_b64 vcc, exec, s[0:1]
	s_cbranch_vccnz .LBB7_2
; %bb.10:                               ;   in Loop: Header=BB7_3 Depth=1
	s_mov_b64 s[8:9], s[88:89]
	s_mov_b32 s12, s87
	v_mov_b32_e32 v31, v40
	v_mov_b32_e32 v0, v41
	;; [unrolled: 1-line block ×4, first 2 shown]
	s_getpc_b64 s[0:1]
	s_add_u32 s0, s0, _ZN12_GLOBAL__N_17runRingI6__half8FuncProdIS1_E11ProtoSimpleILi2ELi2ELi1ELi1ELi0ELi0EELi0ELi1ELi1ELi0EEEviiP15ncclDevWorkColl@rel32@lo+4
	s_addc_u32 s1, s1, _ZN12_GLOBAL__N_17runRingI6__half8FuncProdIS1_E11ProtoSimpleILi2ELi2ELi1ELi1ELi0ELi0EELi0ELi1ELi1ELi0EEEviiP15ncclDevWorkColl@rel32@hi+12
	s_swappc_b64 s[30:31], s[0:1]
	s_branch .LBB7_2
.LBB7_11:
	scratch_load_dword v63, off, s33        ; 4-byte Folded Reload
	scratch_load_dword v43, off, s33 offset:4 ; 4-byte Folded Reload
	scratch_load_dword v42, off, s33 offset:8 ; 4-byte Folded Reload
	;; [unrolled: 1-line block ×4, first 2 shown]
	v_readlane_b32 s30, v44, 61
	v_readlane_b32 s31, v44, 62
	;; [unrolled: 1-line block ×64, first 2 shown]
	s_or_saveexec_b64 s[2:3], -1
	scratch_load_dword v44, off, s33 offset:20 ; 4-byte Folded Reload
	s_mov_b64 exec, s[2:3]
	s_addk_i32 s32, 0xffe0
	s_mov_b32 s33, s0
	s_waitcnt vmcnt(0)
	s_setpc_b64 s[30:31]
.Lfunc_end7:
	.size	_Z48ncclDevFunc_AllReduce_RING_SIMPLE_Prod_f16_1_0_1v, .Lfunc_end7-_Z48ncclDevFunc_AllReduce_RING_SIMPLE_Prod_f16_1_0_1v
                                        ; -- End function
	.section	.AMDGPU.csdata,"",@progbits
; Function info:
; codeLenInByte = 1484
; NumSgprs: 101
; NumVgprs: 64
; NumAgprs: 51
; TotalNumVgprs: 115
; ScratchSize: 240
; MemoryBound: 0
	.text
	.p2align	2                               ; -- Begin function _ZN12_GLOBAL__N_17runRingI6__half8FuncProdIS1_E11ProtoSimpleILi1ELi4ELi0ELi2ELi0ELi0EELi0ELi0ELi2ELi0EEEviiP15ncclDevWorkColl
	.type	_ZN12_GLOBAL__N_17runRingI6__half8FuncProdIS1_E11ProtoSimpleILi1ELi4ELi0ELi2ELi0ELi0EELi0ELi0ELi2ELi0EEEviiP15ncclDevWorkColl,@function
_ZN12_GLOBAL__N_17runRingI6__half8FuncProdIS1_E11ProtoSimpleILi1ELi4ELi0ELi2ELi0ELi0EELi0ELi0ELi2ELi0EEEviiP15ncclDevWorkColl: ; @_ZN12_GLOBAL__N_17runRingI6__half8FuncProdIS1_E11ProtoSimpleILi1ELi4ELi0ELi2ELi0ELi0EELi0ELi0ELi2ELi0EEEviiP15ncclDevWorkColl
; %bb.0:
	s_waitcnt vmcnt(0) expcnt(0) lgkmcnt(0)
	s_mov_b32 s0, s33
	s_mov_b32 s33, s32
	s_or_saveexec_b64 s[2:3], -1
	scratch_store_dword off, v63, s33 offset:116 ; 4-byte Folded Spill
	s_mov_b64 exec, s[2:3]
	v_writelane_b32 v63, s0, 57
	s_addk_i32 s32, 0x80
	scratch_store_dword off, v40, s33 offset:112 ; 4-byte Folded Spill
	scratch_store_dword off, v41, s33 offset:108 ; 4-byte Folded Spill
	;; [unrolled: 1-line block ×28, first 2 shown]
	scratch_store_dword off, a45, s33       ; 4-byte Folded Spill
	v_writelane_b32 v63, s34, 0
	v_writelane_b32 v63, s35, 1
	;; [unrolled: 1-line block ×56, first 2 shown]
	s_nop 1
	v_writelane_b32 v63, s31, 56
	s_trap 2
	flat_load_dword v4, v[2:3]
	ds_read_b32 v5, v0
	v_mov_b32_e32 v14, v1
	v_mov_b32_e32 v52, v0
                                        ; implicit-def: $vgpr16_vgpr17
                                        ; implicit-def: $agpr4_agpr5
                                        ; implicit-def: $vgpr26_vgpr27
	s_waitcnt lgkmcnt(0)
	v_readfirstlane_b32 s72, v5
	s_waitcnt vmcnt(0)
	v_cmp_ne_u32_sdwa s[0:1], v4, v5 src0_sel:BYTE_0 src1_sel:DWORD
	s_and_saveexec_b64 s[2:3], s[0:1]
	s_xor_b64 s[0:1], exec, s[2:3]
	s_cbranch_execz .LBB8_6
; %bb.1:
	v_not_b32_sdwa v1, v4 dst_sel:DWORD dst_unused:UNUSED_PAD src0_sel:BYTE_0
	v_cmp_ne_u32_sdwa s[2:3], v4, v5 src0_sel:BYTE_1 src1_sel:DWORD
                                        ; implicit-def: $vgpr16_vgpr17
                                        ; implicit-def: $agpr4_agpr5
                                        ; implicit-def: $vgpr26_vgpr27
	s_and_saveexec_b64 s[4:5], s[2:3]
	s_xor_b64 s[2:3], exec, s[4:5]
	s_cbranch_execz .LBB8_3
; %bb.2:
	flat_load_dwordx4 v[6:9], v[2:3] offset:72
	flat_load_dwordx2 v[10:11], v[2:3] offset:96
	v_add_u32_e32 v0, v5, v1
	v_ashrrev_i32_e32 v1, 31, v0
	s_waitcnt vmcnt(0) lgkmcnt(0)
	v_mul_lo_u32 v1, v8, v1
	v_mad_u64_u32 v[4:5], s[4:5], v8, v0, v[6:7]
	v_mul_lo_u32 v0, v9, v0
	v_add3_u32 v5, v0, v5, v1
	v_accvgpr_write_b32 a4, v4
	v_lshrrev_b64 v[16:17], 13, v[10:11]
	v_accvgpr_write_b32 a5, v5
	v_mov_b64_e32 v[26:27], v[8:9]
                                        ; implicit-def: $vgpr4
                                        ; implicit-def: $vgpr1
.LBB8_3:
	s_andn2_saveexec_b64 s[2:3], s[2:3]
	s_cbranch_execz .LBB8_5
; %bb.4:
	flat_load_dwordx4 v[6:9], v[2:3] offset:72
	flat_load_dwordx4 v[26:29], v[2:3] offset:88
	v_add_u32_sdwa v0, v4, v1 dst_sel:DWORD dst_unused:UNUSED_PAD src0_sel:BYTE_1 src1_sel:DWORD
	v_ashrrev_i32_e32 v1, 31, v0
	s_waitcnt vmcnt(0) lgkmcnt(0)
	v_mul_lo_u32 v1, v8, v1
	v_mad_u64_u32 v[4:5], s[4:5], v8, v0, v[6:7]
	v_mul_lo_u32 v0, v9, v0
	v_add3_u32 v5, v0, v5, v1
	v_accvgpr_write_b32 a4, v4
	v_accvgpr_write_b32 a5, v5
	v_lshrrev_b32_e32 v16, 2, v29
.LBB8_5:
	s_or_b64 exec, exec, s[2:3]
.LBB8_6:
	s_andn2_saveexec_b64 s[0:1], s[0:1]
	s_cbranch_execz .LBB8_8
; %bb.7:
	flat_load_dwordx2 v[0:1], v[2:3] offset:96
	flat_load_dwordx2 v[26:27], v[2:3] offset:72
	s_waitcnt vmcnt(0) lgkmcnt(0)
	v_lshlrev_b64 v[16:17], 8, v[0:1]
	v_mov_b64_e32 v[0:1], 0
	v_accvgpr_write_b32 a5, v1
	v_accvgpr_write_b32 a4, v0
.LBB8_8:
	s_or_b64 exec, exec, s[0:1]
	s_trap 2
	ds_read_b64 v[4:5], v0
	s_waitcnt lgkmcnt(0)
	v_cmp_ne_u32_e32 vcc, -1, v4
	s_nop 1
	v_cndmask_b32_e64 v1, 0, 1, vcc
	v_cmp_ne_u32_e32 vcc, -1, v5
	s_nop 1
	v_addc_co_u32_e64 v4, s[0:1], 0, v1, vcc
	v_lshlrev_b32_e32 v0, 1, v4
	v_cmp_le_i32_e64 s[0:1], v0, v14
	s_and_saveexec_b64 s[2:3], s[0:1]
	s_xor_b64 s[34:35], exec, s[2:3]
	s_cbranch_execz .LBB8_1219
; %bb.9:
	flat_load_dwordx2 v[34:35], v[2:3] offset:104
	flat_load_dwordx4 v[10:13], v[2:3] offset:16
	flat_load_ushort v7, v[2:3] offset:8
	flat_load_dword v6, v[2:3] offset:4
	s_trap 2
	s_load_dword s0, s[8:9], 0x0
	v_mov_b32_e32 v0, 0
	v_mov_b32_e32 v62, 4
	s_waitcnt lgkmcnt(0)
	s_cmp_lt_u32 s12, s0
	s_cselect_b32 s0, 12, 18
	s_add_u32 s0, s8, s0
	s_addc_u32 s1, s9, 0
	global_load_ushort v15, v0, s[0:1]
	ds_read_b32 v0, v0
	v_cmp_ge_i32_e64 s[0:1], v52, v1
	s_waitcnt lgkmcnt(0)
	v_readfirstlane_b32 s16, v0
	s_and_saveexec_b64 s[2:3], s[0:1]
	s_cbranch_execz .LBB8_19
; %bb.10:
	v_cmp_le_u32_e64 s[0:1], v4, v52
                                        ; implicit-def: $vgpr62
	s_and_saveexec_b64 s[4:5], s[0:1]
	s_xor_b64 s[0:1], exec, s[4:5]
	s_cbranch_execz .LBB8_16
; %bb.11:
	v_cndmask_b32_e64 v0, 0, 1, vcc
	v_sub_u32_e32 v0, v14, v0
	v_cmp_ge_u32_e32 vcc, v52, v0
                                        ; implicit-def: $sgpr6
	s_and_saveexec_b64 s[4:5], vcc
	s_xor_b64 s[4:5], exec, s[4:5]
; %bb.12:
	s_mov_b32 s6, 16
                                        ; implicit-def: $vgpr4
; %bb.13:
	s_or_saveexec_b64 s[4:5], s[4:5]
	v_mov_b32_e32 v62, s6
	s_xor_b64 exec, exec, s[4:5]
; %bb.14:
	v_sub_u32_e32 v0, v14, v4
	v_cmp_ge_i32_e32 vcc, v52, v0
	s_nop 1
	v_cndmask_b32_e64 v0, 0, 1, vcc
	v_lshlrev_b32_e32 v62, 5, v0
; %bb.15:
	s_or_b64 exec, exec, s[4:5]
.LBB8_16:
	s_andn2_saveexec_b64 s[0:1], s[0:1]
; %bb.17:
	v_mov_b32_e32 v62, 8
; %bb.18:
	s_or_b64 exec, exec, s[0:1]
.LBB8_19:
	s_or_b64 exec, exec, s[2:3]
	v_and_b32_e32 v0, 36, v62
	v_cmp_ne_u32_e32 vcc, 0, v0
	v_mov_b32_e32 v8, -1
	s_and_saveexec_b64 s[0:1], vcc
	s_cbranch_execz .LBB8_21
; %bb.20:
	s_trap 2
	ds_read_b32 v8, v0
.LBB8_21:
	s_or_b64 exec, exec, s[0:1]
	v_and_b32_e32 v0, 24, v62
	v_cmp_ne_u32_e64 s[0:1], 0, v0
	s_and_saveexec_b64 s[2:3], s[0:1]
	s_cbranch_execz .LBB8_23
; %bb.22:
	s_trap 2
	s_waitcnt lgkmcnt(0)
	ds_read_b32 v8, v0
.LBB8_23:
	s_or_b64 exec, exec, s[2:3]
	s_waitcnt vmcnt(0)
	v_lshrrev_b64 v[4:5], 31, v[6:7]
	v_mov_b64_e32 v[24:25], 0
	v_and_b32_e32 v4, 3, v4
	v_mov_b64_e32 v[44:45], v[24:25]
                                        ; implicit-def: $agpr8_agpr9
                                        ; implicit-def: $vgpr58
                                        ; implicit-def: $vgpr20_vgpr21
                                        ; implicit-def: $vgpr60_vgpr61
                                        ; implicit-def: $vgpr32_vgpr33
                                        ; implicit-def: $vgpr22_vgpr23
	s_and_saveexec_b64 s[0:1], vcc
	s_cbranch_execz .LBB8_33
; %bb.24:
	s_trap 2
	ds_read_b64 v[6:7], v0
	s_waitcnt lgkmcnt(1)
	v_ashrrev_i32_e32 v9, 31, v8
	v_and_b32_e32 v0, 0xffff, v4
	s_movk_i32 s2, 0xa8
                                        ; implicit-def: $agpr8_agpr9
	s_waitcnt lgkmcnt(0)
	v_lshl_add_u64 v[6:7], v[8:9], 3, v[6:7]
	flat_load_dwordx2 v[6:7], v[6:7]
	s_waitcnt vmcnt(0) lgkmcnt(0)
	v_mad_u64_u32 v[6:7], s[2:3], v0, s2, v[6:7]
	flat_load_dword v0, v[6:7] offset:640
	s_mov_b64 s[2:3], 0x1f8
	v_lshl_add_u64 v[24:25], v[6:7], 0, s[2:3]
	s_waitcnt vmcnt(0) lgkmcnt(0)
	v_cmp_eq_u32_e32 vcc, 1, v0
	s_and_saveexec_b64 s[2:3], vcc
	s_cbranch_execz .LBB8_26
; %bb.25:
	flat_load_dwordx2 v[18:19], v[24:25] offset:144
	v_or_b32_e32 v62, 0x2000, v62
	s_waitcnt vmcnt(0) lgkmcnt(0)
	flat_load_dwordx2 v[6:7], v[18:19]
	s_trap 2
	v_accvgpr_write_b32 a8, v18
	v_accvgpr_write_b32 a9, v19
	s_waitcnt vmcnt(0) lgkmcnt(0)
	ds_write_b64 v0, v[6:7]
	flat_load_dwordx2 v[6:7], v[18:19] offset:8
	s_waitcnt vmcnt(0) lgkmcnt(0)
	ds_write_b64 v0, v[6:7]
	flat_load_dwordx2 v[6:7], v[18:19] offset:16
	s_waitcnt vmcnt(0) lgkmcnt(0)
	ds_write_b64 v0, v[6:7]
.LBB8_26:
	s_or_b64 exec, exec, s[2:3]
	flat_load_dwordx2 v[6:7], v[24:25] offset:104
	v_and_b32_e32 v0, 32, v62
	v_cmp_ne_u32_e32 vcc, 0, v0
                                        ; implicit-def: $vgpr22_vgpr23
	s_waitcnt vmcnt(0) lgkmcnt(0)
	v_lshl_add_u64 v[20:21], v[6:7], 0, 3
	v_and_b32_e32 v20, -4, v20
	s_and_saveexec_b64 s[2:3], vcc
	s_cbranch_execz .LBB8_28
; %bb.27:
	flat_load_dwordx2 v[22:23], v[24:25] offset:56
	s_waitcnt vmcnt(0) lgkmcnt(0)
	flat_store_dwordx2 v[22:23], v[20:21] sc0 sc1
.LBB8_28:
	s_or_b64 exec, exec, s[2:3]
	v_and_b32_e32 v0, 4, v62
	v_cmp_ne_u32_e32 vcc, 0, v0
	v_mov_b64_e32 v[44:45], 0
                                        ; implicit-def: $vgpr58
                                        ; implicit-def: $vgpr60_vgpr61
                                        ; implicit-def: $vgpr32_vgpr33
	s_and_saveexec_b64 s[2:3], vcc
	s_cbranch_execz .LBB8_32
; %bb.29:
	v_and_b32_e32 v0, 0x800, v62
	v_cmp_eq_u32_e32 vcc, 0, v0
	s_and_saveexec_b64 s[4:5], vcc
	s_cbranch_execz .LBB8_31
; %bb.30:
	s_trap 2
	ds_write_b64 v0, v[24:25]
.LBB8_31:
	s_or_b64 exec, exec, s[4:5]
	flat_load_dwordx2 v[22:23], v[24:25] offset:48
	v_or_b32_e32 v5, 0x100, v62
	s_waitcnt vmcnt(0) lgkmcnt(0)
	flat_load_dwordx2 v[32:33], v[22:23] sc0 sc1
	flat_load_dword v0, v[24:25] offset:72
	flat_load_dwordx2 v[44:45], v[24:25] offset:96
	flat_load_dwordx2 v[60:61], v[24:25] offset:16
	s_waitcnt vmcnt(0) lgkmcnt(0)
	v_ashrrev_i32_e32 v58, 1, v0
	v_cmp_eq_u64_e32 vcc, 0, v[44:45]
	s_nop 1
	v_cndmask_b32_e32 v62, v5, v62, vcc
.LBB8_32:
	s_or_b64 exec, exec, s[2:3]
.LBB8_33:
	s_or_b64 exec, exec, s[0:1]
	v_and_b32_e32 v0, 24, v62
	v_cmp_ne_u32_e32 vcc, 0, v0
                                        ; implicit-def: $vgpr50_vgpr51
	s_and_saveexec_b64 s[0:1], vcc
	s_cbranch_execz .LBB8_41
; %bb.34:
	s_trap 2
	ds_read_b64 v[6:7], v0
	s_waitcnt lgkmcnt(0)
	v_ashrrev_i32_e32 v9, 31, v8
	v_and_b32_e32 v0, 0xffff, v4
	s_movk_i32 s2, 0xa8
                                        ; implicit-def: $vgpr50_vgpr51
	v_lshl_add_u64 v[6:7], v[8:9], 3, v[6:7]
	flat_load_dwordx2 v[6:7], v[6:7]
	s_waitcnt vmcnt(0) lgkmcnt(0)
	v_mad_u64_u32 v[24:25], s[2:3], v0, s2, v[6:7]
	flat_load_dwordx4 v[44:47], v[24:25] offset:96
	v_or_b32_e32 v0, 0x100, v62
	s_waitcnt vmcnt(0) lgkmcnt(0)
	v_cmp_eq_u64_e32 vcc, 0, v[44:45]
	s_nop 1
	v_cndmask_b32_e32 v62, v0, v62, vcc
	v_and_b32_e32 v0, 16, v62
	v_cmp_ne_u32_e32 vcc, 0, v0
	s_and_saveexec_b64 s[2:3], vcc
	s_cbranch_execz .LBB8_36
; %bb.35:
	flat_load_dwordx2 v[50:51], v[24:25] offset:120
	flat_load_dwordx2 v[22:23], v[24:25] offset:48
	;; [unrolled: 1-line block ×3, first 2 shown]
.LBB8_36:
	s_or_b64 exec, exec, s[2:3]
	v_lshl_add_u64 v[20:21], v[46:47], 0, 3
	v_and_b32_e32 v0, 8, v62
	v_and_b32_e32 v20, -4, v20
	v_cmp_ne_u32_e32 vcc, 0, v0
	s_and_saveexec_b64 s[2:3], vcc
	s_cbranch_execz .LBB8_40
; %bb.37:
	v_and_b32_e32 v0, 0x800, v62
	v_cmp_eq_u32_e32 vcc, 0, v0
	s_and_saveexec_b64 s[4:5], vcc
	s_cbranch_execz .LBB8_39
; %bb.38:
	s_trap 2
	ds_write_b64 v0, v[24:25]
.LBB8_39:
	s_or_b64 exec, exec, s[4:5]
	s_waitcnt vmcnt(0) lgkmcnt(0)
	flat_load_dwordx2 v[22:23], v[24:25] offset:56
	s_waitcnt vmcnt(0) lgkmcnt(0)
	flat_load_dwordx2 v[32:33], v[22:23] sc0 sc1
	flat_load_dword v0, v[24:25] offset:72
	flat_load_dwordx2 v[60:61], v[24:25] offset:16
	s_waitcnt vmcnt(0) lgkmcnt(0)
	v_ashrrev_i32_e32 v58, 1, v0
.LBB8_40:
	s_or_b64 exec, exec, s[2:3]
.LBB8_41:
	s_or_b64 exec, exec, s[0:1]
	v_cmp_eq_u32_e64 s[0:1], 0, v52
	s_and_saveexec_b64 s[2:3], s[0:1]
	s_cbranch_execz .LBB8_43
; %bb.42:
	flat_load_dwordx2 v[4:5], v[2:3] offset:32
	s_waitcnt lgkmcnt(0)
	v_mov_b32_e32 v8, v12
	v_mov_b32_e32 v9, v13
	ds_write2_b64 v0, v[8:9], v[10:11] offset1:1
	s_trap 2
	s_waitcnt vmcnt(0)
	ds_write_b64 v0, v[4:5]
	ds_write_b64 v0, v[34:35]
.LBB8_43:
	s_or_b64 exec, exec, s[2:3]
	s_mov_b64 s[38:39], 0
	v_cmp_lt_i64_e32 vcc, 0, v[26:27]
	v_mov_b64_e32 v[12:13], 0
	s_and_saveexec_b64 s[36:37], vcc
	s_cbranch_execz .LBB8_1183
; %bb.44:
	flat_load_dword v4, v[2:3] offset:4
	v_and_b32_e32 v2, 0x1fffff00, v16
	s_ashr_i32 s17, s16, 31
	v_and_b32_e32 v0, 63, v31
	v_ashrrev_i32_e32 v5, 31, v52
	v_mad_i64_i32 v[48:49], s[14:15], v2, s72, 0
	s_lshr_b32 s17, s17, 29
	v_cmp_eq_u32_e64 s[14:15], 0, v0
	v_lshrrev_b32_e32 v0, 26, v5
	s_add_i32 s22, s16, s17
	s_ashr_i32 s73, s72, 31
	v_lshrrev_b32_e32 v34, 6, v14
	s_waitcnt lgkmcnt(0)
	v_mov_b32_e32 v8, 0xfffff000
	v_mov_b32_e32 v9, 0xfffff800
	v_add_u32_e32 v0, v52, v0
	s_ashr_i32 s23, s22, 4
	v_lshl_add_u32 v8, v34, 12, v8
	v_lshl_add_u32 v10, v34, 11, v9
	v_ashrrev_i32_e32 v47, 6, v0
	v_and_b32_e32 v0, 0xffffffc0, v0
	s_add_u32 s46, s72, -1
	s_mov_b64 s[18:19], 0x1000
	s_mov_b64 s[20:21], 0x800
	v_ashrrev_i32_e32 v9, 31, v8
	v_ashrrev_i32_e32 v11, 31, v10
	v_sub_u32_e32 v5, v52, v0
	v_lshlrev_b32_e32 v0, 12, v47
	s_addc_u32 s47, s73, -1
	s_add_i32 s76, s72, s72
	s_not_b32 s24, s72
	v_cmp_ge_i32_e64 s[2:3], v52, v14
	v_cmp_eq_u32_e64 s[4:5], 64, v14
	v_cmp_ne_u32_e64 s[6:7], 64, v14
	v_accvgpr_write_b32 a2, v15
	v_cmp_ne_u32_sdwa s[40:41], v15, v14 src0_sel:WORD_0 src1_sel:DWORD
	v_accvgpr_write_b32 a0, v14
	v_lshl_add_u64 v[14:15], v[8:9], 0, s[18:19]
	v_lshl_add_u64 v[54:55], v[10:11], 0, s[20:21]
	v_lshlrev_b32_e32 v8, 11, v47
	v_lshl_add_u32 v10, v5, 4, v0
	s_cmp_gt_i32 s72, 0
	v_sub_u32_e32 v0, v10, v8
	s_cselect_b32 s24, s24, -1
	s_ashr_i32 s22, s22, 31
	v_cmp_lt_i32_e64 s[18:19], v5, v1
	v_cmp_le_i32_e64 s[20:21], v5, v1
	v_ashrrev_i32_e32 v1, 31, v0
	s_lshr_b32 s22, s22, 29
	v_accvgpr_write_b32 a41, v1
	s_add_i32 s77, s24, s76
	s_add_i32 s23, s23, s22
	v_accvgpr_write_b32 a40, v0
	s_ashr_i32 s78, s77, 31
	s_ashr_i32 s79, s23, 3
	v_lshlrev_b32_e32 v59, 7, v34
	s_cmp_gt_i32 s72, 2
	v_lshlrev_b32_e32 v53, 10, v34
	v_add_u32_e32 v36, 0xffffff80, v59
	s_cselect_b64 s[48:49], -1, 0
	s_add_i32 s24, s72, 1
	s_mov_b64 s[44:45], 0x80
	v_add_u32_e32 v12, 0xfffffc00, v53
	v_ashrrev_i32_e32 v37, 31, v36
	v_mov_b64_e32 v[6:7], 0
	v_ashrrev_i32_e32 v13, 31, v12
	v_lshl_add_u64 v[28:29], v[36:37], 0, s[44:45]
	v_ashrrev_i32_e32 v11, 31, v10
	v_accvgpr_write_b32 a10, v24
	v_mov_b32_e32 v3, 0
	v_ashrrev_i32_e32 v39, 31, v58
	s_mov_b64 s[42:43], 0x400
	v_accvgpr_write_b32 a27, v13
	v_accvgpr_write_b32 a6, v26
	;; [unrolled: 1-line block ×3, first 2 shown]
	s_waitcnt vmcnt(0)
	v_accvgpr_write_b32 a16, v60
	v_accvgpr_write_b32 a18, v50
	;; [unrolled: 1-line block ×5, first 2 shown]
	v_and_b32_e32 v0, 1, v4
	v_cmp_eq_u32_e64 s[22:23], 1, v0
	s_xor_b64 s[50:51], s[22:23], -1
	s_cmp_le_i32 s72, s24
	s_cselect_b32 s25, s72, 0
	v_mov_b64_e32 v[0:1], v[6:7]
	s_sub_i32 s81, s24, s25
	v_accvgpr_write_b32 a35, v29
	v_accvgpr_write_b32 a37, v11
	v_accvgpr_write_b32 a11, v25
	v_accvgpr_write_b32 a1, v31
	s_movk_i32 s74, 0xff80
	v_cmp_eq_u64_e64 s[10:11], 0, v[50:51]
	v_cmp_ne_u64_e64 s[12:13], 0, v[50:51]
	s_movk_i32 s75, 0x270e
	v_mov_b32_e32 v35, v3
	v_accvgpr_write_b32 a26, v12
	v_lshl_add_u64 v[40:41], v[12:13], 0, s[42:43]
	v_cmp_gt_i32_e64 s[16:17], 1, v5
	v_accvgpr_write_b32 a31, v5
	v_mov_b64_e32 v[6:7], v[14:15]
	s_add_i32 s80, s72, -2
	s_ashr_i32 s82, s81, 31
	v_mov_b32_e32 v42, 1
	s_movk_i32 s83, 0x108
	s_mov_b64 s[52:53], 0x380
	s_movk_i32 s84, 0xfc80
	s_movk_i32 s85, 0xfd00
	;; [unrolled: 1-line block ×3, first 2 shown]
	v_mov_b64_e32 v[56:57], v[2:3]
	v_mov_b64_e32 v[12:13], v[0:1]
	v_accvgpr_write_b32 a7, v27
	v_accvgpr_write_b32 a13, v45
	;; [unrolled: 1-line block ×11, first 2 shown]
	s_trap 2
	s_branch .LBB8_47
.LBB8_45:                               ;   in Loop: Header=BB8_47 Depth=1
	s_or_b64 exec, exec, s[24:25]
.LBB8_46:                               ;   in Loop: Header=BB8_47 Depth=1
	s_or_b64 exec, exec, s[28:29]
	v_accvgpr_read_b32 v0, a20
	v_accvgpr_read_b32 v1, a21
	;; [unrolled: 1-line block ×3, first 2 shown]
	v_lshl_add_u64 v[0:1], v[0:1], 0, v[48:49]
	v_accvgpr_read_b32 v27, a39
	v_cmp_ge_i64_e32 vcc, v[0:1], v[26:27]
	s_or_b64 s[38:39], vcc, s[38:39]
	s_andn2_b64 exec, exec, s[38:39]
	s_cbranch_execz .LBB8_1182
.LBB8_47:                               ; =>This Loop Header: Depth=1
                                        ;     Child Loop BB8_62 Depth 2
                                        ;     Child Loop BB8_86 Depth 2
	;; [unrolled: 1-line block ×13, first 2 shown]
                                        ;       Child Loop BB8_275 Depth 3
                                        ;       Child Loop BB8_301 Depth 3
	;; [unrolled: 1-line block ×12, first 2 shown]
                                        ;     Child Loop BB8_491 Depth 2
                                        ;     Child Loop BB8_524 Depth 2
	;; [unrolled: 1-line block ×9, first 2 shown]
                                        ;       Child Loop BB8_625 Depth 3
                                        ;     Child Loop BB8_634 Depth 2
                                        ;     Child Loop BB8_639 Depth 2
                                        ;       Child Loop BB8_640 Depth 3
                                        ;     Child Loop BB8_679 Depth 2
                                        ;     Child Loop BB8_710 Depth 2
	;; [unrolled: 1-line block ×6, first 2 shown]
                                        ;       Child Loop BB8_741 Depth 3
                                        ;       Child Loop BB8_774 Depth 3
	;; [unrolled: 1-line block ×9, first 2 shown]
                                        ;         Child Loop BB8_875 Depth 4
                                        ;       Child Loop BB8_884 Depth 3
                                        ;       Child Loop BB8_889 Depth 3
                                        ;         Child Loop BB8_890 Depth 4
                                        ;       Child Loop BB8_929 Depth 3
                                        ;       Child Loop BB8_960 Depth 3
	;; [unrolled: 1-line block ×5, first 2 shown]
                                        ;     Child Loop BB8_987 Depth 2
                                        ;     Child Loop BB8_1011 Depth 2
	;; [unrolled: 1-line block ×12, first 2 shown]
	v_sub_co_u32_e32 v4, vcc, v26, v0
	v_accvgpr_write_b32 a39, v27
	s_nop 0
	v_subb_co_u32_e32 v5, vcc, v27, v1, vcc
	v_accvgpr_write_b32 a38, v26
	v_mov_b64_e32 v[26:27], v[4:5]
	v_cmp_lt_i64_e32 vcc, v[26:27], v[48:49]
	s_mov_b64 s[26:27], exec
	v_accvgpr_write_b32 a21, v1
	s_and_b64 s[24:25], s[26:27], vcc
	v_accvgpr_write_b32 a20, v0
	s_mov_b64 exec, s[24:25]
	s_cbranch_execz .LBB8_53
; %bb.48:                               ;   in Loop: Header=BB8_47 Depth=1
	v_lshl_add_u64 v[8:9], s[46:47], 0, v[26:27]
	v_or_b32_e32 v11, s73, v9
	v_mov_b32_e32 v10, v3
	v_cmp_ne_u64_e32 vcc, 0, v[10:11]
                                        ; implicit-def: $vgpr10_vgpr11
	s_and_saveexec_b64 s[24:25], vcc
	s_xor_b64 s[28:29], exec, s[24:25]
	s_cbranch_execz .LBB8_50
; %bb.49:                               ;   in Loop: Header=BB8_47 Depth=1
	s_add_u32 s24, s72, s73
	s_mov_b32 s30, s73
	s_mov_b32 s31, s73
	s_addc_u32 s25, s73, s73
	s_xor_b64 s[54:55], s[24:25], s[30:31]
	v_cvt_f32_u32_e32 v1, s54
	v_cvt_f32_u32_e32 v2, s55
	s_sub_u32 s24, 0, s54
	s_subb_u32 s25, 0, s55
	v_fmac_f32_e32 v1, 0x4f800000, v2
	v_rcp_f32_e32 v1, v1
	s_nop 0
	v_mul_f32_e32 v1, 0x5f7ffffc, v1
	v_mul_f32_e32 v2, 0x2f800000, v1
	v_trunc_f32_e32 v2, v2
	v_fmac_f32_e32 v1, 0xcf800000, v2
	v_cvt_u32_f32_e32 v4, v2
	v_cvt_u32_f32_e32 v1, v1
	v_mul_lo_u32 v2, s24, v4
	v_mul_hi_u32 v11, s24, v1
	v_mul_lo_u32 v10, s25, v1
	v_add_u32_e32 v2, v11, v2
	v_mul_lo_u32 v14, s24, v1
	v_add_u32_e32 v15, v2, v10
	v_mul_hi_u32 v11, v1, v15
	v_mul_lo_u32 v10, v1, v15
	v_mul_hi_u32 v2, v1, v14
	v_lshl_add_u64 v[10:11], v[2:3], 0, v[10:11]
	v_mul_hi_u32 v2, v4, v14
	v_mul_lo_u32 v14, v4, v14
	v_add_co_u32_e32 v10, vcc, v10, v14
	v_mul_hi_u32 v16, v4, v15
	s_nop 0
	v_addc_co_u32_e32 v2, vcc, v11, v2, vcc
	v_mul_lo_u32 v10, v4, v15
	s_nop 0
	v_addc_co_u32_e32 v11, vcc, 0, v16, vcc
	v_lshl_add_u64 v[10:11], v[2:3], 0, v[10:11]
	v_add_co_u32_e32 v1, vcc, v1, v10
	v_mul_hi_u32 v10, s24, v1
	s_nop 0
	v_addc_co_u32_e32 v4, vcc, v4, v11, vcc
	v_mul_lo_u32 v2, s24, v4
	v_add_u32_e32 v2, v10, v2
	v_mul_lo_u32 v10, s25, v1
	v_add_u32_e32 v14, v2, v10
	v_mul_lo_u32 v2, s24, v1
	v_mul_hi_u32 v16, v4, v2
	v_mul_lo_u32 v17, v4, v2
	v_mul_hi_u32 v11, v1, v14
	;; [unrolled: 2-line block ×3, first 2 shown]
	v_lshl_add_u64 v[10:11], v[2:3], 0, v[10:11]
	v_add_co_u32_e32 v2, vcc, v10, v17
	v_mul_hi_u32 v15, v4, v14
	s_nop 0
	v_addc_co_u32_e32 v2, vcc, v11, v16, vcc
	v_mul_lo_u32 v10, v4, v14
	s_nop 0
	v_addc_co_u32_e32 v11, vcc, 0, v15, vcc
	v_lshl_add_u64 v[10:11], v[2:3], 0, v[10:11]
	v_add_co_u32_e32 v1, vcc, v1, v10
	v_ashrrev_i32_e32 v10, 31, v9
	s_nop 0
	v_addc_co_u32_e32 v4, vcc, v4, v11, vcc
	v_mov_b32_e32 v11, v10
	v_lshl_add_u64 v[8:9], v[8:9], 0, v[10:11]
	v_xor_b32_e32 v18, v8, v10
	v_xor_b32_e32 v11, v9, v10
	v_mad_u64_u32 v[8:9], s[24:25], v18, v4, 0
	v_mul_hi_u32 v2, v18, v1
	v_lshl_add_u64 v[8:9], v[2:3], 0, v[8:9]
	v_mad_u64_u32 v[16:17], s[24:25], v11, v1, 0
	v_add_co_u32_e32 v1, vcc, v8, v16
	v_mad_u64_u32 v[14:15], s[24:25], v11, v4, 0
	s_nop 0
	v_addc_co_u32_e32 v2, vcc, v9, v17, vcc
	v_mov_b32_e32 v4, s55
	s_nop 0
	v_addc_co_u32_e32 v15, vcc, 0, v15, vcc
	v_lshl_add_u64 v[8:9], v[2:3], 0, v[14:15]
	v_mul_lo_u32 v1, s55, v8
	v_mul_lo_u32 v2, s54, v9
	v_mad_u64_u32 v[14:15], s[24:25], s54, v8, 0
	v_add3_u32 v1, v15, v2, v1
	v_sub_u32_e32 v2, v11, v1
	v_sub_co_u32_e32 v18, vcc, v18, v14
	v_lshl_add_u64 v[16:17], v[8:9], 0, 1
	s_nop 0
	v_subb_co_u32_e64 v2, s[24:25], v2, v4, vcc
	v_subrev_co_u32_e64 v4, s[24:25], s54, v18
	v_subb_co_u32_e32 v1, vcc, v11, v1, vcc
	s_nop 0
	v_subbrev_co_u32_e64 v2, s[24:25], 0, v2, s[24:25]
	v_cmp_le_u32_e64 s[24:25], s55, v2
	v_cmp_le_u32_e32 vcc, s55, v1
	s_nop 0
	v_cndmask_b32_e64 v14, 0, -1, s[24:25]
	v_cmp_le_u32_e64 s[24:25], s54, v4
	s_nop 1
	v_cndmask_b32_e64 v4, 0, -1, s[24:25]
	v_cmp_eq_u32_e64 s[24:25], s55, v2
	s_nop 1
	v_cndmask_b32_e64 v2, v14, v4, s[24:25]
	v_cndmask_b32_e64 v4, 0, -1, vcc
	v_cmp_le_u32_e32 vcc, s54, v18
	v_lshl_add_u64 v[14:15], v[8:9], 0, 2
	v_cmp_ne_u32_e64 s[24:25], 0, v2
	v_cndmask_b32_e64 v11, 0, -1, vcc
	v_cmp_eq_u32_e32 vcc, s55, v1
	v_cndmask_b32_e64 v2, v17, v15, s[24:25]
	s_nop 0
	v_cndmask_b32_e32 v1, v4, v11, vcc
	v_cmp_ne_u32_e32 vcc, 0, v1
	v_xor_b32_e32 v4, s31, v10
	s_nop 0
	v_cndmask_b32_e32 v1, v9, v2, vcc
	v_cndmask_b32_e64 v2, v16, v14, s[24:25]
	v_cndmask_b32_e32 v2, v8, v2, vcc
	v_xor_b32_e32 v8, s30, v10
	v_xor_b32_e32 v2, v2, v8
	;; [unrolled: 1-line block ×3, first 2 shown]
	v_sub_co_u32_e32 v10, vcc, v2, v8
                                        ; implicit-def: $vgpr8_vgpr9
	s_nop 1
	v_subb_co_u32_e32 v11, vcc, v1, v4, vcc
.LBB8_50:                               ;   in Loop: Header=BB8_47 Depth=1
	s_andn2_saveexec_b64 s[24:25], s[28:29]
	s_cbranch_execz .LBB8_52
; %bb.51:                               ;   in Loop: Header=BB8_47 Depth=1
	v_cvt_f32_u32_e32 v1, s72
	s_sub_i32 s28, 0, s72
	v_rcp_iflag_f32_e32 v1, v1
	s_nop 0
	v_mul_f32_e32 v1, 0x4f7ffffe, v1
	v_cvt_u32_f32_e32 v1, v1
	v_mul_lo_u32 v2, s28, v1
	v_mul_hi_u32 v2, v1, v2
	v_add_u32_e32 v1, v1, v2
	v_mul_hi_u32 v1, v8, v1
	v_mul_lo_u32 v2, v1, s72
	v_sub_u32_e32 v2, v8, v2
	v_add_u32_e32 v4, 1, v1
	v_subrev_u32_e32 v8, s72, v2
	v_cmp_le_u32_e32 vcc, s72, v2
	s_nop 1
	v_cndmask_b32_e32 v2, v2, v8, vcc
	v_cndmask_b32_e32 v1, v1, v4, vcc
	v_add_u32_e32 v4, 1, v1
	v_cmp_le_u32_e32 vcc, s72, v2
	s_nop 1
	v_cndmask_b32_e32 v2, v1, v4, vcc
	v_mov_b64_e32 v[10:11], v[2:3]
.LBB8_52:                               ;   in Loop: Header=BB8_47 Depth=1
	s_or_b64 exec, exec, s[24:25]
	v_lshl_add_u64 v[56:57], v[10:11], 0, 7
	v_and_b32_e32 v56, -8, v56
.LBB8_53:                               ;   in Loop: Header=BB8_47 Depth=1
	s_or_b64 exec, exec, s[26:27]
	v_mul_lo_u32 v1, v57, s77
	v_mul_lo_u32 v2, v56, s78
	v_mad_u64_u32 v[10:11], s[24:25], v56, s77, 0
	v_add3_u32 v11, v11, v2, v1
	v_accvgpr_read_b32 v0, a4
	v_accvgpr_read_b32 v4, a20
	v_sub_co_u32_e32 v8, vcc, v26, v10
	v_accvgpr_read_b32 v1, a5
	v_accvgpr_read_b32 v5, a21
	v_subb_co_u32_e32 v9, vcc, v27, v11, vcc
	v_lshl_add_u64 v[0:1], v[4:5], 0, v[0:1]
	v_cmp_lt_i64_e32 vcc, v[56:57], v[8:9]
	v_accvgpr_write_b32 a45, v1
	v_accvgpr_write_b32 a44, v0
	v_cndmask_b32_e32 v2, v8, v56, vcc
	v_max_i32_e32 v1, 0, v2
	v_add_u32_e32 v4, 15, v1
	v_ashrrev_i32_e32 v8, 31, v4
	v_lshrrev_b32_e32 v8, 28, v8
	v_add_u32_e32 v4, v4, v8
	v_and_b32_e32 v4, -16, v4
	v_cmp_gt_i32_e32 vcc, 1, v2
	v_max_i32_e32 v8, s79, v4
	s_or_b64 s[26:27], s[2:3], vcc
	v_mov_b32_e32 v2, 0
	s_xor_b64 s[24:25], s[26:27], -1
	s_mov_b64 s[28:29], exec
	v_accvgpr_write_b32 a43, v27
	s_and_b64 s[24:25], s[28:29], s[24:25]
	v_accvgpr_write_b32 a42, v26
	s_mov_b64 exec, s[24:25]
	s_cbranch_execz .LBB8_192
; %bb.54:                               ;   in Loop: Header=BB8_47 Depth=1
	s_and_saveexec_b64 s[24:25], s[0:1]
	s_cbranch_execz .LBB8_56
; %bb.55:                               ;   in Loop: Header=BB8_47 Depth=1
	s_trap 2
	ds_read_b64 v[14:15], v0
	v_accvgpr_read_b32 v4, a44
	v_accvgpr_read_b32 v5, a45
	v_mov_b32_e32 v2, v3
	s_waitcnt lgkmcnt(0)
	v_lshl_add_u64 v[14:15], v[4:5], 1, v[14:15]
	v_lshl_add_u64 v[10:11], v[10:11], 1, v[14:15]
	ds_write_b64 v0, v[10:11]
	ds_write_b64 v0, v[2:3]
.LBB8_56:                               ;   in Loop: Header=BB8_47 Depth=1
	s_or_b64 exec, exec, s[24:25]
	v_and_b32_e32 v2, 8, v62
	v_cmp_ne_u32_e32 vcc, 0, v2
	s_mov_b64 s[30:31], -1
	s_and_saveexec_b64 s[24:25], vcc
	s_cbranch_execz .LBB8_68
; %bb.57:                               ;   in Loop: Header=BB8_47 Depth=1
	v_lshl_add_u64 v[14:15], v[32:33], 0, 8
	v_lshl_add_u64 v[10:11], v[20:21], 0, 4
	v_cmp_lt_u64_e32 vcc, v[14:15], v[10:11]
	v_mov_b32_e32 v2, 1
	s_and_saveexec_b64 s[30:31], vcc
	s_cbranch_execz .LBB8_67
; %bb.58:                               ;   in Loop: Header=BB8_47 Depth=1
	s_mov_b64 s[54:55], 0
	v_mov_b32_e32 v2, 0
                                        ; implicit-def: $sgpr56_sgpr57
	s_branch .LBB8_62
.LBB8_59:                               ;   in Loop: Header=BB8_62 Depth=2
	s_or_b64 exec, exec, s[64:65]
	v_mov_b32_e32 v4, 0
	s_orn2_b64 s[62:63], s[62:63], exec
.LBB8_60:                               ;   in Loop: Header=BB8_62 Depth=2
	s_or_b64 exec, exec, s[60:61]
	s_andn2_b64 vcc, s[56:57], exec
	s_and_b64 s[56:57], s[62:63], exec
	s_or_b64 s[56:57], vcc, s[56:57]
	v_mov_b32_e32 v2, v4
.LBB8_61:                               ;   in Loop: Header=BB8_62 Depth=2
	s_or_b64 exec, exec, s[58:59]
	s_waitcnt vmcnt(0) lgkmcnt(0)
	v_lshl_add_u64 v[14:15], v[32:33], 0, 8
	v_cmp_ge_u64_e32 vcc, v[14:15], v[10:11]
	s_xor_b64 s[58:59], s[56:57], -1
	s_or_b64 vcc, s[58:59], vcc
	s_and_b64 vcc, exec, vcc
	s_or_b64 s[54:55], vcc, s[54:55]
	s_andn2_b64 exec, exec, s[54:55]
	s_cbranch_execz .LBB8_66
.LBB8_62:                               ;   Parent Loop BB8_47 Depth=1
                                        ; =>  This Inner Loop Header: Depth=2
	s_sleep 1
	flat_load_dwordx2 v[32:33], v[22:23] sc0 sc1
	v_and_b32_e32 v4, 64, v62
	v_cmp_eq_u32_e32 vcc, 0, v4
	s_andn2_b64 s[56:57], s[56:57], exec
	s_and_saveexec_b64 s[58:59], vcc
	s_cbranch_execz .LBB8_61
; %bb.63:                               ;   in Loop: Header=BB8_62 Depth=2
	v_add_u32_e32 v4, 1, v2
	v_cmp_lt_i32_e32 vcc, s75, v2
	s_mov_b64 s[62:63], -1
	s_and_saveexec_b64 s[60:61], vcc
	s_cbranch_execz .LBB8_60
; %bb.64:                               ;   in Loop: Header=BB8_62 Depth=2
	s_trap 2
	ds_read_b64 v[14:15], v0
	s_waitcnt vmcnt(0) lgkmcnt(0)
	flat_load_dword v2, v[14:15] sc0 sc1
	s_waitcnt vmcnt(0) lgkmcnt(0)
	buffer_inv sc0 sc1
	v_cmp_ne_u32_e32 vcc, 0, v2
	s_and_saveexec_b64 s[64:65], vcc
	s_cbranch_execz .LBB8_59
; %bb.65:                               ;   in Loop: Header=BB8_62 Depth=2
	v_or_b32_e32 v62, 64, v62
	s_xor_b64 s[62:63], exec, -1
	ds_write_b32 v0, v2
	s_trap 2
	s_branch .LBB8_59
.LBB8_66:                               ;   in Loop: Header=BB8_47 Depth=1
	s_or_b64 exec, exec, s[54:55]
	v_and_b32_e32 v2, 8, v62
.LBB8_67:                               ;   in Loop: Header=BB8_47 Depth=1
	s_or_b64 exec, exec, s[30:31]
	v_cmp_eq_u32_e32 vcc, 0, v2
	s_orn2_b64 s[30:31], vcc, exec
	;;#ASMSTART
	s_wakeup
	;;#ASMEND
.LBB8_68:                               ;   in Loop: Header=BB8_47 Depth=1
	s_or_b64 exec, exec, s[24:25]
	s_xor_b64 s[24:25], s[30:31], -1
	v_min_i32_e32 v8, v8, v1
	s_and_saveexec_b64 s[30:31], s[24:25]
	s_cbranch_execz .LBB8_78
; %bb.69:                               ;   in Loop: Header=BB8_47 Depth=1
	v_and_b32_e32 v2, 0x100, v62
	v_cmp_ne_u32_e32 vcc, 0, v2
	v_and_b32_e32 v2, 7, v20
	s_mov_b64 s[24:25], -1
                                        ; implicit-def: $vgpr10_vgpr11
	s_and_saveexec_b64 s[54:55], vcc
	s_cbranch_execz .LBB8_73
; %bb.70:                               ;   in Loop: Header=BB8_47 Depth=1
	v_mad_u64_u32 v[14:15], s[24:25], v2, 24, v[44:45]
	flat_load_dword v4, v[14:15]
	v_ashrrev_i32_e32 v9, 31, v8
	v_lshlrev_b64 v[10:11], 1, v[8:9]
	flat_store_dwordx2 v[14:15], v[10:11] offset:8
                                        ; implicit-def: $vgpr10_vgpr11
	s_waitcnt vmcnt(0) lgkmcnt(0)
	v_cmp_ne_u32_e32 vcc, 1, v4
	v_cmp_eq_u32_e64 s[24:25], 1, v4
	s_and_saveexec_b64 s[56:57], s[24:25]
	s_cbranch_execz .LBB8_72
; %bb.71:                               ;   in Loop: Header=BB8_47 Depth=1
	flat_load_dword v10, v[14:15] offset:4 sc0 sc1
	s_waitcnt vmcnt(0) lgkmcnt(0)
	v_ashrrev_i32_e32 v11, 31, v10
	v_lshrrev_b64 v[10:11], 1, v[10:11]
.LBB8_72:                               ;   in Loop: Header=BB8_47 Depth=1
	s_or_b64 exec, exec, s[56:57]
	s_orn2_b64 s[24:25], vcc, exec
.LBB8_73:                               ;   in Loop: Header=BB8_47 Depth=1
	s_or_b64 exec, exec, s[54:55]
	s_and_saveexec_b64 vcc, s[24:25]
; %bb.74:                               ;   in Loop: Header=BB8_47 Depth=1
	v_mad_i64_i32 v[10:11], s[24:25], v2, v58, 0
; %bb.75:                               ;   in Loop: Header=BB8_47 Depth=1
	s_or_b64 exec, exec, vcc
	v_and_b32_e32 v2, 0x2000, v62
	v_lshl_add_u64 v[10:11], v[10:11], 1, v[60:61]
	v_cmp_ne_u32_e32 vcc, 0, v2
	ds_write_b64 v0, v[10:11] offset:784
	s_and_saveexec_b64 s[24:25], vcc
	s_cbranch_execz .LBB8_77
; %bb.76:                               ;   in Loop: Header=BB8_47 Depth=1
	ds_read_b64 v[10:11], v0 offset:584
	s_waitcnt lgkmcnt(0)
	v_lshl_add_u64 v[10:11], v[10:11], 0, 1
	ds_write_b64 v0, v[10:11] offset:584
.LBB8_77:                               ;   in Loop: Header=BB8_47 Depth=1
	s_or_b64 exec, exec, s[24:25]
	v_lshl_add_u64 v[20:21], v[20:21], 0, 4
.LBB8_78:                               ;   in Loop: Header=BB8_47 Depth=1
	s_or_b64 exec, exec, s[30:31]
	s_and_saveexec_b64 s[24:25], s[6:7]
	s_cbranch_execz .LBB8_97
; %bb.79:                               ;   in Loop: Header=BB8_47 Depth=1
	s_and_saveexec_b64 vcc, s[40:41]
	s_xor_b64 s[30:31], exec, vcc
	s_cbranch_execz .LBB8_94
; %bb.80:                               ;   in Loop: Header=BB8_47 Depth=1
	s_and_saveexec_b64 s[54:55], s[14:15]
	s_cbranch_execz .LBB8_93
; %bb.81:                               ;   in Loop: Header=BB8_47 Depth=1
	s_mov_b64 s[58:59], exec
	v_mbcnt_lo_u32_b32 v2, s58, 0
	v_mbcnt_hi_u32_b32 v2, s59, v2
	v_cmp_eq_u32_e32 vcc, 0, v2
	s_waitcnt lgkmcnt(0)
	s_and_saveexec_b64 s[56:57], vcc
	s_cbranch_execz .LBB8_83
; %bb.82:                               ;   in Loop: Header=BB8_47 Depth=1
	s_bcnt1_i32_b64 vcc_lo, s[58:59]
	v_mov_b32_e32 v2, vcc_lo
	ds_add_u64 v0, v[2:3]
	s_trap 2
.LBB8_83:                               ;   in Loop: Header=BB8_47 Depth=1
	s_or_b64 exec, exec, s[56:57]
	s_trap 2
	ds_read_b64 v[10:11], v0
	v_lshl_add_u64 v[12:13], v[12:13], 0, v[34:35]
	s_waitcnt lgkmcnt(0)
	v_cmp_lt_u64_e32 vcc, v[10:11], v[12:13]
	s_and_saveexec_b64 s[56:57], vcc
	s_cbranch_execz .LBB8_92
; %bb.84:                               ;   in Loop: Header=BB8_47 Depth=1
	s_mov_b32 s68, 0
	s_mov_b64 s[58:59], 0
                                        ; implicit-def: $sgpr60_sgpr61
                                        ; implicit-def: $sgpr62_sgpr63
	s_branch .LBB8_86
.LBB8_85:                               ;   in Loop: Header=BB8_86 Depth=2
	s_or_b64 exec, exec, s[66:67]
	s_and_b64 vcc, exec, vcc
	s_or_b64 s[58:59], vcc, s[58:59]
	s_andn2_b64 vcc, s[60:61], exec
	s_and_b64 s[60:61], s[62:63], exec
	s_or_b64 s[60:61], vcc, s[60:61]
	s_andn2_b64 exec, exec, s[58:59]
	s_cbranch_execz .LBB8_90
.LBB8_86:                               ;   Parent Loop BB8_47 Depth=1
                                        ; =>  This Inner Loop Header: Depth=2
	s_add_i32 s68, s68, 1
	s_cmpk_lg_i32 s68, 0x2710
	s_cselect_b64 s[64:65], -1, 0
	s_and_b64 vcc, exec, s[64:65]
                                        ; implicit-def: $sgpr66_sgpr67
	s_cbranch_vccnz .LBB8_88
; %bb.87:                               ;   in Loop: Header=BB8_86 Depth=2
	s_trap 2
	ds_read_b64 v[10:11], v0
	s_andn2_b64 s[64:65], s[64:65], exec
	s_mov_b32 s68, 0
	s_mov_b64 s[66:67], -1
	s_waitcnt lgkmcnt(0)
	flat_load_dword v2, v[10:11] sc0 sc1
	s_waitcnt vmcnt(0) lgkmcnt(0)
	buffer_inv sc0 sc1
	v_cmp_eq_u32_e32 vcc, 0, v2
	s_and_b64 vcc, vcc, exec
	s_or_b64 s[64:65], s[64:65], vcc
.LBB8_88:                               ;   in Loop: Header=BB8_86 Depth=2
	s_andn2_b64 s[62:63], s[62:63], exec
	s_and_b64 s[66:67], s[66:67], exec
	s_mov_b64 vcc, -1
	s_or_b64 s[62:63], s[62:63], s[66:67]
	s_and_saveexec_b64 s[66:67], s[64:65]
	s_cbranch_execz .LBB8_85
; %bb.89:                               ;   in Loop: Header=BB8_86 Depth=2
	s_sleep 1
	s_trap 2
	ds_read_b64 v[10:11], v0
	s_andn2_b64 s[62:63], s[62:63], exec
	s_waitcnt lgkmcnt(0)
	v_cmp_ge_u64_e32 vcc, v[10:11], v[12:13]
	s_orn2_b64 vcc, vcc, exec
	s_branch .LBB8_85
.LBB8_90:                               ;   in Loop: Header=BB8_47 Depth=1
	s_or_b64 exec, exec, s[58:59]
	s_and_saveexec_b64 vcc, s[60:61]
	s_xor_b64 vcc, exec, vcc
	s_cbranch_execz .LBB8_92
; %bb.91:                               ;   in Loop: Header=BB8_47 Depth=1
	ds_write_b32 v0, v42
	s_trap 2
.LBB8_92:                               ;   in Loop: Header=BB8_47 Depth=1
	s_or_b64 exec, exec, s[56:57]
	;;#ASMSTART
	s_wakeup
	;;#ASMEND
.LBB8_93:                               ;   in Loop: Header=BB8_47 Depth=1
	s_or_b64 exec, exec, s[54:55]
.LBB8_94:                               ;   in Loop: Header=BB8_47 Depth=1
	s_andn2_saveexec_b64 vcc, s[30:31]
	s_cbranch_execz .LBB8_96
; %bb.95:                               ;   in Loop: Header=BB8_47 Depth=1
	s_waitcnt lgkmcnt(0)
	s_barrier
.LBB8_96:                               ;   in Loop: Header=BB8_47 Depth=1
	s_or_b64 exec, exec, vcc
.LBB8_97:                               ;   in Loop: Header=BB8_47 Depth=1
	s_or_b64 exec, exec, s[24:25]
	s_trap 2
	ds_read_b32 v9, v0
	v_and_b32_e32 v2, 0x4000, v62
	v_cmp_ne_u32_e32 vcc, 0, v2
	s_xor_b64 s[24:25], s[4:5], -1
	s_and_b64 vcc, s[24:25], vcc
	s_and_saveexec_b64 s[24:25], vcc
	s_cbranch_execz .LBB8_116
; %bb.98:                               ;   in Loop: Header=BB8_47 Depth=1
	s_and_saveexec_b64 vcc, s[40:41]
	s_xor_b64 s[30:31], exec, vcc
	s_cbranch_execz .LBB8_113
; %bb.99:                               ;   in Loop: Header=BB8_47 Depth=1
	s_and_saveexec_b64 s[54:55], s[14:15]
	s_cbranch_execz .LBB8_112
; %bb.100:                              ;   in Loop: Header=BB8_47 Depth=1
	s_mov_b64 s[58:59], exec
	v_mbcnt_lo_u32_b32 v2, s58, 0
	v_mbcnt_hi_u32_b32 v2, s59, v2
	v_cmp_eq_u32_e32 vcc, 0, v2
	s_waitcnt lgkmcnt(0)
	s_and_saveexec_b64 s[56:57], vcc
	s_cbranch_execz .LBB8_102
; %bb.101:                              ;   in Loop: Header=BB8_47 Depth=1
	s_bcnt1_i32_b64 vcc_lo, s[58:59]
	v_mov_b32_e32 v2, vcc_lo
	ds_add_u64 v0, v[2:3]
	s_trap 2
.LBB8_102:                              ;   in Loop: Header=BB8_47 Depth=1
	s_or_b64 exec, exec, s[56:57]
	s_trap 2
	ds_read_b64 v[10:11], v0
	v_lshl_add_u64 v[12:13], v[12:13], 0, v[34:35]
	s_waitcnt lgkmcnt(0)
	v_cmp_lt_u64_e32 vcc, v[10:11], v[12:13]
	s_and_saveexec_b64 s[56:57], vcc
	s_cbranch_execz .LBB8_111
; %bb.103:                              ;   in Loop: Header=BB8_47 Depth=1
	s_mov_b32 s68, 0
	s_mov_b64 s[58:59], 0
                                        ; implicit-def: $sgpr60_sgpr61
                                        ; implicit-def: $sgpr62_sgpr63
	s_branch .LBB8_105
.LBB8_104:                              ;   in Loop: Header=BB8_105 Depth=2
	s_or_b64 exec, exec, s[66:67]
	s_and_b64 vcc, exec, vcc
	s_or_b64 s[58:59], vcc, s[58:59]
	s_andn2_b64 vcc, s[60:61], exec
	s_and_b64 s[60:61], s[62:63], exec
	s_or_b64 s[60:61], vcc, s[60:61]
	s_andn2_b64 exec, exec, s[58:59]
	s_cbranch_execz .LBB8_109
.LBB8_105:                              ;   Parent Loop BB8_47 Depth=1
                                        ; =>  This Inner Loop Header: Depth=2
	s_add_i32 s68, s68, 1
	s_cmpk_lg_i32 s68, 0x2710
	s_cselect_b64 s[64:65], -1, 0
	s_and_b64 vcc, exec, s[64:65]
                                        ; implicit-def: $sgpr66_sgpr67
	s_cbranch_vccnz .LBB8_107
; %bb.106:                              ;   in Loop: Header=BB8_105 Depth=2
	s_trap 2
	ds_read_b64 v[10:11], v0
	s_andn2_b64 s[64:65], s[64:65], exec
	s_mov_b32 s68, 0
	s_mov_b64 s[66:67], -1
	s_waitcnt lgkmcnt(0)
	flat_load_dword v2, v[10:11] sc0 sc1
	s_waitcnt vmcnt(0) lgkmcnt(0)
	buffer_inv sc0 sc1
	v_cmp_eq_u32_e32 vcc, 0, v2
	s_and_b64 vcc, vcc, exec
	s_or_b64 s[64:65], s[64:65], vcc
.LBB8_107:                              ;   in Loop: Header=BB8_105 Depth=2
	s_andn2_b64 s[62:63], s[62:63], exec
	s_and_b64 s[66:67], s[66:67], exec
	s_mov_b64 vcc, -1
	s_or_b64 s[62:63], s[62:63], s[66:67]
	s_and_saveexec_b64 s[66:67], s[64:65]
	s_cbranch_execz .LBB8_104
; %bb.108:                              ;   in Loop: Header=BB8_105 Depth=2
	s_sleep 1
	s_trap 2
	ds_read_b64 v[10:11], v0
	s_andn2_b64 s[62:63], s[62:63], exec
	s_waitcnt lgkmcnt(0)
	v_cmp_ge_u64_e32 vcc, v[10:11], v[12:13]
	s_orn2_b64 vcc, vcc, exec
	s_branch .LBB8_104
.LBB8_109:                              ;   in Loop: Header=BB8_47 Depth=1
	s_or_b64 exec, exec, s[58:59]
	s_and_saveexec_b64 vcc, s[60:61]
	s_xor_b64 vcc, exec, vcc
	s_cbranch_execz .LBB8_111
; %bb.110:                              ;   in Loop: Header=BB8_47 Depth=1
	ds_write_b32 v0, v42
	s_trap 2
.LBB8_111:                              ;   in Loop: Header=BB8_47 Depth=1
	s_or_b64 exec, exec, s[56:57]
	;;#ASMSTART
	s_wakeup
	;;#ASMEND
.LBB8_112:                              ;   in Loop: Header=BB8_47 Depth=1
	s_or_b64 exec, exec, s[54:55]
.LBB8_113:                              ;   in Loop: Header=BB8_47 Depth=1
	s_andn2_saveexec_b64 vcc, s[30:31]
	s_cbranch_execz .LBB8_115
; %bb.114:                              ;   in Loop: Header=BB8_47 Depth=1
	s_waitcnt lgkmcnt(0)
	s_barrier
.LBB8_115:                              ;   in Loop: Header=BB8_47 Depth=1
	s_or_b64 exec, exec, vcc
.LBB8_116:                              ;   in Loop: Header=BB8_47 Depth=1
	s_or_b64 exec, exec, s[24:25]
	s_trap 2
	ds_read_b64 v[10:11], v0
	s_waitcnt lgkmcnt(0)
	v_readfirstlane_b32 s24, v10
	v_readfirstlane_b32 s25, v11
	s_cmp_eq_u64 s[24:25], 0
	s_cselect_b64 s[24:25], -1, 0
	s_or_b64 vcc, s[24:25], s[24:25]
	s_mov_b64 s[24:25], 0
	s_and_b64 vcc, exec, vcc
	s_cbranch_vccnz .LBB8_123
; %bb.117:                              ;   in Loop: Header=BB8_47 Depth=1
	s_mov_b64 s[24:25], -1
	s_and_saveexec_b64 s[30:31], s[16:17]
	s_cbranch_execz .LBB8_119
; %bb.118:                              ;   in Loop: Header=BB8_47 Depth=1
	ds_read_b32 v2, v0 offset:720
	s_waitcnt lgkmcnt(0)
	v_and_b32_e32 v2, 15, v2
	v_cmp_eq_u32_e32 vcc, 0, v2
	s_orn2_b64 s[24:25], vcc, exec
.LBB8_119:                              ;   in Loop: Header=BB8_47 Depth=1
	s_or_b64 exec, exec, s[30:31]
	s_and_saveexec_b64 s[30:31], s[18:19]
	s_cbranch_execz .LBB8_121
; %bb.120:                              ;   in Loop: Header=BB8_47 Depth=1
	ds_read_b32 v2, v0 offset:784
	s_waitcnt lgkmcnt(0)
	v_and_b32_e32 v2, 15, v2
	v_cmp_eq_u32_e32 vcc, 0, v2
	s_and_b64 vcc, s[24:25], vcc
	s_andn2_b64 s[24:25], s[24:25], exec
	s_and_b64 vcc, vcc, exec
	s_or_b64 s[24:25], s[24:25], vcc
.LBB8_121:                              ;   in Loop: Header=BB8_47 Depth=1
	s_or_b64 exec, exec, s[30:31]
	v_cmp_eq_u32_e32 vcc, 0, v9
	s_xor_b64 s[24:25], s[24:25], -1
	v_cndmask_b32_e64 v4, 0, 1, s[24:25]
	v_cndmask_b32_e32 v2, 0, v8, vcc
	v_mov_b32_e32 v18, 0
	v_lshlrev_b32_e32 v9, 1, v2
	s_mov_b64 s[54:55], -1
	;;#ASMSTART
	;;#ASMEND
	s_nop 0
	v_cmp_ne_u32_e32 vcc, 0, v4
	s_cbranch_vccz .LBB8_129
; %bb.122:                              ;   in Loop: Header=BB8_47 Depth=1
	v_mov_b32_e32 v4, v52
	v_mov_b32_e32 v14, v47
	s_and_saveexec_b64 s[24:25], s[54:55]
	s_cbranch_execnz .LBB8_142
	s_branch .LBB8_150
.LBB8_123:                              ;   in Loop: Header=BB8_47 Depth=1
	s_and_saveexec_b64 s[30:31], s[6:7]
	s_cbranch_execnz .LBB8_151
.LBB8_124:                              ;   in Loop: Header=BB8_47 Depth=1
	s_or_b64 exec, exec, s[30:31]
                                        ; implicit-def: $vgpr2
	s_and_saveexec_b64 vcc, s[22:23]
	s_xor_b64 s[30:31], exec, vcc
	s_cbranch_execz .LBB8_169
.LBB8_125:                              ;   in Loop: Header=BB8_47 Depth=1
	v_and_b32_e32 v4, 16, v62
	v_cmp_ne_u32_e32 vcc, 0, v4
	v_and_b32_e32 v2, 16, v62
	s_and_b64 vcc, vcc, s[24:25]
	s_and_saveexec_b64 s[24:25], vcc
	s_cbranch_execz .LBB8_127
; %bb.126:                              ;   in Loop: Header=BB8_47 Depth=1
	v_mov_b32_e32 v2, 1
	buffer_wbl2 sc1
	s_waitcnt vmcnt(0) lgkmcnt(0)
	buffer_inv sc1
.LBB8_127:                              ;   in Loop: Header=BB8_47 Depth=1
	s_or_b64 exec, exec, s[24:25]
	s_andn2_saveexec_b64 s[24:25], s[30:31]
	s_cbranch_execnz .LBB8_170
.LBB8_128:                              ;   in Loop: Header=BB8_47 Depth=1
	s_or_b64 exec, exec, s[24:25]
	v_cmp_ne_u32_e32 vcc, 0, v2
	s_and_saveexec_b64 s[24:25], vcc
	s_cbranch_execnz .LBB8_188
	s_branch .LBB8_191
.LBB8_129:                              ;   in Loop: Header=BB8_47 Depth=1
	v_ashrrev_i32_e32 v4, 31, v9
	v_lshrrev_b32_e32 v4, 20, v4
	v_add_u32_e32 v4, v9, v4
	v_ashrrev_i32_e32 v4, 12, v4
	v_sub_u32_e32 v17, v4, v47
	v_cmp_lt_i32_e32 vcc, 0, v17
	s_and_saveexec_b64 s[24:25], vcc
	s_cbranch_execz .LBB8_133
; %bb.130:                              ;   in Loop: Header=BB8_47 Depth=1
	s_trap 2
	ds_read_b64 v[10:11], v0
	v_accvgpr_read_b32 v43, a37
	s_mov_b64 s[30:31], 0
	v_accvgpr_read_b32 v42, a36
	s_waitcnt lgkmcnt(0)
	v_mov_b64_e32 v[14:15], v[10:11]
.LBB8_131:                              ;   Parent Loop BB8_47 Depth=1
                                        ; =>  This Inner Loop Header: Depth=2
	v_lshl_add_u64 v[18:19], v[42:43], 0, v[14:15]
	global_load_dwordx4 v[46:49], v[18:19], off nt
	global_load_dwordx4 v[28:31], v[18:19], off offset:1024 nt
	global_load_dwordx4 v[24:27], v[18:19], off offset:2048 nt
	;; [unrolled: 1-line block ×3, first 2 shown]
	v_sub_u32_e32 v17, v17, v34
	v_cmp_gt_i32_e32 vcc, 1, v17
	v_lshl_add_u64 v[18:19], v[42:43], 0, v[10:11]
	v_lshl_add_u64 v[14:15], v[14:15], 0, v[6:7]
	;; [unrolled: 1-line block ×3, first 2 shown]
	s_or_b64 s[30:31], vcc, s[30:31]
	s_waitcnt vmcnt(0)
	global_store_dwordx4 v[18:19], v[46:49], off nt
	s_waitcnt vmcnt(3)
	global_store_dwordx4 v[18:19], v[28:31], off offset:1024 nt
	s_waitcnt vmcnt(3)
	global_store_dwordx4 v[18:19], v[24:27], off offset:2048 nt
	;; [unrolled: 2-line block ×3, first 2 shown]
	s_andn2_b64 exec, exec, s[30:31]
	s_cbranch_execnz .LBB8_131
; %bb.132:                              ;   in Loop: Header=BB8_47 Depth=1
	s_or_b64 exec, exec, s[30:31]
	v_accvgpr_read_b32 v49, a23
	v_accvgpr_read_b32 v37, a29
	;; [unrolled: 1-line block ×9, first 2 shown]
	v_mov_b32_e32 v42, 1
	v_accvgpr_read_b32 v27, a43
.LBB8_133:                              ;   in Loop: Header=BB8_47 Depth=1
	s_or_b64 exec, exec, s[24:25]
	v_lshlrev_b32_e32 v16, 12, v4
	v_cmp_ne_u32_e32 vcc, v9, v16
	s_mov_b64 s[54:55], 0
	v_mov_b32_e32 v18, 0
                                        ; implicit-def: $vgpr4
                                        ; implicit-def: $vgpr14
	s_and_saveexec_b64 s[30:31], vcc
	s_cbranch_execz .LBB8_141
; %bb.134:                              ;   in Loop: Header=BB8_47 Depth=1
	v_lshlrev_b32_e32 v4, 6, v17
	v_accvgpr_read_b32 v0, a31
	v_sub_u32_e32 v4, v0, v4
	v_ashrrev_i32_e32 v11, 31, v4
	v_lshrrev_b32_e32 v11, 26, v11
	v_add_u32_e32 v11, v4, v11
	v_sub_u32_e32 v10, v9, v16
	v_ashrrev_i32_e32 v15, 6, v11
	v_and_b32_e32 v11, 0xffffffc0, v11
	v_sub_u32_e32 v17, v4, v11
	v_ashrrev_i32_e32 v11, 31, v10
	v_lshrrev_b32_e32 v11, 22, v11
	v_add_u32_e32 v11, v10, v11
	v_and_b32_e32 v19, 0xfffffc00, v11
	v_lshlrev_b32_e32 v4, 4, v17
	v_sub_u32_e32 v30, v10, v19
	v_lshl_add_u32 v14, v15, 10, v4
	v_ashrrev_i32_e32 v18, 10, v11
	v_cmp_lt_i32_e32 vcc, 15, v30
	v_sub_u32_e32 v4, v10, v14
	s_nop 0
	v_addc_co_u32_e64 v10, s[24:25], 0, v18, vcc
	v_sub_u32_e32 v25, v10, v15
	v_cmp_lt_i32_e64 s[24:25], 15, v4
	s_and_saveexec_b64 s[54:55], s[24:25]
	s_cbranch_execz .LBB8_138
; %bb.135:                              ;   in Loop: Header=BB8_47 Depth=1
	s_trap 2
	ds_read_b64 v[10:11], v0
	v_add_u32_e32 v14, v14, v16
	v_ashrrev_i32_e32 v15, 31, v14
	s_mov_b64 s[56:57], 0
.LBB8_136:                              ;   Parent Loop BB8_47 Depth=1
                                        ; =>  This Inner Loop Header: Depth=2
	s_waitcnt lgkmcnt(0)
	v_lshl_add_u64 v[36:37], v[10:11], 0, v[14:15]
	global_load_dwordx4 v[26:29], v[36:37], off nt
	v_sub_u32_e32 v4, v4, v53
	v_cmp_gt_i32_e64 s[24:25], 16, v4
	v_sub_u32_e32 v25, v25, v34
	v_lshl_add_u64 v[14:15], v[14:15], 0, v[40:41]
	s_or_b64 s[56:57], s[24:25], s[56:57]
	s_waitcnt vmcnt(0)
	global_store_dwordx4 v[36:37], v[26:29], off nt
	s_andn2_b64 exec, exec, s[56:57]
	s_cbranch_execnz .LBB8_136
; %bb.137:                              ;   in Loop: Header=BB8_47 Depth=1
	s_or_b64 exec, exec, s[56:57]
	v_accvgpr_read_b32 v37, a29
	v_accvgpr_read_b32 v28, a34
	v_accvgpr_read_b32 v26, a42
	v_accvgpr_read_b32 v36, a28
	v_accvgpr_read_b32 v29, a35
	v_accvgpr_read_b32 v27, a43
.LBB8_138:                              ;   in Loop: Header=BB8_47 Depth=1
	s_or_b64 exec, exec, s[54:55]
	v_and_b32_e32 v10, 14, v9
	v_cndmask_b32_e32 v9, v30, v10, vcc
	v_cmp_ne_u32_e64 s[24:25], 0, v9
	s_mov_b64 s[54:55], 0
	v_mov_b32_e32 v18, 0
                                        ; implicit-def: $vgpr4
                                        ; implicit-def: $vgpr14
	s_and_saveexec_b64 s[56:57], s[24:25]
	s_cbranch_execz .LBB8_140
; %bb.139:                              ;   in Loop: Header=BB8_47 Depth=1
	v_sub_u32_e32 v4, v30, v10
	v_cndmask_b32_e32 v4, 0, v4, vcc
	v_cmp_lt_i32_e32 vcc, 0, v25
	v_add3_u32 v18, v19, v16, v4
	s_mov_b64 s[54:55], exec
	v_cndmask_b32_e32 v4, 0, v34, vcc
	v_sub_u32_e32 v4, v4, v25
	v_lshl_add_u32 v4, v4, 6, v17
	v_ashrrev_i32_e32 v10, 31, v4
	v_lshrrev_b32_e32 v10, 26, v10
	v_add_u32_e32 v10, v4, v10
	v_ashrrev_i32_e32 v14, 6, v10
.LBB8_140:                              ;   in Loop: Header=BB8_47 Depth=1
	s_or_b64 exec, exec, s[56:57]
	s_and_b64 s[54:55], s[54:55], exec
.LBB8_141:                              ;   in Loop: Header=BB8_47 Depth=1
	s_or_b64 exec, exec, s[30:31]
	s_and_saveexec_b64 s[24:25], s[54:55]
	s_cbranch_execz .LBB8_150
.LBB8_142:                              ;   in Loop: Header=BB8_47 Depth=1
	v_ashrrev_i32_e32 v10, 31, v9
	v_lshrrev_b32_e32 v10, 22, v10
	v_add_u32_e32 v10, v9, v10
	v_ashrrev_i32_e32 v30, 10, v10
	v_sub_u32_e32 v19, v30, v14
	v_ashrrev_i32_e32 v10, 31, v4
	v_cmp_lt_i32_e32 vcc, 0, v19
	v_lshrrev_b32_e32 v25, 26, v10
	s_and_saveexec_b64 s[30:31], vcc
	s_cbranch_execz .LBB8_146
; %bb.143:                              ;   in Loop: Header=BB8_47 Depth=1
	s_trap 2
	ds_read_b64 v[10:11], v0
	v_add_u32_e32 v15, v4, v25
	v_and_b32_e32 v15, 0x7fffffc0, v15
	v_sub_u32_e32 v15, v4, v15
	v_lshlrev_b32_e32 v15, 1, v15
	v_lshlrev_b32_e32 v14, 10, v14
	v_add3_u32 v14, v15, v18, v14
	v_ashrrev_i32_e32 v15, 31, v14
	s_mov_b64 s[54:55], 0
	s_waitcnt lgkmcnt(0)
	v_mov_b64_e32 v[16:17], v[10:11]
.LBB8_144:                              ;   Parent Loop BB8_47 Depth=1
                                        ; =>  This Inner Loop Header: Depth=2
	v_lshl_add_u64 v[26:27], v[14:15], 0, v[16:17]
	flat_load_ushort v24, v[26:27] nt
	flat_load_ushort v28, v[26:27] offset:128 nt
	flat_load_ushort v29, v[26:27] offset:256 nt
	;; [unrolled: 1-line block ×7, first 2 shown]
	v_sub_u32_e32 v19, v19, v34
	v_cmp_gt_i32_e32 vcc, 1, v19
	v_lshl_add_u64 v[26:27], v[14:15], 0, v[10:11]
	v_lshl_add_u64 v[16:17], v[16:17], 0, v[40:41]
	;; [unrolled: 1-line block ×3, first 2 shown]
	s_or_b64 s[54:55], vcc, s[54:55]
	s_waitcnt vmcnt(0) lgkmcnt(0)
	flat_store_short v[26:27], v24 nt
	flat_store_short v[26:27], v28 offset:128 nt
	flat_store_short v[26:27], v29 offset:256 nt
	flat_store_short v[26:27], v31 offset:384 nt
	flat_store_short v[26:27], v36 offset:512 nt
	flat_store_short v[26:27], v37 offset:640 nt
	flat_store_short v[26:27], v38 offset:768 nt
	flat_store_short v[26:27], v39 offset:896 nt
	s_andn2_b64 exec, exec, s[54:55]
	s_cbranch_execnz .LBB8_144
; %bb.145:                              ;   in Loop: Header=BB8_47 Depth=1
	s_or_b64 exec, exec, s[54:55]
	v_accvgpr_read_b32 v37, a29
	v_accvgpr_read_b32 v28, a34
	;; [unrolled: 1-line block ×7, first 2 shown]
.LBB8_146:                              ;   in Loop: Header=BB8_47 Depth=1
	s_or_b64 exec, exec, s[30:31]
	v_lshlrev_b32_e32 v10, 10, v30
	v_cmp_ne_u32_e32 vcc, v9, v10
	s_and_b64 exec, exec, vcc
	s_cbranch_execz .LBB8_150
; %bb.147:                              ;   in Loop: Header=BB8_47 Depth=1
	v_add_u32_e32 v11, v4, v25
	v_and_b32_e32 v11, 0xffffffc0, v11
	v_sub_u32_e32 v4, v4, v11
	v_lshlrev_b32_e32 v11, 6, v19
	v_sub_u32_e32 v4, v4, v11
	v_ashrrev_i32_e32 v11, 31, v4
	v_lshrrev_b32_e32 v11, 26, v11
	v_add_u32_e32 v11, v4, v11
	v_and_b32_e32 v14, 0x7fffffc0, v11
	v_sub_u32_e32 v4, v4, v14
	v_lshlrev_b32_e32 v11, 1, v11
	v_and_b32_e32 v11, 0xffffff80, v11
	v_lshlrev_b32_e32 v4, 1, v4
	v_add3_u32 v14, v11, v4, v10
	v_sub_u32_e32 v4, v9, v14
	v_cmp_lt_i32_e32 vcc, 1, v4
	s_and_b64 exec, exec, vcc
	s_cbranch_execz .LBB8_150
; %bb.148:                              ;   in Loop: Header=BB8_47 Depth=1
	s_trap 2
	ds_read_b64 v[10:11], v0
	v_add_u32_e32 v14, v14, v18
	v_ashrrev_i32_e32 v15, 31, v14
	s_mov_b64 s[30:31], 0
.LBB8_149:                              ;   Parent Loop BB8_47 Depth=1
                                        ; =>  This Inner Loop Header: Depth=2
	s_waitcnt lgkmcnt(0)
	v_lshl_add_u64 v[16:17], v[10:11], 0, v[14:15]
	flat_load_ushort v9, v[16:17] nt
	v_sub_u32_e32 v4, v4, v59
	v_cmp_gt_i32_e32 vcc, 2, v4
	v_lshl_add_u64 v[14:15], v[14:15], 0, v[28:29]
	s_or_b64 s[30:31], vcc, s[30:31]
	s_waitcnt vmcnt(0) lgkmcnt(0)
	flat_store_short v[16:17], v9 nt
	s_andn2_b64 exec, exec, s[30:31]
	s_cbranch_execnz .LBB8_149
.LBB8_150:                              ;   in Loop: Header=BB8_47 Depth=1
	s_or_b64 exec, exec, s[24:25]
	v_cmp_lt_i32_e64 s[24:25], 0, v2
	s_and_saveexec_b64 s[30:31], s[6:7]
	s_cbranch_execz .LBB8_124
.LBB8_151:                              ;   in Loop: Header=BB8_47 Depth=1
	s_and_saveexec_b64 vcc, s[40:41]
	s_xor_b64 s[54:55], exec, vcc
	s_cbranch_execz .LBB8_166
; %bb.152:                              ;   in Loop: Header=BB8_47 Depth=1
	s_and_saveexec_b64 s[56:57], s[14:15]
	s_cbranch_execz .LBB8_165
; %bb.153:                              ;   in Loop: Header=BB8_47 Depth=1
	s_mov_b64 s[60:61], exec
	v_mbcnt_lo_u32_b32 v2, s60, 0
	v_mbcnt_hi_u32_b32 v2, s61, v2
	v_cmp_eq_u32_e32 vcc, 0, v2
	s_waitcnt lgkmcnt(0)
	s_and_saveexec_b64 s[58:59], vcc
	s_cbranch_execz .LBB8_155
; %bb.154:                              ;   in Loop: Header=BB8_47 Depth=1
	s_bcnt1_i32_b64 vcc_lo, s[60:61]
	v_mov_b32_e32 v2, vcc_lo
	ds_add_u64 v0, v[2:3]
	s_trap 2
.LBB8_155:                              ;   in Loop: Header=BB8_47 Depth=1
	s_or_b64 exec, exec, s[58:59]
	s_trap 2
	ds_read_b64 v[10:11], v0
	v_lshl_add_u64 v[12:13], v[12:13], 0, v[34:35]
	s_waitcnt lgkmcnt(0)
	v_cmp_lt_u64_e32 vcc, v[10:11], v[12:13]
	s_and_saveexec_b64 s[58:59], vcc
	s_cbranch_execz .LBB8_164
; %bb.156:                              ;   in Loop: Header=BB8_47 Depth=1
	s_mov_b32 s70, 0
	s_mov_b64 s[60:61], 0
                                        ; implicit-def: $sgpr62_sgpr63
                                        ; implicit-def: $sgpr64_sgpr65
	s_branch .LBB8_158
.LBB8_157:                              ;   in Loop: Header=BB8_158 Depth=2
	s_or_b64 exec, exec, s[68:69]
	s_and_b64 vcc, exec, vcc
	s_or_b64 s[60:61], vcc, s[60:61]
	s_andn2_b64 vcc, s[62:63], exec
	s_and_b64 s[62:63], s[64:65], exec
	s_or_b64 s[62:63], vcc, s[62:63]
	s_andn2_b64 exec, exec, s[60:61]
	s_cbranch_execz .LBB8_162
.LBB8_158:                              ;   Parent Loop BB8_47 Depth=1
                                        ; =>  This Inner Loop Header: Depth=2
	s_add_i32 s70, s70, 1
	s_cmpk_lg_i32 s70, 0x2710
	s_cselect_b64 s[66:67], -1, 0
	s_and_b64 vcc, exec, s[66:67]
                                        ; implicit-def: $sgpr68_sgpr69
	s_cbranch_vccnz .LBB8_160
; %bb.159:                              ;   in Loop: Header=BB8_158 Depth=2
	s_trap 2
	ds_read_b64 v[10:11], v0
	s_andn2_b64 s[66:67], s[66:67], exec
	s_mov_b32 s70, 0
	s_mov_b64 s[68:69], -1
	s_waitcnt vmcnt(0) lgkmcnt(0)
	flat_load_dword v2, v[10:11] sc0 sc1
	s_waitcnt vmcnt(0) lgkmcnt(0)
	buffer_inv sc0 sc1
	v_cmp_eq_u32_e32 vcc, 0, v2
	s_and_b64 vcc, vcc, exec
	s_or_b64 s[66:67], s[66:67], vcc
.LBB8_160:                              ;   in Loop: Header=BB8_158 Depth=2
	s_andn2_b64 s[64:65], s[64:65], exec
	s_and_b64 s[68:69], s[68:69], exec
	s_mov_b64 vcc, -1
	s_or_b64 s[64:65], s[64:65], s[68:69]
	s_and_saveexec_b64 s[68:69], s[66:67]
	s_cbranch_execz .LBB8_157
; %bb.161:                              ;   in Loop: Header=BB8_158 Depth=2
	s_sleep 1
	s_trap 2
	ds_read_b64 v[10:11], v0
	s_andn2_b64 s[64:65], s[64:65], exec
	s_waitcnt lgkmcnt(0)
	v_cmp_ge_u64_e32 vcc, v[10:11], v[12:13]
	s_orn2_b64 vcc, vcc, exec
	s_branch .LBB8_157
.LBB8_162:                              ;   in Loop: Header=BB8_47 Depth=1
	s_or_b64 exec, exec, s[60:61]
	s_and_saveexec_b64 vcc, s[62:63]
	s_xor_b64 vcc, exec, vcc
	s_cbranch_execz .LBB8_164
; %bb.163:                              ;   in Loop: Header=BB8_47 Depth=1
	ds_write_b32 v0, v42
	s_trap 2
.LBB8_164:                              ;   in Loop: Header=BB8_47 Depth=1
	s_or_b64 exec, exec, s[58:59]
	;;#ASMSTART
	s_wakeup
	;;#ASMEND
.LBB8_165:                              ;   in Loop: Header=BB8_47 Depth=1
	s_or_b64 exec, exec, s[56:57]
.LBB8_166:                              ;   in Loop: Header=BB8_47 Depth=1
	s_andn2_saveexec_b64 vcc, s[54:55]
	s_cbranch_execz .LBB8_168
; %bb.167:                              ;   in Loop: Header=BB8_47 Depth=1
	s_waitcnt lgkmcnt(0)
	s_barrier
.LBB8_168:                              ;   in Loop: Header=BB8_47 Depth=1
	s_or_b64 exec, exec, vcc
	s_or_b64 exec, exec, s[30:31]
                                        ; implicit-def: $vgpr2
	s_and_saveexec_b64 vcc, s[22:23]
	s_xor_b64 s[30:31], exec, vcc
	s_cbranch_execnz .LBB8_125
.LBB8_169:                              ;   in Loop: Header=BB8_47 Depth=1
	s_andn2_saveexec_b64 s[24:25], s[30:31]
	s_cbranch_execz .LBB8_128
.LBB8_170:                              ;   in Loop: Header=BB8_47 Depth=1
	s_and_saveexec_b64 vcc, s[40:41]
	s_xor_b64 s[30:31], exec, vcc
	s_cbranch_execz .LBB8_185
; %bb.171:                              ;   in Loop: Header=BB8_47 Depth=1
	s_and_saveexec_b64 s[54:55], s[14:15]
	s_cbranch_execz .LBB8_184
; %bb.172:                              ;   in Loop: Header=BB8_47 Depth=1
	s_mov_b64 s[58:59], exec
	v_mbcnt_lo_u32_b32 v2, s58, 0
	v_mbcnt_hi_u32_b32 v2, s59, v2
	v_cmp_eq_u32_e32 vcc, 0, v2
	;;#ASMSTART
	s_waitcnt lgkmcnt(0) vmcnt(0)
	;;#ASMEND
	s_and_saveexec_b64 s[56:57], vcc
	s_cbranch_execz .LBB8_174
; %bb.173:                              ;   in Loop: Header=BB8_47 Depth=1
	s_bcnt1_i32_b64 vcc_lo, s[58:59]
	v_mov_b32_e32 v2, vcc_lo
	ds_add_u64 v0, v[2:3]
	s_trap 2
.LBB8_174:                              ;   in Loop: Header=BB8_47 Depth=1
	s_or_b64 exec, exec, s[56:57]
	s_trap 2
	ds_read_b64 v[10:11], v0
	v_lshl_add_u64 v[12:13], v[12:13], 0, v[34:35]
	s_waitcnt lgkmcnt(0)
	v_cmp_lt_u64_e32 vcc, v[10:11], v[12:13]
	s_and_saveexec_b64 s[56:57], vcc
	s_cbranch_execz .LBB8_183
; %bb.175:                              ;   in Loop: Header=BB8_47 Depth=1
	s_mov_b32 s68, 0
	s_mov_b64 s[58:59], 0
                                        ; implicit-def: $sgpr60_sgpr61
                                        ; implicit-def: $sgpr62_sgpr63
	s_branch .LBB8_177
.LBB8_176:                              ;   in Loop: Header=BB8_177 Depth=2
	s_or_b64 exec, exec, s[66:67]
	s_and_b64 vcc, exec, vcc
	s_or_b64 s[58:59], vcc, s[58:59]
	s_andn2_b64 vcc, s[60:61], exec
	s_and_b64 s[60:61], s[62:63], exec
	s_or_b64 s[60:61], vcc, s[60:61]
	s_andn2_b64 exec, exec, s[58:59]
	s_cbranch_execz .LBB8_181
.LBB8_177:                              ;   Parent Loop BB8_47 Depth=1
                                        ; =>  This Inner Loop Header: Depth=2
	s_add_i32 s68, s68, 1
	s_cmpk_lg_i32 s68, 0x2710
	s_cselect_b64 s[64:65], -1, 0
	s_and_b64 vcc, exec, s[64:65]
                                        ; implicit-def: $sgpr66_sgpr67
	s_cbranch_vccnz .LBB8_179
; %bb.178:                              ;   in Loop: Header=BB8_177 Depth=2
	s_trap 2
	ds_read_b64 v[10:11], v0
	s_andn2_b64 s[64:65], s[64:65], exec
	s_mov_b32 s68, 0
	s_mov_b64 s[66:67], -1
	s_waitcnt vmcnt(0) lgkmcnt(0)
	flat_load_dword v2, v[10:11] sc0 sc1
	s_waitcnt vmcnt(0) lgkmcnt(0)
	buffer_inv sc0 sc1
	v_cmp_eq_u32_e32 vcc, 0, v2
	s_and_b64 vcc, vcc, exec
	s_or_b64 s[64:65], s[64:65], vcc
.LBB8_179:                              ;   in Loop: Header=BB8_177 Depth=2
	s_andn2_b64 s[62:63], s[62:63], exec
	s_and_b64 s[66:67], s[66:67], exec
	s_mov_b64 vcc, -1
	s_or_b64 s[62:63], s[62:63], s[66:67]
	s_and_saveexec_b64 s[66:67], s[64:65]
	s_cbranch_execz .LBB8_176
; %bb.180:                              ;   in Loop: Header=BB8_177 Depth=2
	s_sleep 1
	s_trap 2
	ds_read_b64 v[10:11], v0
	s_andn2_b64 s[62:63], s[62:63], exec
	s_waitcnt lgkmcnt(0)
	v_cmp_ge_u64_e32 vcc, v[10:11], v[12:13]
	s_orn2_b64 vcc, vcc, exec
	s_branch .LBB8_176
.LBB8_181:                              ;   in Loop: Header=BB8_47 Depth=1
	s_or_b64 exec, exec, s[58:59]
	s_and_saveexec_b64 vcc, s[60:61]
	s_xor_b64 vcc, exec, vcc
	s_cbranch_execz .LBB8_183
; %bb.182:                              ;   in Loop: Header=BB8_47 Depth=1
	ds_write_b32 v0, v42
	s_trap 2
.LBB8_183:                              ;   in Loop: Header=BB8_47 Depth=1
	s_or_b64 exec, exec, s[56:57]
	;;#ASMSTART
	s_wakeup
	;;#ASMEND
.LBB8_184:                              ;   in Loop: Header=BB8_47 Depth=1
	s_or_b64 exec, exec, s[54:55]
.LBB8_185:                              ;   in Loop: Header=BB8_47 Depth=1
	s_andn2_saveexec_b64 vcc, s[30:31]
	s_cbranch_execz .LBB8_187
; %bb.186:                              ;   in Loop: Header=BB8_47 Depth=1
	;;#ASMSTART
	s_waitcnt lgkmcnt(0) vmcnt(0)
	;;#ASMEND
	s_barrier
.LBB8_187:                              ;   in Loop: Header=BB8_47 Depth=1
	s_or_b64 exec, exec, vcc
	v_and_b32_e32 v2, 16, v62
	s_or_b64 exec, exec, s[24:25]
	v_cmp_ne_u32_e32 vcc, 0, v2
	s_and_saveexec_b64 s[24:25], vcc
	s_cbranch_execz .LBB8_191
.LBB8_188:                              ;   in Loop: Header=BB8_47 Depth=1
	s_and_saveexec_b64 vcc, s[12:13]
	s_cbranch_execz .LBB8_190
; %bb.189:                              ;   in Loop: Header=BB8_47 Depth=1
	flat_store_dword v[50:51], v42 sc0 sc1
.LBB8_190:                              ;   in Loop: Header=BB8_47 Depth=1
	s_or_b64 exec, exec, vcc
	v_lshl_add_u64 v[20:21], v[20:21], 0, 4
	flat_store_dwordx2 v[22:23], v[20:21] sc0 sc1
.LBB8_191:                              ;   in Loop: Header=BB8_47 Depth=1
	s_or_b64 exec, exec, s[24:25]
	v_mov_b32_e32 v2, v8
.LBB8_192:                              ;   in Loop: Header=BB8_47 Depth=1
	s_or_b64 exec, exec, s[28:29]
	s_and_saveexec_b64 s[28:29], s[26:27]
	s_cbranch_execz .LBB8_262
; %bb.193:                              ;   in Loop: Header=BB8_47 Depth=1
	v_and_b32_e32 v4, 8, v62
	v_cmp_ne_u32_e32 vcc, 0, v4
	s_mov_b64 s[26:27], -1
	s_and_saveexec_b64 s[24:25], vcc
	s_cbranch_execz .LBB8_205
; %bb.194:                              ;   in Loop: Header=BB8_47 Depth=1
	v_lshl_add_u64 v[14:15], v[32:33], 0, 8
	v_lshl_add_u64 v[10:11], v[20:21], 0, 4
	v_cmp_lt_u64_e32 vcc, v[14:15], v[10:11]
	v_mov_b32_e32 v4, 1
	s_and_saveexec_b64 s[26:27], vcc
	s_cbranch_execz .LBB8_204
; %bb.195:                              ;   in Loop: Header=BB8_47 Depth=1
	s_mov_b64 s[30:31], 0
	v_mov_b32_e32 v4, 0
                                        ; implicit-def: $sgpr54_sgpr55
	s_branch .LBB8_199
.LBB8_196:                              ;   in Loop: Header=BB8_199 Depth=2
	s_or_b64 exec, exec, s[62:63]
	v_mov_b32_e32 v9, 0
	s_orn2_b64 s[60:61], s[60:61], exec
.LBB8_197:                              ;   in Loop: Header=BB8_199 Depth=2
	s_or_b64 exec, exec, s[58:59]
	s_andn2_b64 vcc, s[54:55], exec
	s_and_b64 s[54:55], s[60:61], exec
	s_or_b64 s[54:55], vcc, s[54:55]
	v_mov_b32_e32 v4, v9
.LBB8_198:                              ;   in Loop: Header=BB8_199 Depth=2
	s_or_b64 exec, exec, s[56:57]
	s_waitcnt vmcnt(0) lgkmcnt(0)
	v_lshl_add_u64 v[14:15], v[32:33], 0, 8
	v_cmp_ge_u64_e32 vcc, v[14:15], v[10:11]
	s_xor_b64 s[56:57], s[54:55], -1
	s_or_b64 vcc, s[56:57], vcc
	s_and_b64 vcc, exec, vcc
	s_or_b64 s[30:31], vcc, s[30:31]
	s_andn2_b64 exec, exec, s[30:31]
	s_cbranch_execz .LBB8_203
.LBB8_199:                              ;   Parent Loop BB8_47 Depth=1
                                        ; =>  This Inner Loop Header: Depth=2
	s_sleep 1
	flat_load_dwordx2 v[32:33], v[22:23] sc0 sc1
	v_and_b32_e32 v9, 64, v62
	v_cmp_eq_u32_e32 vcc, 0, v9
	s_andn2_b64 s[54:55], s[54:55], exec
	s_and_saveexec_b64 s[56:57], vcc
	s_cbranch_execz .LBB8_198
; %bb.200:                              ;   in Loop: Header=BB8_199 Depth=2
	v_add_u32_e32 v9, 1, v4
	v_cmp_lt_i32_e32 vcc, s75, v4
	s_mov_b64 s[60:61], -1
	s_and_saveexec_b64 s[58:59], vcc
	s_cbranch_execz .LBB8_197
; %bb.201:                              ;   in Loop: Header=BB8_199 Depth=2
	s_trap 2
	ds_read_b64 v[14:15], v0
	s_waitcnt vmcnt(0) lgkmcnt(0)
	flat_load_dword v4, v[14:15] sc0 sc1
	s_waitcnt vmcnt(0) lgkmcnt(0)
	buffer_inv sc0 sc1
	v_cmp_ne_u32_e32 vcc, 0, v4
	s_and_saveexec_b64 s[62:63], vcc
	s_cbranch_execz .LBB8_196
; %bb.202:                              ;   in Loop: Header=BB8_199 Depth=2
	v_or_b32_e32 v62, 64, v62
	s_xor_b64 s[60:61], exec, -1
	ds_write_b32 v0, v4
	s_trap 2
	s_branch .LBB8_196
.LBB8_203:                              ;   in Loop: Header=BB8_47 Depth=1
	s_or_b64 exec, exec, s[30:31]
	v_and_b32_e32 v4, 8, v62
.LBB8_204:                              ;   in Loop: Header=BB8_47 Depth=1
	s_or_b64 exec, exec, s[26:27]
	v_cmp_eq_u32_e32 vcc, 0, v4
	s_orn2_b64 s[26:27], vcc, exec
	;;#ASMSTART
	s_wakeup
	;;#ASMEND
.LBB8_205:                              ;   in Loop: Header=BB8_47 Depth=1
	s_or_b64 exec, exec, s[24:25]
	v_sub_u32_e32 v1, v1, v2
	s_xor_b64 s[24:25], s[26:27], -1
	v_min_i32_e32 v8, v8, v1
	s_and_saveexec_b64 s[26:27], s[24:25]
	s_cbranch_execz .LBB8_220
; %bb.206:                              ;   in Loop: Header=BB8_47 Depth=1
	v_and_b32_e32 v1, 0x100, v62
	v_cmp_ne_u32_e32 vcc, 0, v1
	v_and_b32_e32 v1, 7, v20
	s_mov_b64 s[24:25], -1
                                        ; implicit-def: $vgpr10_vgpr11
	s_and_saveexec_b64 s[30:31], vcc
	s_cbranch_execz .LBB8_210
; %bb.207:                              ;   in Loop: Header=BB8_47 Depth=1
	v_mad_u64_u32 v[14:15], s[24:25], v1, 24, v[44:45]
	flat_load_dword v2, v[14:15]
	v_ashrrev_i32_e32 v9, 31, v8
	v_lshlrev_b64 v[10:11], 1, v[8:9]
	flat_store_dwordx2 v[14:15], v[10:11] offset:8
                                        ; implicit-def: $vgpr10_vgpr11
	s_waitcnt vmcnt(0) lgkmcnt(0)
	v_cmp_ne_u32_e32 vcc, 1, v2
	v_cmp_eq_u32_e64 s[24:25], 1, v2
	s_and_saveexec_b64 s[54:55], s[24:25]
	s_cbranch_execz .LBB8_209
; %bb.208:                              ;   in Loop: Header=BB8_47 Depth=1
	flat_load_dword v10, v[14:15] offset:4 sc0 sc1
	s_waitcnt vmcnt(0) lgkmcnt(0)
	v_ashrrev_i32_e32 v11, 31, v10
	v_lshrrev_b64 v[10:11], 1, v[10:11]
.LBB8_209:                              ;   in Loop: Header=BB8_47 Depth=1
	s_or_b64 exec, exec, s[54:55]
	s_orn2_b64 s[24:25], vcc, exec
.LBB8_210:                              ;   in Loop: Header=BB8_47 Depth=1
	s_or_b64 exec, exec, s[30:31]
	s_and_saveexec_b64 vcc, s[24:25]
; %bb.211:                              ;   in Loop: Header=BB8_47 Depth=1
	v_mad_i64_i32 v[10:11], s[24:25], v1, v58, 0
; %bb.212:                              ;   in Loop: Header=BB8_47 Depth=1
	s_or_b64 exec, exec, vcc
	v_and_b32_e32 v1, 0x2000, v62
	v_lshl_add_u64 v[10:11], v[10:11], 1, v[60:61]
	v_cmp_ne_u32_e32 vcc, 0, v1
	ds_write_b64 v0, v[10:11] offset:784
	s_and_saveexec_b64 s[24:25], vcc
	s_cbranch_execz .LBB8_214
; %bb.213:                              ;   in Loop: Header=BB8_47 Depth=1
	ds_read_b64 v[10:11], v0 offset:584
	s_waitcnt lgkmcnt(0)
	v_lshl_add_u64 v[10:11], v[10:11], 0, 1
	ds_write_b64 v0, v[10:11] offset:584
.LBB8_214:                              ;   in Loop: Header=BB8_47 Depth=1
	s_or_b64 exec, exec, s[24:25]
	v_lshl_add_u64 v[20:21], v[20:21], 0, 4
	s_or_b64 exec, exec, s[26:27]
	s_and_saveexec_b64 s[24:25], s[6:7]
	s_cbranch_execnz .LBB8_221
.LBB8_215:                              ;   in Loop: Header=BB8_47 Depth=1
	s_or_b64 exec, exec, s[24:25]
                                        ; implicit-def: $vgpr1
	s_and_saveexec_b64 s[24:25], s[22:23]
	s_xor_b64 s[24:25], exec, s[24:25]
	s_cbranch_execz .LBB8_239
.LBB8_216:                              ;   in Loop: Header=BB8_47 Depth=1
	s_trap 2
	ds_read_b32 v2, v0
	v_cmp_lt_i32_e32 vcc, 0, v8
	v_and_b32_e32 v4, 16, v62
	v_and_b32_e32 v1, 16, v62
	s_waitcnt lgkmcnt(0)
	v_readfirstlane_b32 s26, v2
	s_cmp_eq_u32 s26, 0
	s_cselect_b64 s[26:27], -1, 0
	s_and_b64 s[26:27], vcc, s[26:27]
	v_cmp_ne_u32_e32 vcc, 0, v4
	s_and_b64 vcc, vcc, s[26:27]
	s_and_saveexec_b64 s[26:27], vcc
	s_cbranch_execz .LBB8_218
; %bb.217:                              ;   in Loop: Header=BB8_47 Depth=1
	v_mov_b32_e32 v1, 1
	buffer_wbl2 sc1
	s_waitcnt vmcnt(0)
	buffer_inv sc1
.LBB8_218:                              ;   in Loop: Header=BB8_47 Depth=1
	s_or_b64 exec, exec, s[26:27]
	s_andn2_saveexec_b64 s[24:25], s[24:25]
	s_cbranch_execnz .LBB8_240
.LBB8_219:                              ;   in Loop: Header=BB8_47 Depth=1
	s_or_b64 exec, exec, s[24:25]
	v_cmp_ne_u32_e32 vcc, 0, v1
	s_and_saveexec_b64 s[24:25], vcc
	s_cbranch_execnz .LBB8_258
	s_branch .LBB8_261
.LBB8_220:                              ;   in Loop: Header=BB8_47 Depth=1
	s_or_b64 exec, exec, s[26:27]
	s_and_saveexec_b64 s[24:25], s[6:7]
	s_cbranch_execz .LBB8_215
.LBB8_221:                              ;   in Loop: Header=BB8_47 Depth=1
	s_and_saveexec_b64 s[26:27], s[40:41]
	s_xor_b64 s[26:27], exec, s[26:27]
	s_cbranch_execz .LBB8_236
; %bb.222:                              ;   in Loop: Header=BB8_47 Depth=1
	s_and_saveexec_b64 s[30:31], s[14:15]
	s_cbranch_execz .LBB8_235
; %bb.223:                              ;   in Loop: Header=BB8_47 Depth=1
	s_mov_b64 s[56:57], exec
	v_mbcnt_lo_u32_b32 v1, s56, 0
	v_mbcnt_hi_u32_b32 v1, s57, v1
	v_cmp_eq_u32_e32 vcc, 0, v1
	s_waitcnt lgkmcnt(0)
	s_and_saveexec_b64 s[54:55], vcc
	s_cbranch_execz .LBB8_225
; %bb.224:                              ;   in Loop: Header=BB8_47 Depth=1
	s_bcnt1_i32_b64 vcc_lo, s[56:57]
	v_mov_b32_e32 v2, vcc_lo
	ds_add_u64 v0, v[2:3]
	s_trap 2
.LBB8_225:                              ;   in Loop: Header=BB8_47 Depth=1
	s_or_b64 exec, exec, s[54:55]
	s_trap 2
	ds_read_b64 v[10:11], v0
	v_lshl_add_u64 v[12:13], v[12:13], 0, v[34:35]
	s_waitcnt lgkmcnt(0)
	v_cmp_lt_u64_e32 vcc, v[10:11], v[12:13]
	s_and_saveexec_b64 s[54:55], vcc
	s_cbranch_execz .LBB8_234
; %bb.226:                              ;   in Loop: Header=BB8_47 Depth=1
	s_mov_b32 s66, 0
	s_mov_b64 s[56:57], 0
                                        ; implicit-def: $sgpr58_sgpr59
                                        ; implicit-def: $sgpr60_sgpr61
	s_branch .LBB8_228
.LBB8_227:                              ;   in Loop: Header=BB8_228 Depth=2
	s_or_b64 exec, exec, s[64:65]
	s_and_b64 vcc, exec, vcc
	s_or_b64 s[56:57], vcc, s[56:57]
	s_andn2_b64 vcc, s[58:59], exec
	s_and_b64 s[58:59], s[60:61], exec
	s_or_b64 s[58:59], vcc, s[58:59]
	s_andn2_b64 exec, exec, s[56:57]
	s_cbranch_execz .LBB8_232
.LBB8_228:                              ;   Parent Loop BB8_47 Depth=1
                                        ; =>  This Inner Loop Header: Depth=2
	s_add_i32 s66, s66, 1
	s_cmpk_lg_i32 s66, 0x2710
	s_cselect_b64 s[62:63], -1, 0
	s_and_b64 vcc, exec, s[62:63]
                                        ; implicit-def: $sgpr64_sgpr65
	s_cbranch_vccnz .LBB8_230
; %bb.229:                              ;   in Loop: Header=BB8_228 Depth=2
	s_trap 2
	ds_read_b64 v[10:11], v0
	s_andn2_b64 s[62:63], s[62:63], exec
	s_mov_b32 s66, 0
	s_mov_b64 s[64:65], -1
	s_waitcnt vmcnt(0) lgkmcnt(0)
	flat_load_dword v1, v[10:11] sc0 sc1
	s_waitcnt vmcnt(0) lgkmcnt(0)
	buffer_inv sc0 sc1
	v_cmp_eq_u32_e32 vcc, 0, v1
	s_and_b64 vcc, vcc, exec
	s_or_b64 s[62:63], s[62:63], vcc
.LBB8_230:                              ;   in Loop: Header=BB8_228 Depth=2
	s_andn2_b64 s[60:61], s[60:61], exec
	s_and_b64 s[64:65], s[64:65], exec
	s_mov_b64 vcc, -1
	s_or_b64 s[60:61], s[60:61], s[64:65]
	s_and_saveexec_b64 s[64:65], s[62:63]
	s_cbranch_execz .LBB8_227
; %bb.231:                              ;   in Loop: Header=BB8_228 Depth=2
	s_sleep 1
	s_trap 2
	ds_read_b64 v[10:11], v0
	s_andn2_b64 s[60:61], s[60:61], exec
	s_waitcnt lgkmcnt(0)
	v_cmp_ge_u64_e32 vcc, v[10:11], v[12:13]
	s_orn2_b64 vcc, vcc, exec
	s_branch .LBB8_227
.LBB8_232:                              ;   in Loop: Header=BB8_47 Depth=1
	s_or_b64 exec, exec, s[56:57]
	s_and_saveexec_b64 vcc, s[58:59]
	s_xor_b64 vcc, exec, vcc
	s_cbranch_execz .LBB8_234
; %bb.233:                              ;   in Loop: Header=BB8_47 Depth=1
	ds_write_b32 v0, v42
	s_trap 2
.LBB8_234:                              ;   in Loop: Header=BB8_47 Depth=1
	s_or_b64 exec, exec, s[54:55]
	;;#ASMSTART
	s_wakeup
	;;#ASMEND
.LBB8_235:                              ;   in Loop: Header=BB8_47 Depth=1
	s_or_b64 exec, exec, s[30:31]
.LBB8_236:                              ;   in Loop: Header=BB8_47 Depth=1
	s_andn2_saveexec_b64 s[26:27], s[26:27]
	s_cbranch_execz .LBB8_238
; %bb.237:                              ;   in Loop: Header=BB8_47 Depth=1
	s_waitcnt lgkmcnt(0)
	s_barrier
.LBB8_238:                              ;   in Loop: Header=BB8_47 Depth=1
	s_or_b64 exec, exec, s[26:27]
	s_or_b64 exec, exec, s[24:25]
                                        ; implicit-def: $vgpr1
	s_and_saveexec_b64 s[24:25], s[22:23]
	s_xor_b64 s[24:25], exec, s[24:25]
	s_cbranch_execnz .LBB8_216
.LBB8_239:                              ;   in Loop: Header=BB8_47 Depth=1
	s_andn2_saveexec_b64 s[24:25], s[24:25]
	s_cbranch_execz .LBB8_219
.LBB8_240:                              ;   in Loop: Header=BB8_47 Depth=1
	s_and_saveexec_b64 s[26:27], s[40:41]
	s_xor_b64 s[26:27], exec, s[26:27]
	s_cbranch_execz .LBB8_255
; %bb.241:                              ;   in Loop: Header=BB8_47 Depth=1
	s_and_saveexec_b64 s[30:31], s[14:15]
	s_cbranch_execz .LBB8_254
; %bb.242:                              ;   in Loop: Header=BB8_47 Depth=1
	s_mov_b64 s[56:57], exec
	v_mbcnt_lo_u32_b32 v1, s56, 0
	v_mbcnt_hi_u32_b32 v1, s57, v1
	v_cmp_eq_u32_e32 vcc, 0, v1
	;;#ASMSTART
	s_waitcnt lgkmcnt(0) vmcnt(0)
	;;#ASMEND
	s_and_saveexec_b64 s[54:55], vcc
	s_cbranch_execz .LBB8_244
; %bb.243:                              ;   in Loop: Header=BB8_47 Depth=1
	s_bcnt1_i32_b64 vcc_lo, s[56:57]
	v_mov_b32_e32 v2, vcc_lo
	ds_add_u64 v0, v[2:3]
	s_trap 2
.LBB8_244:                              ;   in Loop: Header=BB8_47 Depth=1
	s_or_b64 exec, exec, s[54:55]
	s_trap 2
	ds_read_b64 v[8:9], v0
	v_lshl_add_u64 v[12:13], v[12:13], 0, v[34:35]
	s_waitcnt lgkmcnt(0)
	v_cmp_lt_u64_e32 vcc, v[8:9], v[12:13]
	s_and_saveexec_b64 s[54:55], vcc
	s_cbranch_execz .LBB8_253
; %bb.245:                              ;   in Loop: Header=BB8_47 Depth=1
	s_mov_b32 s66, 0
	s_mov_b64 s[56:57], 0
                                        ; implicit-def: $sgpr58_sgpr59
                                        ; implicit-def: $sgpr60_sgpr61
	s_branch .LBB8_247
.LBB8_246:                              ;   in Loop: Header=BB8_247 Depth=2
	s_or_b64 exec, exec, s[64:65]
	s_and_b64 vcc, exec, vcc
	s_or_b64 s[56:57], vcc, s[56:57]
	s_andn2_b64 vcc, s[58:59], exec
	s_and_b64 s[58:59], s[60:61], exec
	s_or_b64 s[58:59], vcc, s[58:59]
	s_andn2_b64 exec, exec, s[56:57]
	s_cbranch_execz .LBB8_251
.LBB8_247:                              ;   Parent Loop BB8_47 Depth=1
                                        ; =>  This Inner Loop Header: Depth=2
	s_add_i32 s66, s66, 1
	s_cmpk_lg_i32 s66, 0x2710
	s_cselect_b64 s[62:63], -1, 0
	s_and_b64 vcc, exec, s[62:63]
                                        ; implicit-def: $sgpr64_sgpr65
	s_cbranch_vccnz .LBB8_249
; %bb.248:                              ;   in Loop: Header=BB8_247 Depth=2
	s_trap 2
	ds_read_b64 v[8:9], v0
	s_andn2_b64 s[62:63], s[62:63], exec
	s_mov_b32 s66, 0
	s_mov_b64 s[64:65], -1
	s_waitcnt vmcnt(0) lgkmcnt(0)
	flat_load_dword v1, v[8:9] sc0 sc1
	s_waitcnt vmcnt(0) lgkmcnt(0)
	buffer_inv sc0 sc1
	v_cmp_eq_u32_e32 vcc, 0, v1
	s_and_b64 vcc, vcc, exec
	s_or_b64 s[62:63], s[62:63], vcc
.LBB8_249:                              ;   in Loop: Header=BB8_247 Depth=2
	s_andn2_b64 s[60:61], s[60:61], exec
	s_and_b64 s[64:65], s[64:65], exec
	s_mov_b64 vcc, -1
	s_or_b64 s[60:61], s[60:61], s[64:65]
	s_and_saveexec_b64 s[64:65], s[62:63]
	s_cbranch_execz .LBB8_246
; %bb.250:                              ;   in Loop: Header=BB8_247 Depth=2
	s_sleep 1
	s_trap 2
	ds_read_b64 v[8:9], v0
	s_andn2_b64 s[60:61], s[60:61], exec
	s_waitcnt lgkmcnt(0)
	v_cmp_ge_u64_e32 vcc, v[8:9], v[12:13]
	s_orn2_b64 vcc, vcc, exec
	s_branch .LBB8_246
.LBB8_251:                              ;   in Loop: Header=BB8_47 Depth=1
	s_or_b64 exec, exec, s[56:57]
	s_and_saveexec_b64 vcc, s[58:59]
	s_xor_b64 vcc, exec, vcc
	s_cbranch_execz .LBB8_253
; %bb.252:                              ;   in Loop: Header=BB8_47 Depth=1
	ds_write_b32 v0, v42
	s_trap 2
.LBB8_253:                              ;   in Loop: Header=BB8_47 Depth=1
	s_or_b64 exec, exec, s[54:55]
	;;#ASMSTART
	s_wakeup
	;;#ASMEND
.LBB8_254:                              ;   in Loop: Header=BB8_47 Depth=1
	s_or_b64 exec, exec, s[30:31]
.LBB8_255:                              ;   in Loop: Header=BB8_47 Depth=1
	s_andn2_saveexec_b64 s[26:27], s[26:27]
	s_cbranch_execz .LBB8_257
; %bb.256:                              ;   in Loop: Header=BB8_47 Depth=1
	;;#ASMSTART
	s_waitcnt lgkmcnt(0) vmcnt(0)
	;;#ASMEND
	s_barrier
.LBB8_257:                              ;   in Loop: Header=BB8_47 Depth=1
	s_or_b64 exec, exec, s[26:27]
	v_and_b32_e32 v1, 16, v62
	s_or_b64 exec, exec, s[24:25]
	v_cmp_ne_u32_e32 vcc, 0, v1
	s_and_saveexec_b64 s[24:25], vcc
	s_cbranch_execz .LBB8_261
.LBB8_258:                              ;   in Loop: Header=BB8_47 Depth=1
	s_and_saveexec_b64 s[26:27], s[12:13]
	s_cbranch_execz .LBB8_260
; %bb.259:                              ;   in Loop: Header=BB8_47 Depth=1
	flat_store_dword v[50:51], v42 sc0 sc1
.LBB8_260:                              ;   in Loop: Header=BB8_47 Depth=1
	s_or_b64 exec, exec, s[26:27]
	v_lshl_add_u64 v[20:21], v[20:21], 0, 4
	flat_store_dwordx2 v[22:23], v[20:21] sc0 sc1
.LBB8_261:                              ;   in Loop: Header=BB8_47 Depth=1
	s_or_b64 exec, exec, s[24:25]
.LBB8_262:                              ;   in Loop: Header=BB8_47 Depth=1
	s_or_b64 exec, exec, s[28:29]
	v_cndmask_b32_e64 v1, 0, 1, s[48:49]
	v_cmp_ne_u32_e64 s[24:25], 1, v1
	s_andn2_b64 vcc, exec, s[48:49]
	s_cbranch_vccnz .LBB8_478
; %bb.263:                              ;   in Loop: Header=BB8_47 Depth=1
	s_mov_b32 s87, 2
	s_branch .LBB8_266
.LBB8_264:                              ;   in Loop: Header=BB8_266 Depth=2
	s_or_b64 exec, exec, s[26:27]
.LBB8_265:                              ;   in Loop: Header=BB8_266 Depth=2
	s_or_b64 exec, exec, s[30:31]
	s_add_i32 s87, s87, 1
	s_cmp_eq_u32 s87, s72
	s_cbranch_scc1 .LBB8_478
.LBB8_266:                              ;   Parent Loop BB8_47 Depth=1
                                        ; =>  This Loop Header: Depth=2
                                        ;       Child Loop BB8_275 Depth 3
                                        ;       Child Loop BB8_301 Depth 3
	;; [unrolled: 1-line block ×12, first 2 shown]
	s_sub_i32 s26, s76, s87
	s_cmp_le_i32 s72, s26
	s_cselect_b32 s27, s72, 0
	s_sub_i32 s26, s26, s27
	s_ashr_i32 s27, s26, 31
	v_mul_lo_u32 v0, v56, s27
	v_mul_lo_u32 v1, v57, s26
	v_mad_u64_u32 v[10:11], s[26:27], v56, s26, 0
	v_add3_u32 v11, v11, v0, v1
	v_sub_co_u32_e32 v8, vcc, v26, v10
	s_nop 1
	v_subb_co_u32_e32 v9, vcc, v27, v11, vcc
	v_cmp_lt_i64_e32 vcc, v[56:57], v[8:9]
	v_mov_b32_e32 v9, 0
	s_nop 0
	v_cndmask_b32_e32 v0, v8, v56, vcc
	v_max_i32_e32 v1, 0, v0
	v_add_u32_e32 v2, 15, v1
	v_ashrrev_i32_e32 v4, 31, v2
	v_lshrrev_b32_e32 v4, 28, v4
	v_add_u32_e32 v2, v2, v4
	v_cmp_gt_i32_e32 vcc, 1, v0
	v_and_b32_e32 v2, -16, v2
	s_or_b64 s[28:29], s[2:3], vcc
	v_max_i32_e32 v8, s79, v2
	s_xor_b64 s[26:27], s[28:29], -1
	s_and_saveexec_b64 s[30:31], s[26:27]
	s_cbranch_execz .LBB8_407
; %bb.267:                              ;   in Loop: Header=BB8_266 Depth=2
	s_and_saveexec_b64 s[26:27], s[0:1]
	s_cbranch_execz .LBB8_269
; %bb.268:                              ;   in Loop: Header=BB8_266 Depth=2
	s_trap 2
	ds_read_b64 v[14:15], v0
	v_accvgpr_read_b32 v4, a44
	v_accvgpr_read_b32 v5, a45
	v_mov_b32_e32 v2, v3
	s_waitcnt lgkmcnt(0)
	v_lshl_add_u64 v[14:15], v[4:5], 1, v[14:15]
	v_lshl_add_u64 v[10:11], v[10:11], 1, v[14:15]
	ds_write_b64 v0, v[10:11]
	ds_write_b64 v0, v[2:3]
.LBB8_269:                              ;   in Loop: Header=BB8_266 Depth=2
	s_or_b64 exec, exec, s[26:27]
	v_and_b32_e32 v0, 12, v62
	v_cmp_ne_u32_e32 vcc, 0, v0
	s_mov_b64 s[54:55], -1
	s_and_saveexec_b64 s[26:27], vcc
	s_cbranch_execz .LBB8_281
; %bb.270:                              ;   in Loop: Header=BB8_266 Depth=2
	v_and_b32_e32 v2, 8, v62
	v_lshl_add_u64 v[14:15], v[32:33], 0, v[2:3]
	v_lshl_add_u64 v[10:11], v[20:21], 0, 4
	v_cmp_lt_u64_e32 vcc, v[14:15], v[10:11]
	v_mov_b32_e32 v4, 1
	s_and_saveexec_b64 s[54:55], vcc
	s_cbranch_execz .LBB8_280
; %bb.271:                              ;   in Loop: Header=BB8_266 Depth=2
	s_mov_b64 s[56:57], 0
	v_mov_b32_e32 v4, 0
                                        ; implicit-def: $sgpr58_sgpr59
	s_branch .LBB8_275
.LBB8_272:                              ;   in Loop: Header=BB8_275 Depth=3
	s_or_b64 exec, exec, s[66:67]
	v_mov_b32_e32 v9, 0
	s_orn2_b64 s[64:65], s[64:65], exec
.LBB8_273:                              ;   in Loop: Header=BB8_275 Depth=3
	s_or_b64 exec, exec, s[62:63]
	s_andn2_b64 vcc, s[58:59], exec
	s_and_b64 s[58:59], s[64:65], exec
	s_or_b64 s[58:59], vcc, s[58:59]
	v_mov_b32_e32 v4, v9
.LBB8_274:                              ;   in Loop: Header=BB8_275 Depth=3
	s_or_b64 exec, exec, s[60:61]
	s_waitcnt vmcnt(0) lgkmcnt(0)
	v_lshl_add_u64 v[14:15], v[32:33], 0, v[2:3]
	v_cmp_ge_u64_e32 vcc, v[14:15], v[10:11]
	s_xor_b64 s[60:61], s[58:59], -1
	s_or_b64 vcc, s[60:61], vcc
	s_and_b64 vcc, exec, vcc
	s_or_b64 s[56:57], vcc, s[56:57]
	s_andn2_b64 exec, exec, s[56:57]
	s_cbranch_execz .LBB8_279
.LBB8_275:                              ;   Parent Loop BB8_47 Depth=1
                                        ;     Parent Loop BB8_266 Depth=2
                                        ; =>    This Inner Loop Header: Depth=3
	s_sleep 1
	flat_load_dwordx2 v[32:33], v[22:23] sc0 sc1
	v_and_b32_e32 v0, 64, v62
	v_cmp_eq_u32_e32 vcc, 0, v0
	s_andn2_b64 s[58:59], s[58:59], exec
	s_and_saveexec_b64 s[60:61], vcc
	s_cbranch_execz .LBB8_274
; %bb.276:                              ;   in Loop: Header=BB8_275 Depth=3
	v_add_u32_e32 v9, 1, v4
	v_cmp_lt_i32_e32 vcc, s75, v4
	s_mov_b64 s[64:65], -1
	s_and_saveexec_b64 s[62:63], vcc
	s_cbranch_execz .LBB8_273
; %bb.277:                              ;   in Loop: Header=BB8_275 Depth=3
	s_trap 2
	ds_read_b64 v[14:15], v0
	s_waitcnt vmcnt(0) lgkmcnt(0)
	flat_load_dword v4, v[14:15] sc0 sc1
	s_waitcnt vmcnt(0) lgkmcnt(0)
	buffer_inv sc0 sc1
	v_cmp_ne_u32_e32 vcc, 0, v4
	s_and_saveexec_b64 s[66:67], vcc
	s_cbranch_execz .LBB8_272
; %bb.278:                              ;   in Loop: Header=BB8_275 Depth=3
	v_or_b32_e32 v62, 64, v62
	s_xor_b64 s[64:65], exec, -1
	ds_write_b32 v0, v4
	s_trap 2
	s_branch .LBB8_272
.LBB8_279:                              ;   in Loop: Header=BB8_266 Depth=2
	s_or_b64 exec, exec, s[56:57]
	v_and_b32_e32 v4, 12, v62
.LBB8_280:                              ;   in Loop: Header=BB8_266 Depth=2
	s_or_b64 exec, exec, s[54:55]
	v_cmp_eq_u32_e32 vcc, 0, v4
	s_orn2_b64 s[54:55], vcc, exec
	;;#ASMSTART
	s_wakeup
	;;#ASMEND
.LBB8_281:                              ;   in Loop: Header=BB8_266 Depth=2
	s_or_b64 exec, exec, s[26:27]
	s_xor_b64 s[26:27], s[54:55], -1
	v_min_i32_e32 v8, v8, v1
	s_and_saveexec_b64 s[54:55], s[26:27]
	s_cbranch_execz .LBB8_293
; %bb.282:                              ;   in Loop: Header=BB8_266 Depth=2
	v_and_b32_e32 v0, 0x108, v62
	v_cmp_ne_u32_e32 vcc, s83, v0
	v_and_b32_e32 v2, 7, v20
	s_and_saveexec_b64 s[26:27], vcc
	s_xor_b64 s[26:27], exec, s[26:27]
	s_andn2_saveexec_b64 s[26:27], s[26:27]
	s_cbranch_execz .LBB8_284
; %bb.283:                              ;   in Loop: Header=BB8_266 Depth=2
	v_ashrrev_i32_e32 v9, 31, v8
	v_mad_u64_u32 v[10:11], vcc, v2, 24, v[44:45]
	v_lshlrev_b64 v[14:15], 1, v[8:9]
	flat_store_dwordx2 v[10:11], v[14:15] offset:8
.LBB8_284:                              ;   in Loop: Header=BB8_266 Depth=2
	s_or_b64 exec, exec, s[26:27]
	v_and_b32_e32 v0, 0x100, v62
	v_cmp_ne_u32_e32 vcc, 0, v0
	s_mov_b64 s[26:27], -1
                                        ; implicit-def: $vgpr10_vgpr11
	s_and_saveexec_b64 s[56:57], vcc
	s_cbranch_execz .LBB8_288
; %bb.285:                              ;   in Loop: Header=BB8_266 Depth=2
	v_mad_u64_u32 v[14:15], s[26:27], v2, 24, v[44:45]
	v_mov_b32_e32 v4, v15
	v_mad_u64_u32 v[10:11], s[26:27], v3, 24, v[4:5]
	v_mov_b32_e32 v15, v10
	flat_load_dword v0, v[14:15]
                                        ; implicit-def: $vgpr10_vgpr11
	s_waitcnt vmcnt(0) lgkmcnt(0)
	v_cmp_ne_u32_e32 vcc, 1, v0
	v_cmp_eq_u32_e64 s[26:27], 1, v0
	s_and_saveexec_b64 s[58:59], s[26:27]
	s_cbranch_execz .LBB8_287
; %bb.286:                              ;   in Loop: Header=BB8_266 Depth=2
	flat_load_dword v10, v[14:15] offset:4 sc0 sc1
	s_waitcnt vmcnt(0) lgkmcnt(0)
	v_ashrrev_i32_e32 v11, 31, v10
	v_lshrrev_b64 v[10:11], 1, v[10:11]
.LBB8_287:                              ;   in Loop: Header=BB8_266 Depth=2
	s_or_b64 exec, exec, s[58:59]
	s_orn2_b64 s[26:27], vcc, exec
.LBB8_288:                              ;   in Loop: Header=BB8_266 Depth=2
	s_or_b64 exec, exec, s[56:57]
	s_and_saveexec_b64 vcc, s[26:27]
; %bb.289:                              ;   in Loop: Header=BB8_266 Depth=2
	v_mul_lo_u32 v0, v3, v58
	v_mul_lo_u32 v4, v2, v39
	v_mad_u64_u32 v[10:11], s[26:27], v2, v58, 0
	v_add3_u32 v11, v11, v4, v0
; %bb.290:                              ;   in Loop: Header=BB8_266 Depth=2
	s_or_b64 exec, exec, vcc
	v_lshl_add_u64 v[10:11], v[10:11], 1, v[60:61]
	s_trap 2
	ds_write_b64 v0, v[10:11]
	v_and_b32_e32 v0, 0x2000, v62
	v_cmp_ne_u32_e32 vcc, 0, v0
	s_and_saveexec_b64 s[26:27], vcc
	s_cbranch_execz .LBB8_292
; %bb.291:                              ;   in Loop: Header=BB8_266 Depth=2
	ds_read_b64 v[10:11], v0 offset:584
	s_waitcnt lgkmcnt(0)
	v_lshl_add_u64 v[10:11], v[10:11], 0, 1
	ds_write_b64 v0, v[10:11] offset:584
.LBB8_292:                              ;   in Loop: Header=BB8_266 Depth=2
	s_or_b64 exec, exec, s[26:27]
	v_lshl_add_u64 v[20:21], v[20:21], 0, 4
.LBB8_293:                              ;   in Loop: Header=BB8_266 Depth=2
	s_or_b64 exec, exec, s[54:55]
	s_and_saveexec_b64 s[26:27], s[6:7]
	s_cbranch_execz .LBB8_312
; %bb.294:                              ;   in Loop: Header=BB8_266 Depth=2
	s_and_saveexec_b64 vcc, s[40:41]
	s_xor_b64 s[54:55], exec, vcc
	s_cbranch_execz .LBB8_309
; %bb.295:                              ;   in Loop: Header=BB8_266 Depth=2
	s_and_saveexec_b64 s[56:57], s[14:15]
	s_cbranch_execz .LBB8_308
; %bb.296:                              ;   in Loop: Header=BB8_266 Depth=2
	s_mov_b64 s[60:61], exec
	v_mbcnt_lo_u32_b32 v0, s60, 0
	v_mbcnt_hi_u32_b32 v0, s61, v0
	v_cmp_eq_u32_e32 vcc, 0, v0
	s_waitcnt lgkmcnt(0)
	s_and_saveexec_b64 s[58:59], vcc
	s_cbranch_execz .LBB8_298
; %bb.297:                              ;   in Loop: Header=BB8_266 Depth=2
	s_bcnt1_i32_b64 vcc_lo, s[60:61]
	v_mov_b32_e32 v2, vcc_lo
	ds_add_u64 v0, v[2:3]
	s_trap 2
.LBB8_298:                              ;   in Loop: Header=BB8_266 Depth=2
	s_or_b64 exec, exec, s[58:59]
	s_trap 2
	ds_read_b64 v[10:11], v0
	v_lshl_add_u64 v[12:13], v[12:13], 0, v[34:35]
	s_waitcnt lgkmcnt(0)
	v_cmp_lt_u64_e32 vcc, v[10:11], v[12:13]
	s_and_saveexec_b64 s[58:59], vcc
	s_cbranch_execz .LBB8_307
; %bb.299:                              ;   in Loop: Header=BB8_266 Depth=2
	s_mov_b32 s70, 0
	s_mov_b64 s[60:61], 0
                                        ; implicit-def: $sgpr62_sgpr63
                                        ; implicit-def: $sgpr64_sgpr65
	s_branch .LBB8_301
.LBB8_300:                              ;   in Loop: Header=BB8_301 Depth=3
	s_or_b64 exec, exec, s[68:69]
	s_and_b64 vcc, exec, vcc
	s_or_b64 s[60:61], vcc, s[60:61]
	s_andn2_b64 vcc, s[62:63], exec
	s_and_b64 s[62:63], s[64:65], exec
	s_or_b64 s[62:63], vcc, s[62:63]
	s_andn2_b64 exec, exec, s[60:61]
	s_cbranch_execz .LBB8_305
.LBB8_301:                              ;   Parent Loop BB8_47 Depth=1
                                        ;     Parent Loop BB8_266 Depth=2
                                        ; =>    This Inner Loop Header: Depth=3
	s_add_i32 s70, s70, 1
	s_cmpk_lg_i32 s70, 0x2710
	s_cselect_b64 s[66:67], -1, 0
	s_and_b64 vcc, exec, s[66:67]
                                        ; implicit-def: $sgpr68_sgpr69
	s_cbranch_vccnz .LBB8_303
; %bb.302:                              ;   in Loop: Header=BB8_301 Depth=3
	s_trap 2
	ds_read_b64 v[10:11], v0
	s_andn2_b64 s[66:67], s[66:67], exec
	s_mov_b32 s70, 0
	s_mov_b64 s[68:69], -1
	s_waitcnt vmcnt(0) lgkmcnt(0)
	flat_load_dword v0, v[10:11] sc0 sc1
	s_waitcnt vmcnt(0) lgkmcnt(0)
	buffer_inv sc0 sc1
	v_cmp_eq_u32_e32 vcc, 0, v0
	s_and_b64 vcc, vcc, exec
	s_or_b64 s[66:67], s[66:67], vcc
.LBB8_303:                              ;   in Loop: Header=BB8_301 Depth=3
	s_andn2_b64 s[64:65], s[64:65], exec
	s_and_b64 s[68:69], s[68:69], exec
	s_mov_b64 vcc, -1
	s_or_b64 s[64:65], s[64:65], s[68:69]
	s_and_saveexec_b64 s[68:69], s[66:67]
	s_cbranch_execz .LBB8_300
; %bb.304:                              ;   in Loop: Header=BB8_301 Depth=3
	s_sleep 1
	s_trap 2
	ds_read_b64 v[10:11], v0
	s_andn2_b64 s[64:65], s[64:65], exec
	s_waitcnt lgkmcnt(0)
	v_cmp_ge_u64_e32 vcc, v[10:11], v[12:13]
	s_orn2_b64 vcc, vcc, exec
	s_branch .LBB8_300
.LBB8_305:                              ;   in Loop: Header=BB8_266 Depth=2
	s_or_b64 exec, exec, s[60:61]
	s_and_saveexec_b64 vcc, s[62:63]
	s_xor_b64 vcc, exec, vcc
	s_cbranch_execz .LBB8_307
; %bb.306:                              ;   in Loop: Header=BB8_266 Depth=2
	ds_write_b32 v0, v42
	s_trap 2
.LBB8_307:                              ;   in Loop: Header=BB8_266 Depth=2
	s_or_b64 exec, exec, s[58:59]
	;;#ASMSTART
	s_wakeup
	;;#ASMEND
.LBB8_308:                              ;   in Loop: Header=BB8_266 Depth=2
	s_or_b64 exec, exec, s[56:57]
.LBB8_309:                              ;   in Loop: Header=BB8_266 Depth=2
	s_andn2_saveexec_b64 vcc, s[54:55]
	s_cbranch_execz .LBB8_311
; %bb.310:                              ;   in Loop: Header=BB8_266 Depth=2
	s_waitcnt lgkmcnt(0)
	s_barrier
.LBB8_311:                              ;   in Loop: Header=BB8_266 Depth=2
	s_or_b64 exec, exec, vcc
.LBB8_312:                              ;   in Loop: Header=BB8_266 Depth=2
	s_or_b64 exec, exec, s[26:27]
	s_trap 2
	ds_read_b32 v9, v0
	v_and_b32_e32 v0, 0x4000, v62
	v_cmp_ne_u32_e32 vcc, 0, v0
	s_xor_b64 s[26:27], s[4:5], -1
	s_and_b64 vcc, s[26:27], vcc
	s_and_saveexec_b64 s[26:27], vcc
	s_cbranch_execz .LBB8_331
; %bb.313:                              ;   in Loop: Header=BB8_266 Depth=2
	s_and_saveexec_b64 vcc, s[40:41]
	s_xor_b64 s[54:55], exec, vcc
	s_cbranch_execz .LBB8_328
; %bb.314:                              ;   in Loop: Header=BB8_266 Depth=2
	s_and_saveexec_b64 s[56:57], s[14:15]
	s_cbranch_execz .LBB8_327
; %bb.315:                              ;   in Loop: Header=BB8_266 Depth=2
	s_mov_b64 s[60:61], exec
	v_mbcnt_lo_u32_b32 v0, s60, 0
	v_mbcnt_hi_u32_b32 v0, s61, v0
	v_cmp_eq_u32_e32 vcc, 0, v0
	s_waitcnt lgkmcnt(0)
	s_and_saveexec_b64 s[58:59], vcc
	s_cbranch_execz .LBB8_317
; %bb.316:                              ;   in Loop: Header=BB8_266 Depth=2
	s_bcnt1_i32_b64 vcc_lo, s[60:61]
	v_mov_b32_e32 v2, vcc_lo
	ds_add_u64 v0, v[2:3]
	s_trap 2
.LBB8_317:                              ;   in Loop: Header=BB8_266 Depth=2
	s_or_b64 exec, exec, s[58:59]
	s_trap 2
	ds_read_b64 v[10:11], v0
	v_lshl_add_u64 v[12:13], v[12:13], 0, v[34:35]
	s_waitcnt lgkmcnt(0)
	v_cmp_lt_u64_e32 vcc, v[10:11], v[12:13]
	s_and_saveexec_b64 s[58:59], vcc
	s_cbranch_execz .LBB8_326
; %bb.318:                              ;   in Loop: Header=BB8_266 Depth=2
	s_mov_b32 s70, 0
	s_mov_b64 s[60:61], 0
                                        ; implicit-def: $sgpr62_sgpr63
                                        ; implicit-def: $sgpr64_sgpr65
	s_branch .LBB8_320
.LBB8_319:                              ;   in Loop: Header=BB8_320 Depth=3
	s_or_b64 exec, exec, s[68:69]
	s_and_b64 vcc, exec, vcc
	s_or_b64 s[60:61], vcc, s[60:61]
	s_andn2_b64 vcc, s[62:63], exec
	s_and_b64 s[62:63], s[64:65], exec
	s_or_b64 s[62:63], vcc, s[62:63]
	s_andn2_b64 exec, exec, s[60:61]
	s_cbranch_execz .LBB8_324
.LBB8_320:                              ;   Parent Loop BB8_47 Depth=1
                                        ;     Parent Loop BB8_266 Depth=2
                                        ; =>    This Inner Loop Header: Depth=3
	s_add_i32 s70, s70, 1
	s_cmpk_lg_i32 s70, 0x2710
	s_cselect_b64 s[66:67], -1, 0
	s_and_b64 vcc, exec, s[66:67]
                                        ; implicit-def: $sgpr68_sgpr69
	s_cbranch_vccnz .LBB8_322
; %bb.321:                              ;   in Loop: Header=BB8_320 Depth=3
	s_trap 2
	ds_read_b64 v[10:11], v0
	s_andn2_b64 s[66:67], s[66:67], exec
	s_mov_b32 s70, 0
	s_mov_b64 s[68:69], -1
	s_waitcnt vmcnt(0) lgkmcnt(0)
	flat_load_dword v0, v[10:11] sc0 sc1
	s_waitcnt vmcnt(0) lgkmcnt(0)
	buffer_inv sc0 sc1
	v_cmp_eq_u32_e32 vcc, 0, v0
	s_and_b64 vcc, vcc, exec
	s_or_b64 s[66:67], s[66:67], vcc
.LBB8_322:                              ;   in Loop: Header=BB8_320 Depth=3
	s_andn2_b64 s[64:65], s[64:65], exec
	s_and_b64 s[68:69], s[68:69], exec
	s_mov_b64 vcc, -1
	s_or_b64 s[64:65], s[64:65], s[68:69]
	s_and_saveexec_b64 s[68:69], s[66:67]
	s_cbranch_execz .LBB8_319
; %bb.323:                              ;   in Loop: Header=BB8_320 Depth=3
	s_sleep 1
	s_trap 2
	ds_read_b64 v[10:11], v0
	s_andn2_b64 s[64:65], s[64:65], exec
	s_waitcnt lgkmcnt(0)
	v_cmp_ge_u64_e32 vcc, v[10:11], v[12:13]
	s_orn2_b64 vcc, vcc, exec
	s_branch .LBB8_319
.LBB8_324:                              ;   in Loop: Header=BB8_266 Depth=2
	s_or_b64 exec, exec, s[60:61]
	s_and_saveexec_b64 vcc, s[62:63]
	s_xor_b64 vcc, exec, vcc
	s_cbranch_execz .LBB8_326
; %bb.325:                              ;   in Loop: Header=BB8_266 Depth=2
	ds_write_b32 v0, v42
	s_trap 2
.LBB8_326:                              ;   in Loop: Header=BB8_266 Depth=2
	s_or_b64 exec, exec, s[58:59]
	;;#ASMSTART
	s_wakeup
	;;#ASMEND
.LBB8_327:                              ;   in Loop: Header=BB8_266 Depth=2
	s_or_b64 exec, exec, s[56:57]
.LBB8_328:                              ;   in Loop: Header=BB8_266 Depth=2
	s_andn2_saveexec_b64 vcc, s[54:55]
	s_cbranch_execz .LBB8_330
; %bb.329:                              ;   in Loop: Header=BB8_266 Depth=2
	s_waitcnt lgkmcnt(0)
	s_barrier
.LBB8_330:                              ;   in Loop: Header=BB8_266 Depth=2
	s_or_b64 exec, exec, vcc
.LBB8_331:                              ;   in Loop: Header=BB8_266 Depth=2
	s_or_b64 exec, exec, s[26:27]
	s_trap 2
	ds_read_b64 v[10:11], v0
	s_waitcnt lgkmcnt(0)
	v_readfirstlane_b32 s26, v10
	v_readfirstlane_b32 s27, v11
	s_cmp_eq_u64 s[26:27], 0
	s_cselect_b64 s[26:27], -1, 0
	s_or_b64 vcc, s[26:27], s[26:27]
	s_mov_b64 s[26:27], 0
	s_and_b64 vcc, exec, vcc
	s_cbranch_vccnz .LBB8_338
; %bb.332:                              ;   in Loop: Header=BB8_266 Depth=2
	s_mov_b64 s[54:55], -1
	s_and_saveexec_b64 s[26:27], s[20:21]
	s_cbranch_execz .LBB8_334
; %bb.333:                              ;   in Loop: Header=BB8_266 Depth=2
	ds_read_b32 v0, v0 offset:720
	s_waitcnt lgkmcnt(0)
	v_and_b32_e32 v0, 15, v0
	v_cmp_eq_u32_e32 vcc, 0, v0
	s_orn2_b64 s[54:55], vcc, exec
.LBB8_334:                              ;   in Loop: Header=BB8_266 Depth=2
	s_or_b64 exec, exec, s[26:27]
	s_and_saveexec_b64 s[26:27], s[18:19]
	s_cbranch_execz .LBB8_336
; %bb.335:                              ;   in Loop: Header=BB8_266 Depth=2
	ds_read_b32 v0, v0 offset:784
	s_waitcnt lgkmcnt(0)
	v_and_b32_e32 v0, 15, v0
	v_cmp_eq_u32_e32 vcc, 0, v0
	s_and_b64 vcc, s[54:55], vcc
	s_andn2_b64 s[54:55], s[54:55], exec
	s_and_b64 vcc, vcc, exec
	s_or_b64 s[54:55], s[54:55], vcc
.LBB8_336:                              ;   in Loop: Header=BB8_266 Depth=2
	s_or_b64 exec, exec, s[26:27]
	v_cmp_eq_u32_e32 vcc, 0, v9
	v_mov_b32_e32 v30, 0
	s_mov_b64 s[26:27], -1
	v_cndmask_b32_e32 v2, 0, v8, vcc
	s_xor_b64 vcc, s[54:55], -1
	v_cndmask_b32_e64 v0, 0, 1, vcc
	v_lshlrev_b32_e32 v9, 1, v2
	;;#ASMSTART
	;;#ASMEND
	s_nop 0
	v_cmp_ne_u32_e32 vcc, 0, v0
	s_cbranch_vccz .LBB8_343
; %bb.337:                              ;   in Loop: Header=BB8_266 Depth=2
	v_mov_b32_e32 v31, v52
	v_mov_b32_e32 v10, v47
	s_and_saveexec_b64 s[54:55], s[26:27]
	s_cbranch_execnz .LBB8_356
	s_branch .LBB8_364
.LBB8_338:                              ;   in Loop: Header=BB8_266 Depth=2
	s_and_saveexec_b64 s[54:55], s[6:7]
	s_cbranch_execnz .LBB8_365
.LBB8_339:                              ;   in Loop: Header=BB8_266 Depth=2
	s_or_b64 exec, exec, s[54:55]
                                        ; implicit-def: $vgpr2
	s_and_saveexec_b64 vcc, s[22:23]
	s_xor_b64 s[54:55], exec, vcc
	s_cbranch_execz .LBB8_383
.LBB8_340:                              ;   in Loop: Header=BB8_266 Depth=2
	v_and_b32_e32 v0, 16, v62
	v_cmp_ne_u32_e32 vcc, 0, v0
	v_and_b32_e32 v2, 16, v62
	s_and_b64 vcc, vcc, s[26:27]
	s_and_saveexec_b64 s[26:27], vcc
	s_cbranch_execz .LBB8_342
; %bb.341:                              ;   in Loop: Header=BB8_266 Depth=2
	v_mov_b32_e32 v2, 1
	buffer_wbl2 sc1
	s_waitcnt vmcnt(0) lgkmcnt(0)
	buffer_inv sc1
.LBB8_342:                              ;   in Loop: Header=BB8_266 Depth=2
	s_or_b64 exec, exec, s[26:27]
	s_andn2_saveexec_b64 s[26:27], s[54:55]
	s_cbranch_execz .LBB8_402
	s_branch .LBB8_384
.LBB8_343:                              ;   in Loop: Header=BB8_266 Depth=2
	v_ashrrev_i32_e32 v0, 31, v9
	v_lshrrev_b32_e32 v0, 21, v0
	v_add_u32_e32 v0, v9, v0
	v_ashrrev_i32_e32 v4, 11, v0
	v_sub_u32_e32 v18, v4, v47
	v_cmp_lt_i32_e32 vcc, 0, v18
	s_and_saveexec_b64 s[26:27], vcc
	s_cbranch_execz .LBB8_347
; %bb.344:                              ;   in Loop: Header=BB8_266 Depth=2
	s_trap 2
	ds_read_b128 v[14:17], v0
	ds_read_b64 v[24:25], v0
	v_accvgpr_read_b32 v6, a40
	v_accvgpr_read_b32 v7, a41
	s_mov_b64 s[54:55], 0
	s_waitcnt lgkmcnt(0)
	v_lshl_add_u64 v[10:11], v[14:15], 0, v[6:7]
	v_lshl_add_u64 v[14:15], v[16:17], 0, v[6:7]
	;; [unrolled: 1-line block ×3, first 2 shown]
.LBB8_345:                              ;   Parent Loop BB8_47 Depth=1
                                        ;     Parent Loop BB8_266 Depth=2
                                        ; =>    This Inner Loop Header: Depth=3
	global_load_dwordx4 v[24:27], v[14:15], off nt
	global_load_dwordx4 v[28:31], v[10:11], off nt
	global_load_dwordx4 v[36:39], v[10:11], off offset:1024 nt
	global_load_dwordx4 v[48:51], v[14:15], off offset:1024 nt
	v_sub_u32_e32 v18, v18, v34
	v_cmp_gt_i32_e32 vcc, 1, v18
	v_lshl_add_u64 v[10:11], v[10:11], 0, v[54:55]
	v_lshl_add_u64 v[14:15], v[14:15], 0, v[54:55]
	s_or_b64 s[54:55], vcc, s[54:55]
	s_waitcnt vmcnt(0)
	v_mul_f16_e32 v0, v28, v24
	v_mul_f16_sdwa v6, v28, v24 dst_sel:WORD_1 dst_unused:UNUSED_PAD src0_sel:WORD_1 src1_sel:WORD_1
	v_mul_f16_e32 v7, v29, v25
	v_mul_f16_sdwa v19, v29, v25 dst_sel:WORD_1 dst_unused:UNUSED_PAD src0_sel:WORD_1 src1_sel:WORD_1
	;; [unrolled: 2-line block ×8, first 2 shown]
	v_or_b32_e32 v25, v19, v7
	v_or_b32_e32 v24, v6, v0
	;; [unrolled: 1-line block ×8, first 2 shown]
	global_store_dwordx4 v[16:17], v[24:27], off nt
	global_store_dwordx4 v[16:17], v[28:31], off offset:1024 nt
	v_lshl_add_u64 v[16:17], v[16:17], 0, v[54:55]
	s_andn2_b64 exec, exec, s[54:55]
	s_cbranch_execnz .LBB8_345
; %bb.346:                              ;   in Loop: Header=BB8_266 Depth=2
	s_or_b64 exec, exec, s[54:55]
	v_accvgpr_read_b32 v51, a19
	v_accvgpr_read_b32 v49, a23
	;; [unrolled: 1-line block ×13, first 2 shown]
.LBB8_347:                              ;   in Loop: Header=BB8_266 Depth=2
	s_or_b64 exec, exec, s[26:27]
	v_lshlrev_b32_e32 v4, 11, v4
	v_cmp_ne_u32_e32 vcc, v9, v4
	s_mov_b64 s[26:27], 0
	v_mov_b32_e32 v30, 0
                                        ; implicit-def: $vgpr31
                                        ; implicit-def: $vgpr10
	s_and_saveexec_b64 s[54:55], vcc
	s_cbranch_execz .LBB8_355
; %bb.348:                              ;   in Loop: Header=BB8_266 Depth=2
	v_lshlrev_b32_e32 v6, 6, v18
	v_accvgpr_read_b32 v5, a31
	v_sub_u32_e32 v6, v5, v6
	v_ashrrev_i32_e32 v7, 31, v6
	v_lshrrev_b32_e32 v7, 26, v7
	v_add_u32_e32 v7, v6, v7
	v_ashrrev_i32_e32 v11, 6, v7
	v_and_b32_e32 v7, 0xffffffc0, v7
	v_sub_u32_e32 v18, v6, v7
	v_sub_u32_e32 v0, v9, v4
	v_lshlrev_b32_e32 v6, 4, v18
	v_lshl_add_u32 v10, v11, 10, v6
	v_ashrrev_i32_e32 v6, 31, v0
	v_lshrrev_b32_e32 v6, 22, v6
	v_add_u32_e32 v6, v0, v6
	v_and_b32_e32 v19, 0xfffffc00, v6
	v_sub_u32_e32 v48, v0, v19
	v_ashrrev_i32_e32 v7, 10, v6
	v_cmp_lt_i32_e32 vcc, 15, v48
	v_sub_u32_e32 v30, v0, v10
	s_nop 0
	v_addc_co_u32_e64 v0, s[26:27], 0, v7, vcc
	v_sub_u32_e32 v25, v0, v11
	v_cmp_lt_i32_e64 s[26:27], 15, v30
	s_and_saveexec_b64 s[56:57], s[26:27]
	s_cbranch_execz .LBB8_352
; %bb.349:                              ;   in Loop: Header=BB8_266 Depth=2
	s_trap 2
	ds_read_b128 v[14:17], v0
	ds_read_b64 v[26:27], v0
	v_add_u32_e32 v28, v10, v4
	v_ashrrev_i32_e32 v29, 31, v28
	s_mov_b64 s[58:59], 0
	s_waitcnt lgkmcnt(0)
	v_lshl_add_u64 v[10:11], v[14:15], 0, v[28:29]
	v_lshl_add_u64 v[14:15], v[16:17], 0, v[28:29]
	;; [unrolled: 1-line block ×3, first 2 shown]
.LBB8_350:                              ;   Parent Loop BB8_47 Depth=1
                                        ;     Parent Loop BB8_266 Depth=2
                                        ; =>    This Inner Loop Header: Depth=3
	global_load_dwordx4 v[26:29], v[10:11], off nt
	global_load_dwordx4 v[36:39], v[14:15], off nt
	v_sub_u32_e32 v30, v30, v53
	v_cmp_gt_i32_e64 s[26:27], 16, v30
	v_lshl_add_u64 v[10:11], v[10:11], 0, v[40:41]
	v_lshl_add_u64 v[14:15], v[14:15], 0, v[40:41]
	v_sub_u32_e32 v25, v25, v34
	s_or_b64 s[58:59], s[26:27], s[58:59]
	s_waitcnt vmcnt(0)
	v_mul_f16_e32 v0, v26, v36
	v_mul_f16_sdwa v6, v26, v36 dst_sel:WORD_1 dst_unused:UNUSED_PAD src0_sel:WORD_1 src1_sel:WORD_1
	v_mul_f16_e32 v7, v27, v37
	v_mul_f16_sdwa v24, v27, v37 dst_sel:WORD_1 dst_unused:UNUSED_PAD src0_sel:WORD_1 src1_sel:WORD_1
	;; [unrolled: 2-line block ×4, first 2 shown]
	v_or_b32_e32 v27, v24, v7
	v_or_b32_e32 v26, v6, v0
	;; [unrolled: 1-line block ×4, first 2 shown]
	global_store_dwordx4 v[16:17], v[26:29], off nt
	v_lshl_add_u64 v[16:17], v[16:17], 0, v[40:41]
	s_andn2_b64 exec, exec, s[58:59]
	s_cbranch_execnz .LBB8_350
; %bb.351:                              ;   in Loop: Header=BB8_266 Depth=2
	s_or_b64 exec, exec, s[58:59]
	v_accvgpr_read_b32 v37, a29
	v_accvgpr_read_b32 v28, a34
	;; [unrolled: 1-line block ×7, first 2 shown]
.LBB8_352:                              ;   in Loop: Header=BB8_266 Depth=2
	s_or_b64 exec, exec, s[56:57]
	v_and_b32_e32 v11, 14, v9
	v_cndmask_b32_e32 v9, v48, v11, vcc
	s_mov_b64 s[56:57], 0
	v_mov_b32_e32 v30, 0
	v_cmp_ne_u32_e64 s[26:27], 0, v9
                                        ; implicit-def: $vgpr31
                                        ; implicit-def: $vgpr10
	s_mov_b64 s[58:59], exec
	v_accvgpr_read_b32 v6, a32
	s_and_b64 s[26:27], s[58:59], s[26:27]
	v_accvgpr_read_b32 v7, a33
	s_mov_b64 exec, s[26:27]
	s_cbranch_execz .LBB8_354
; %bb.353:                              ;   in Loop: Header=BB8_266 Depth=2
	v_sub_u32_e32 v0, v48, v11
	v_cndmask_b32_e32 v0, 0, v0, vcc
	v_cmp_lt_i32_e32 vcc, 0, v25
	v_add3_u32 v30, v19, v4, v0
	s_mov_b64 s[56:57], exec
	v_cndmask_b32_e32 v0, 0, v34, vcc
	v_sub_u32_e32 v0, v0, v25
	v_lshl_add_u32 v31, v0, 6, v18
	v_ashrrev_i32_e32 v0, 31, v31
	v_lshrrev_b32_e32 v0, 26, v0
	v_add_u32_e32 v0, v31, v0
	v_ashrrev_i32_e32 v10, 6, v0
.LBB8_354:                              ;   in Loop: Header=BB8_266 Depth=2
	s_or_b64 exec, exec, s[58:59]
	v_accvgpr_read_b32 v49, a23
	s_and_b64 s[26:27], s[56:57], exec
	v_accvgpr_read_b32 v48, a22
.LBB8_355:                              ;   in Loop: Header=BB8_266 Depth=2
	s_or_b64 exec, exec, s[54:55]
	s_and_saveexec_b64 s[54:55], s[26:27]
	s_cbranch_execz .LBB8_364
.LBB8_356:                              ;   in Loop: Header=BB8_266 Depth=2
	v_ashrrev_i32_e32 v0, 31, v9
	v_lshrrev_b32_e32 v0, 22, v0
	v_add_u32_e32 v0, v9, v0
	v_ashrrev_i32_e32 v47, 10, v0
	v_sub_u32_e32 v25, v47, v10
	v_ashrrev_i32_e32 v0, 31, v31
	v_cmp_lt_i32_e32 vcc, 0, v25
	v_lshrrev_b32_e32 v46, 26, v0
	s_and_saveexec_b64 s[56:57], vcc
	s_cbranch_execz .LBB8_360
; %bb.357:                              ;   in Loop: Header=BB8_266 Depth=2
	v_add_u32_e32 v0, v31, v46
	v_and_b32_e32 v0, 0x7fffffc0, v0
	v_sub_u32_e32 v0, v31, v0
	v_lshlrev_b32_e32 v0, 1, v0
	s_trap 2
	ds_read_b128 v[14:17], v0
	ds_read_b64 v[18:19], v0
	v_lshlrev_b32_e32 v4, 10, v10
	v_add3_u32 v26, v0, v30, v4
	v_ashrrev_i32_e32 v27, 31, v26
	s_waitcnt lgkmcnt(0)
	v_lshl_add_u64 v[10:11], v[14:15], 0, v[26:27]
	v_lshl_add_u64 v[14:15], v[18:19], 0, s[52:53]
	v_accvgpr_write_b32 a25, v59
	v_accvgpr_write_b32 a24, v53
	;; [unrolled: 1-line block ×4, first 2 shown]
	v_lshl_add_u64 v[16:17], v[16:17], 0, v[26:27]
	v_lshl_add_u64 v[18:19], v[14:15], 0, v[26:27]
	s_mov_b64 s[58:59], 0
.LBB8_358:                              ;   Parent Loop BB8_47 Depth=1
                                        ;     Parent Loop BB8_266 Depth=2
                                        ; =>    This Inner Loop Header: Depth=3
	flat_load_ushort v0, v[10:11] nt
	flat_load_ushort v4, v[10:11] offset:128 nt
	flat_load_ushort v6, v[10:11] offset:256 nt
	;; [unrolled: 1-line block ×7, first 2 shown]
	flat_load_ushort v61, v[16:17] nt
	flat_load_ushort v5, v[16:17] offset:128 nt
	flat_load_ushort v52, v[16:17] offset:256 nt
	;; [unrolled: 1-line block ×7, first 2 shown]
	v_add_co_u32_e32 v14, vcc, s84, v18
	v_sub_u32_e32 v25, v25, v34
	s_nop 0
	v_addc_co_u32_e32 v15, vcc, -1, v19, vcc
	v_add_co_u32_e32 v26, vcc, s85, v18
	v_cmp_gt_i32_e64 s[26:27], 1, v25
	s_nop 0
	v_addc_co_u32_e32 v27, vcc, -1, v19, vcc
	v_add_co_u32_e32 v28, vcc, s86, v18
	v_lshl_add_u64 v[10:11], v[10:11], 0, v[40:41]
	s_nop 0
	v_addc_co_u32_e32 v29, vcc, -1, v19, vcc
	v_add_co_u32_e32 v36, vcc, 0xfffffe00, v18
	v_lshl_add_u64 v[16:17], v[16:17], 0, v[40:41]
	s_nop 0
	v_addc_co_u32_e32 v37, vcc, -1, v19, vcc
	v_add_co_u32_e32 v38, vcc, 0xfffffe80, v18
	s_or_b64 s[58:59], s[26:27], s[58:59]
	s_nop 0
	v_addc_co_u32_e32 v39, vcc, -1, v19, vcc
	v_add_co_u32_e32 v48, vcc, 0xffffff00, v18
	s_waitcnt vmcnt(0) lgkmcnt(0)
	v_mul_f16_e32 v0, v0, v61
	v_addc_co_u32_e32 v49, vcc, -1, v19, vcc
	v_add_co_u32_e32 v50, vcc, 0xffffff80, v18
	v_mul_f16_e32 v4, v4, v5
	s_nop 0
	v_addc_co_u32_e32 v51, vcc, -1, v19, vcc
	v_mul_f16_e32 v5, v6, v52
	v_mul_f16_e32 v6, v7, v53
	;; [unrolled: 1-line block ×6, first 2 shown]
	flat_store_short v[14:15], v0 nt
	flat_store_short v[26:27], v4 nt
	flat_store_short v[28:29], v5 nt
	flat_store_short v[36:37], v6 nt
	flat_store_short v[38:39], v7 nt
	flat_store_short v[48:49], v24 nt
	flat_store_short v[50:51], v52 nt
	flat_store_short v[18:19], v53 nt
	v_lshl_add_u64 v[18:19], v[18:19], 0, v[40:41]
	s_andn2_b64 exec, exec, s[58:59]
	s_cbranch_execnz .LBB8_358
; %bb.359:                              ;   in Loop: Header=BB8_266 Depth=2
	s_or_b64 exec, exec, s[58:59]
	v_accvgpr_mov_b32 a39, a7
	v_accvgpr_read_b32 v45, a13
	v_accvgpr_read_b32 v61, a17
	;; [unrolled: 1-line block ×9, first 2 shown]
	v_accvgpr_mov_b32 a38, a6
	v_accvgpr_read_b32 v44, a12
	v_accvgpr_read_b32 v58, a14
	;; [unrolled: 1-line block ×11, first 2 shown]
	v_mov_b32_e32 v42, 1
	v_accvgpr_read_b32 v27, a43
.LBB8_360:                              ;   in Loop: Header=BB8_266 Depth=2
	s_or_b64 exec, exec, s[56:57]
	v_lshlrev_b32_e32 v4, 10, v47
	v_cmp_ne_u32_e32 vcc, v9, v4
	s_and_b64 s[26:27], exec, vcc
	v_accvgpr_read_b32 v47, a30
	s_mov_b64 exec, s[26:27]
	s_cbranch_execz .LBB8_364
; %bb.361:                              ;   in Loop: Header=BB8_266 Depth=2
	v_add_u32_e32 v0, v31, v46
	v_and_b32_e32 v0, 0xffffffc0, v0
	v_sub_u32_e32 v0, v31, v0
	v_lshlrev_b32_e32 v5, 6, v25
	v_sub_u32_e32 v0, v0, v5
	v_ashrrev_i32_e32 v5, 31, v0
	v_lshrrev_b32_e32 v5, 26, v5
	v_add_u32_e32 v5, v0, v5
	v_and_b32_e32 v6, 0x7fffffc0, v5
	v_sub_u32_e32 v0, v0, v6
	v_lshlrev_b32_e32 v5, 1, v5
	v_and_b32_e32 v5, 0xffffff80, v5
	v_lshlrev_b32_e32 v0, 1, v0
	v_add3_u32 v10, v5, v0, v4
	v_accvgpr_read_b32 v6, a32
	v_sub_u32_e32 v4, v9, v10
	v_accvgpr_read_b32 v7, a33
	v_cmp_lt_i32_e32 vcc, 1, v4
	s_and_b64 exec, exec, vcc
	s_cbranch_execz .LBB8_364
; %bb.362:                              ;   in Loop: Header=BB8_266 Depth=2
	s_trap 2
	ds_read_b128 v[14:17], v0
	ds_read_b64 v[18:19], v0
	v_add_u32_e32 v24, v10, v30
	v_ashrrev_i32_e32 v25, 31, v24
	s_mov_b64 s[26:27], 0
	s_waitcnt lgkmcnt(0)
	v_lshl_add_u64 v[10:11], v[14:15], 0, v[24:25]
	v_lshl_add_u64 v[14:15], v[16:17], 0, v[24:25]
	;; [unrolled: 1-line block ×3, first 2 shown]
.LBB8_363:                              ;   Parent Loop BB8_47 Depth=1
                                        ;     Parent Loop BB8_266 Depth=2
                                        ; =>    This Inner Loop Header: Depth=3
	flat_load_ushort v0, v[10:11] nt
	flat_load_ushort v5, v[14:15] nt
	v_sub_u32_e32 v4, v4, v59
	v_cmp_gt_i32_e32 vcc, 2, v4
	v_lshl_add_u64 v[10:11], v[10:11], 0, v[28:29]
	v_lshl_add_u64 v[14:15], v[14:15], 0, v[28:29]
	s_or_b64 s[26:27], vcc, s[26:27]
	s_waitcnt vmcnt(0) lgkmcnt(0)
	v_mul_f16_e32 v0, v0, v5
	flat_store_short v[16:17], v0 nt
	v_lshl_add_u64 v[16:17], v[16:17], 0, v[28:29]
	s_andn2_b64 exec, exec, s[26:27]
	s_cbranch_execnz .LBB8_363
.LBB8_364:                              ;   in Loop: Header=BB8_266 Depth=2
	s_or_b64 exec, exec, s[54:55]
	v_cmp_lt_i32_e64 s[26:27], 0, v2
	s_and_saveexec_b64 s[54:55], s[6:7]
	s_cbranch_execz .LBB8_339
.LBB8_365:                              ;   in Loop: Header=BB8_266 Depth=2
	s_and_saveexec_b64 vcc, s[40:41]
	s_xor_b64 s[56:57], exec, vcc
	s_cbranch_execz .LBB8_380
; %bb.366:                              ;   in Loop: Header=BB8_266 Depth=2
	s_and_saveexec_b64 s[58:59], s[14:15]
	s_cbranch_execz .LBB8_379
; %bb.367:                              ;   in Loop: Header=BB8_266 Depth=2
	s_mov_b64 s[62:63], exec
	v_mbcnt_lo_u32_b32 v0, s62, 0
	v_mbcnt_hi_u32_b32 v0, s63, v0
	v_cmp_eq_u32_e32 vcc, 0, v0
	s_waitcnt lgkmcnt(0)
	s_and_saveexec_b64 s[60:61], vcc
	s_cbranch_execz .LBB8_369
; %bb.368:                              ;   in Loop: Header=BB8_266 Depth=2
	s_bcnt1_i32_b64 vcc_lo, s[62:63]
	v_mov_b32_e32 v2, vcc_lo
	ds_add_u64 v0, v[2:3]
	s_trap 2
.LBB8_369:                              ;   in Loop: Header=BB8_266 Depth=2
	s_or_b64 exec, exec, s[60:61]
	s_trap 2
	ds_read_b64 v[10:11], v0
	v_lshl_add_u64 v[12:13], v[12:13], 0, v[34:35]
	s_waitcnt lgkmcnt(0)
	v_cmp_lt_u64_e32 vcc, v[10:11], v[12:13]
	s_and_saveexec_b64 s[60:61], vcc
	s_cbranch_execz .LBB8_378
; %bb.370:                              ;   in Loop: Header=BB8_266 Depth=2
	s_mov_b32 s88, 0
	s_mov_b64 s[62:63], 0
                                        ; implicit-def: $sgpr64_sgpr65
                                        ; implicit-def: $sgpr66_sgpr67
	s_branch .LBB8_372
.LBB8_371:                              ;   in Loop: Header=BB8_372 Depth=3
	s_or_b64 exec, exec, s[70:71]
	s_and_b64 vcc, exec, vcc
	s_or_b64 s[62:63], vcc, s[62:63]
	s_andn2_b64 vcc, s[64:65], exec
	s_and_b64 s[64:65], s[66:67], exec
	s_or_b64 s[64:65], vcc, s[64:65]
	s_andn2_b64 exec, exec, s[62:63]
	s_cbranch_execz .LBB8_376
.LBB8_372:                              ;   Parent Loop BB8_47 Depth=1
                                        ;     Parent Loop BB8_266 Depth=2
                                        ; =>    This Inner Loop Header: Depth=3
	s_add_i32 s88, s88, 1
	s_cmpk_lg_i32 s88, 0x2710
	s_cselect_b64 s[68:69], -1, 0
	s_and_b64 vcc, exec, s[68:69]
                                        ; implicit-def: $sgpr70_sgpr71
	s_cbranch_vccnz .LBB8_374
; %bb.373:                              ;   in Loop: Header=BB8_372 Depth=3
	s_trap 2
	ds_read_b64 v[10:11], v0
	s_andn2_b64 s[68:69], s[68:69], exec
	s_mov_b32 s88, 0
	s_mov_b64 s[70:71], -1
	s_waitcnt vmcnt(0) lgkmcnt(0)
	flat_load_dword v0, v[10:11] sc0 sc1
	s_waitcnt vmcnt(0) lgkmcnt(0)
	buffer_inv sc0 sc1
	v_cmp_eq_u32_e32 vcc, 0, v0
	s_and_b64 vcc, vcc, exec
	s_or_b64 s[68:69], s[68:69], vcc
.LBB8_374:                              ;   in Loop: Header=BB8_372 Depth=3
	s_andn2_b64 s[66:67], s[66:67], exec
	s_and_b64 s[70:71], s[70:71], exec
	s_mov_b64 vcc, -1
	s_or_b64 s[66:67], s[66:67], s[70:71]
	s_and_saveexec_b64 s[70:71], s[68:69]
	s_cbranch_execz .LBB8_371
; %bb.375:                              ;   in Loop: Header=BB8_372 Depth=3
	s_sleep 1
	s_trap 2
	ds_read_b64 v[10:11], v0
	s_andn2_b64 s[66:67], s[66:67], exec
	s_waitcnt lgkmcnt(0)
	v_cmp_ge_u64_e32 vcc, v[10:11], v[12:13]
	s_orn2_b64 vcc, vcc, exec
	s_branch .LBB8_371
.LBB8_376:                              ;   in Loop: Header=BB8_266 Depth=2
	s_or_b64 exec, exec, s[62:63]
	s_and_saveexec_b64 vcc, s[64:65]
	s_xor_b64 vcc, exec, vcc
	s_cbranch_execz .LBB8_378
; %bb.377:                              ;   in Loop: Header=BB8_266 Depth=2
	ds_write_b32 v0, v42
	s_trap 2
.LBB8_378:                              ;   in Loop: Header=BB8_266 Depth=2
	s_or_b64 exec, exec, s[60:61]
	;;#ASMSTART
	s_wakeup
	;;#ASMEND
.LBB8_379:                              ;   in Loop: Header=BB8_266 Depth=2
	s_or_b64 exec, exec, s[58:59]
.LBB8_380:                              ;   in Loop: Header=BB8_266 Depth=2
	s_andn2_saveexec_b64 vcc, s[56:57]
	s_cbranch_execz .LBB8_382
; %bb.381:                              ;   in Loop: Header=BB8_266 Depth=2
	s_waitcnt lgkmcnt(0)
	s_barrier
.LBB8_382:                              ;   in Loop: Header=BB8_266 Depth=2
	s_or_b64 exec, exec, vcc
	s_or_b64 exec, exec, s[54:55]
                                        ; implicit-def: $vgpr2
	s_and_saveexec_b64 vcc, s[22:23]
	s_xor_b64 s[54:55], exec, vcc
	s_cbranch_execnz .LBB8_340
.LBB8_383:                              ;   in Loop: Header=BB8_266 Depth=2
	s_andn2_saveexec_b64 s[26:27], s[54:55]
	s_cbranch_execz .LBB8_402
.LBB8_384:                              ;   in Loop: Header=BB8_266 Depth=2
	s_and_saveexec_b64 vcc, s[40:41]
	s_xor_b64 s[54:55], exec, vcc
	s_cbranch_execz .LBB8_399
; %bb.385:                              ;   in Loop: Header=BB8_266 Depth=2
	s_and_saveexec_b64 s[56:57], s[14:15]
	s_cbranch_execz .LBB8_398
; %bb.386:                              ;   in Loop: Header=BB8_266 Depth=2
	s_mov_b64 s[60:61], exec
	v_mbcnt_lo_u32_b32 v0, s60, 0
	v_mbcnt_hi_u32_b32 v0, s61, v0
	v_cmp_eq_u32_e32 vcc, 0, v0
	;;#ASMSTART
	s_waitcnt lgkmcnt(0) vmcnt(0)
	;;#ASMEND
	s_and_saveexec_b64 s[58:59], vcc
	s_cbranch_execz .LBB8_388
; %bb.387:                              ;   in Loop: Header=BB8_266 Depth=2
	s_bcnt1_i32_b64 vcc_lo, s[60:61]
	v_mov_b32_e32 v2, vcc_lo
	ds_add_u64 v0, v[2:3]
	s_trap 2
.LBB8_388:                              ;   in Loop: Header=BB8_266 Depth=2
	s_or_b64 exec, exec, s[58:59]
	s_trap 2
	ds_read_b64 v[10:11], v0
	v_lshl_add_u64 v[12:13], v[12:13], 0, v[34:35]
	s_waitcnt lgkmcnt(0)
	v_cmp_lt_u64_e32 vcc, v[10:11], v[12:13]
	s_and_saveexec_b64 s[58:59], vcc
	s_cbranch_execz .LBB8_397
; %bb.389:                              ;   in Loop: Header=BB8_266 Depth=2
	s_mov_b32 s70, 0
	s_mov_b64 s[60:61], 0
                                        ; implicit-def: $sgpr62_sgpr63
                                        ; implicit-def: $sgpr64_sgpr65
	s_branch .LBB8_391
.LBB8_390:                              ;   in Loop: Header=BB8_391 Depth=3
	s_or_b64 exec, exec, s[68:69]
	s_and_b64 vcc, exec, vcc
	s_or_b64 s[60:61], vcc, s[60:61]
	s_andn2_b64 vcc, s[62:63], exec
	s_and_b64 s[62:63], s[64:65], exec
	s_or_b64 s[62:63], vcc, s[62:63]
	s_andn2_b64 exec, exec, s[60:61]
	s_cbranch_execz .LBB8_395
.LBB8_391:                              ;   Parent Loop BB8_47 Depth=1
                                        ;     Parent Loop BB8_266 Depth=2
                                        ; =>    This Inner Loop Header: Depth=3
	s_add_i32 s70, s70, 1
	s_cmpk_lg_i32 s70, 0x2710
	s_cselect_b64 s[66:67], -1, 0
	s_and_b64 vcc, exec, s[66:67]
                                        ; implicit-def: $sgpr68_sgpr69
	s_cbranch_vccnz .LBB8_393
; %bb.392:                              ;   in Loop: Header=BB8_391 Depth=3
	s_trap 2
	ds_read_b64 v[10:11], v0
	s_andn2_b64 s[66:67], s[66:67], exec
	s_mov_b32 s70, 0
	s_mov_b64 s[68:69], -1
	s_waitcnt vmcnt(0) lgkmcnt(0)
	flat_load_dword v0, v[10:11] sc0 sc1
	s_waitcnt vmcnt(0) lgkmcnt(0)
	buffer_inv sc0 sc1
	v_cmp_eq_u32_e32 vcc, 0, v0
	s_and_b64 vcc, vcc, exec
	s_or_b64 s[66:67], s[66:67], vcc
.LBB8_393:                              ;   in Loop: Header=BB8_391 Depth=3
	s_andn2_b64 s[64:65], s[64:65], exec
	s_and_b64 s[68:69], s[68:69], exec
	s_mov_b64 vcc, -1
	s_or_b64 s[64:65], s[64:65], s[68:69]
	s_and_saveexec_b64 s[68:69], s[66:67]
	s_cbranch_execz .LBB8_390
; %bb.394:                              ;   in Loop: Header=BB8_391 Depth=3
	s_sleep 1
	s_trap 2
	ds_read_b64 v[10:11], v0
	s_andn2_b64 s[64:65], s[64:65], exec
	s_waitcnt lgkmcnt(0)
	v_cmp_ge_u64_e32 vcc, v[10:11], v[12:13]
	s_orn2_b64 vcc, vcc, exec
	s_branch .LBB8_390
.LBB8_395:                              ;   in Loop: Header=BB8_266 Depth=2
	s_or_b64 exec, exec, s[60:61]
	s_and_saveexec_b64 vcc, s[62:63]
	s_xor_b64 vcc, exec, vcc
	s_cbranch_execz .LBB8_397
; %bb.396:                              ;   in Loop: Header=BB8_266 Depth=2
	ds_write_b32 v0, v42
	s_trap 2
.LBB8_397:                              ;   in Loop: Header=BB8_266 Depth=2
	s_or_b64 exec, exec, s[58:59]
	;;#ASMSTART
	s_wakeup
	;;#ASMEND
.LBB8_398:                              ;   in Loop: Header=BB8_266 Depth=2
	s_or_b64 exec, exec, s[56:57]
.LBB8_399:                              ;   in Loop: Header=BB8_266 Depth=2
	s_andn2_saveexec_b64 vcc, s[54:55]
	s_cbranch_execz .LBB8_401
; %bb.400:                              ;   in Loop: Header=BB8_266 Depth=2
	;;#ASMSTART
	s_waitcnt lgkmcnt(0) vmcnt(0)
	;;#ASMEND
	s_barrier
.LBB8_401:                              ;   in Loop: Header=BB8_266 Depth=2
	s_or_b64 exec, exec, vcc
	v_and_b32_e32 v2, 16, v62
.LBB8_402:                              ;   in Loop: Header=BB8_266 Depth=2
	s_or_b64 exec, exec, s[26:27]
	v_cmp_ne_u32_e32 vcc, 0, v2
	s_xor_b64 s[26:27], s[10:11], -1
	s_and_b64 vcc, vcc, s[26:27]
	s_and_saveexec_b64 s[26:27], vcc
	s_cbranch_execz .LBB8_404
; %bb.403:                              ;   in Loop: Header=BB8_266 Depth=2
	flat_store_dword v[50:51], v42 sc0 sc1
.LBB8_404:                              ;   in Loop: Header=BB8_266 Depth=2
	s_or_b64 exec, exec, s[26:27]
	v_and_b32_e32 v0, 48, v62
	v_cmp_ne_u32_e32 vcc, 0, v0
	s_and_saveexec_b64 s[26:27], vcc
	s_cbranch_execz .LBB8_406
; %bb.405:                              ;   in Loop: Header=BB8_266 Depth=2
	v_lshl_add_u64 v[20:21], v[20:21], 0, 4
	flat_store_dwordx2 v[22:23], v[20:21] sc0 sc1
.LBB8_406:                              ;   in Loop: Header=BB8_266 Depth=2
	s_or_b64 exec, exec, s[26:27]
	v_mov_b32_e32 v9, v8
.LBB8_407:                              ;   in Loop: Header=BB8_266 Depth=2
	s_or_b64 exec, exec, s[30:31]
	s_and_saveexec_b64 s[30:31], s[28:29]
	s_cbranch_execz .LBB8_265
; %bb.408:                              ;   in Loop: Header=BB8_266 Depth=2
	v_and_b32_e32 v0, 12, v62
	v_cmp_ne_u32_e32 vcc, 0, v0
	s_mov_b64 s[28:29], -1
	s_and_saveexec_b64 s[26:27], vcc
	s_cbranch_execz .LBB8_420
; %bb.409:                              ;   in Loop: Header=BB8_266 Depth=2
	v_and_b32_e32 v2, 8, v62
	v_lshl_add_u64 v[14:15], v[32:33], 0, v[2:3]
	v_lshl_add_u64 v[10:11], v[20:21], 0, 4
	v_cmp_lt_u64_e32 vcc, v[14:15], v[10:11]
	v_mov_b32_e32 v4, 1
	s_and_saveexec_b64 s[28:29], vcc
	s_cbranch_execz .LBB8_419
; %bb.410:                              ;   in Loop: Header=BB8_266 Depth=2
	s_mov_b64 s[54:55], 0
	v_mov_b32_e32 v4, 0
                                        ; implicit-def: $sgpr56_sgpr57
	s_branch .LBB8_414
.LBB8_411:                              ;   in Loop: Header=BB8_414 Depth=3
	s_or_b64 exec, exec, s[64:65]
	v_mov_b32_e32 v14, 0
	s_orn2_b64 s[62:63], s[62:63], exec
.LBB8_412:                              ;   in Loop: Header=BB8_414 Depth=3
	s_or_b64 exec, exec, s[60:61]
	s_andn2_b64 vcc, s[56:57], exec
	s_and_b64 s[56:57], s[62:63], exec
	s_or_b64 s[56:57], vcc, s[56:57]
	v_mov_b32_e32 v4, v14
.LBB8_413:                              ;   in Loop: Header=BB8_414 Depth=3
	s_or_b64 exec, exec, s[58:59]
	s_waitcnt vmcnt(0) lgkmcnt(0)
	v_lshl_add_u64 v[14:15], v[32:33], 0, v[2:3]
	v_cmp_ge_u64_e32 vcc, v[14:15], v[10:11]
	s_xor_b64 s[58:59], s[56:57], -1
	s_or_b64 vcc, s[58:59], vcc
	s_and_b64 vcc, exec, vcc
	s_or_b64 s[54:55], vcc, s[54:55]
	s_andn2_b64 exec, exec, s[54:55]
	s_cbranch_execz .LBB8_418
.LBB8_414:                              ;   Parent Loop BB8_47 Depth=1
                                        ;     Parent Loop BB8_266 Depth=2
                                        ; =>    This Inner Loop Header: Depth=3
	s_sleep 1
	flat_load_dwordx2 v[32:33], v[22:23] sc0 sc1
	v_and_b32_e32 v0, 64, v62
	v_cmp_eq_u32_e32 vcc, 0, v0
	s_andn2_b64 s[56:57], s[56:57], exec
	s_and_saveexec_b64 s[58:59], vcc
	s_cbranch_execz .LBB8_413
; %bb.415:                              ;   in Loop: Header=BB8_414 Depth=3
	v_add_u32_e32 v14, 1, v4
	v_cmp_lt_i32_e32 vcc, s75, v4
	s_mov_b64 s[62:63], -1
	s_and_saveexec_b64 s[60:61], vcc
	s_cbranch_execz .LBB8_412
; %bb.416:                              ;   in Loop: Header=BB8_414 Depth=3
	s_trap 2
	ds_read_b64 v[14:15], v0
	s_waitcnt vmcnt(0) lgkmcnt(0)
	flat_load_dword v4, v[14:15] sc0 sc1
	s_waitcnt vmcnt(0) lgkmcnt(0)
	buffer_inv sc0 sc1
	v_cmp_ne_u32_e32 vcc, 0, v4
	s_and_saveexec_b64 s[64:65], vcc
	s_cbranch_execz .LBB8_411
; %bb.417:                              ;   in Loop: Header=BB8_414 Depth=3
	v_or_b32_e32 v62, 64, v62
	s_xor_b64 s[62:63], exec, -1
	ds_write_b32 v0, v4
	s_trap 2
	s_branch .LBB8_411
.LBB8_418:                              ;   in Loop: Header=BB8_266 Depth=2
	s_or_b64 exec, exec, s[54:55]
	v_and_b32_e32 v4, 12, v62
.LBB8_419:                              ;   in Loop: Header=BB8_266 Depth=2
	s_or_b64 exec, exec, s[28:29]
	v_cmp_eq_u32_e32 vcc, 0, v4
	s_orn2_b64 s[28:29], vcc, exec
	;;#ASMSTART
	s_wakeup
	;;#ASMEND
.LBB8_420:                              ;   in Loop: Header=BB8_266 Depth=2
	s_or_b64 exec, exec, s[26:27]
	v_sub_u32_e32 v0, v1, v9
	s_xor_b64 s[26:27], s[28:29], -1
	v_min_i32_e32 v8, v8, v0
	s_and_saveexec_b64 s[28:29], s[26:27]
	s_cbranch_execz .LBB8_444
; %bb.421:                              ;   in Loop: Header=BB8_266 Depth=2
	v_and_b32_e32 v0, 0x108, v62
	v_cmp_ne_u32_e32 vcc, s83, v0
	v_and_b32_e32 v2, 7, v20
	s_and_saveexec_b64 s[26:27], vcc
	s_xor_b64 s[26:27], exec, s[26:27]
	s_andn2_saveexec_b64 s[26:27], s[26:27]
	s_cbranch_execz .LBB8_423
; %bb.422:                              ;   in Loop: Header=BB8_266 Depth=2
	v_ashrrev_i32_e32 v9, 31, v8
	v_mad_u64_u32 v[10:11], vcc, v2, 24, v[44:45]
	v_lshlrev_b64 v[14:15], 1, v[8:9]
	flat_store_dwordx2 v[10:11], v[14:15] offset:8
.LBB8_423:                              ;   in Loop: Header=BB8_266 Depth=2
	s_or_b64 exec, exec, s[26:27]
	v_and_b32_e32 v0, 0x100, v62
	v_cmp_ne_u32_e32 vcc, 0, v0
	s_mov_b64 s[26:27], -1
                                        ; implicit-def: $vgpr10_vgpr11
	s_and_saveexec_b64 s[54:55], vcc
	s_cbranch_execz .LBB8_427
; %bb.424:                              ;   in Loop: Header=BB8_266 Depth=2
	v_mad_u64_u32 v[14:15], s[26:27], v2, 24, v[44:45]
	v_mov_b32_e32 v4, v15
	v_mad_u64_u32 v[10:11], s[26:27], v3, 24, v[4:5]
	v_mov_b32_e32 v15, v10
	flat_load_dword v0, v[14:15]
                                        ; implicit-def: $vgpr10_vgpr11
	s_waitcnt vmcnt(0) lgkmcnt(0)
	v_cmp_ne_u32_e32 vcc, 1, v0
	v_cmp_eq_u32_e64 s[26:27], 1, v0
	s_and_saveexec_b64 s[56:57], s[26:27]
	s_cbranch_execz .LBB8_426
; %bb.425:                              ;   in Loop: Header=BB8_266 Depth=2
	flat_load_dword v10, v[14:15] offset:4 sc0 sc1
	s_waitcnt vmcnt(0) lgkmcnt(0)
	v_ashrrev_i32_e32 v11, 31, v10
	v_lshrrev_b64 v[10:11], 1, v[10:11]
.LBB8_426:                              ;   in Loop: Header=BB8_266 Depth=2
	s_or_b64 exec, exec, s[56:57]
	s_orn2_b64 s[26:27], vcc, exec
.LBB8_427:                              ;   in Loop: Header=BB8_266 Depth=2
	s_or_b64 exec, exec, s[54:55]
	s_and_saveexec_b64 vcc, s[26:27]
; %bb.428:                              ;   in Loop: Header=BB8_266 Depth=2
	v_mul_lo_u32 v0, v3, v58
	v_mul_lo_u32 v1, v2, v39
	v_mad_u64_u32 v[10:11], s[26:27], v2, v58, 0
	v_add3_u32 v11, v11, v1, v0
; %bb.429:                              ;   in Loop: Header=BB8_266 Depth=2
	s_or_b64 exec, exec, vcc
	v_lshl_add_u64 v[10:11], v[10:11], 1, v[60:61]
	s_trap 2
	ds_write_b64 v0, v[10:11]
	v_and_b32_e32 v0, 0x2000, v62
	v_cmp_ne_u32_e32 vcc, 0, v0
	s_and_saveexec_b64 s[26:27], vcc
	s_cbranch_execz .LBB8_431
; %bb.430:                              ;   in Loop: Header=BB8_266 Depth=2
	ds_read_b64 v[10:11], v0 offset:584
	s_waitcnt lgkmcnt(0)
	v_lshl_add_u64 v[10:11], v[10:11], 0, 1
	ds_write_b64 v0, v[10:11] offset:584
.LBB8_431:                              ;   in Loop: Header=BB8_266 Depth=2
	s_or_b64 exec, exec, s[26:27]
	v_lshl_add_u64 v[20:21], v[20:21], 0, 4
	s_or_b64 exec, exec, s[28:29]
	s_and_saveexec_b64 s[26:27], s[6:7]
	s_cbranch_execnz .LBB8_445
.LBB8_432:                              ;   in Loop: Header=BB8_266 Depth=2
	s_or_b64 exec, exec, s[26:27]
                                        ; implicit-def: $vgpr1
	s_and_saveexec_b64 s[26:27], s[50:51]
	s_xor_b64 s[26:27], exec, s[26:27]
	s_cbranch_execz .LBB8_470
.LBB8_433:                              ;   in Loop: Header=BB8_266 Depth=2
	s_and_saveexec_b64 s[28:29], s[40:41]
	s_xor_b64 s[28:29], exec, s[28:29]
	s_cbranch_execz .LBB8_460
; %bb.434:                              ;   in Loop: Header=BB8_266 Depth=2
	s_and_saveexec_b64 s[54:55], s[14:15]
	s_cbranch_execz .LBB8_459
; %bb.435:                              ;   in Loop: Header=BB8_266 Depth=2
	s_mov_b64 s[58:59], exec
	v_mbcnt_lo_u32_b32 v0, s58, 0
	v_mbcnt_hi_u32_b32 v0, s59, v0
	v_cmp_eq_u32_e32 vcc, 0, v0
	;;#ASMSTART
	s_waitcnt lgkmcnt(0) vmcnt(0)
	;;#ASMEND
	s_and_saveexec_b64 s[56:57], vcc
	s_cbranch_execz .LBB8_437
; %bb.436:                              ;   in Loop: Header=BB8_266 Depth=2
	s_bcnt1_i32_b64 vcc_lo, s[58:59]
	v_mov_b32_e32 v2, vcc_lo
	ds_add_u64 v0, v[2:3]
	s_trap 2
.LBB8_437:                              ;   in Loop: Header=BB8_266 Depth=2
	s_or_b64 exec, exec, s[56:57]
	s_trap 2
	ds_read_b64 v[8:9], v0
	v_lshl_add_u64 v[12:13], v[12:13], 0, v[34:35]
	s_waitcnt lgkmcnt(0)
	v_cmp_lt_u64_e32 vcc, v[8:9], v[12:13]
	s_and_saveexec_b64 s[56:57], vcc
	s_cbranch_execz .LBB8_458
; %bb.438:                              ;   in Loop: Header=BB8_266 Depth=2
	s_mov_b32 s68, 0
	s_mov_b64 s[58:59], 0
                                        ; implicit-def: $sgpr60_sgpr61
                                        ; implicit-def: $sgpr62_sgpr63
	s_branch .LBB8_440
.LBB8_439:                              ;   in Loop: Header=BB8_440 Depth=3
	s_or_b64 exec, exec, s[66:67]
	s_and_b64 vcc, exec, vcc
	s_or_b64 s[58:59], vcc, s[58:59]
	s_andn2_b64 vcc, s[60:61], exec
	s_and_b64 s[60:61], s[62:63], exec
	s_or_b64 s[60:61], vcc, s[60:61]
	s_andn2_b64 exec, exec, s[58:59]
	s_cbranch_execz .LBB8_456
.LBB8_440:                              ;   Parent Loop BB8_47 Depth=1
                                        ;     Parent Loop BB8_266 Depth=2
                                        ; =>    This Inner Loop Header: Depth=3
	s_add_i32 s68, s68, 1
	s_cmpk_lg_i32 s68, 0x2710
	s_cselect_b64 s[64:65], -1, 0
	s_and_b64 vcc, exec, s[64:65]
                                        ; implicit-def: $sgpr66_sgpr67
	s_cbranch_vccnz .LBB8_442
; %bb.441:                              ;   in Loop: Header=BB8_440 Depth=3
	s_trap 2
	ds_read_b64 v[8:9], v0
	s_andn2_b64 s[64:65], s[64:65], exec
	s_mov_b32 s68, 0
	s_mov_b64 s[66:67], -1
	s_waitcnt vmcnt(0) lgkmcnt(0)
	flat_load_dword v0, v[8:9] sc0 sc1
	s_waitcnt vmcnt(0) lgkmcnt(0)
	buffer_inv sc0 sc1
	v_cmp_eq_u32_e32 vcc, 0, v0
	s_and_b64 vcc, vcc, exec
	s_or_b64 s[64:65], s[64:65], vcc
.LBB8_442:                              ;   in Loop: Header=BB8_440 Depth=3
	s_andn2_b64 s[62:63], s[62:63], exec
	s_and_b64 s[66:67], s[66:67], exec
	s_mov_b64 vcc, -1
	s_or_b64 s[62:63], s[62:63], s[66:67]
	s_and_saveexec_b64 s[66:67], s[64:65]
	s_cbranch_execz .LBB8_439
; %bb.443:                              ;   in Loop: Header=BB8_440 Depth=3
	s_sleep 1
	s_trap 2
	ds_read_b64 v[8:9], v0
	s_andn2_b64 s[62:63], s[62:63], exec
	s_waitcnt lgkmcnt(0)
	v_cmp_ge_u64_e32 vcc, v[8:9], v[12:13]
	s_orn2_b64 vcc, vcc, exec
	s_branch .LBB8_439
.LBB8_444:                              ;   in Loop: Header=BB8_266 Depth=2
	s_or_b64 exec, exec, s[28:29]
	s_and_saveexec_b64 s[26:27], s[6:7]
	s_cbranch_execz .LBB8_432
.LBB8_445:                              ;   in Loop: Header=BB8_266 Depth=2
	s_and_saveexec_b64 s[28:29], s[40:41]
	s_xor_b64 s[28:29], exec, s[28:29]
	s_cbranch_execz .LBB8_467
; %bb.446:                              ;   in Loop: Header=BB8_266 Depth=2
	s_and_saveexec_b64 s[54:55], s[14:15]
	s_cbranch_execz .LBB8_466
; %bb.447:                              ;   in Loop: Header=BB8_266 Depth=2
	s_mov_b64 s[58:59], exec
	v_mbcnt_lo_u32_b32 v0, s58, 0
	v_mbcnt_hi_u32_b32 v0, s59, v0
	v_cmp_eq_u32_e32 vcc, 0, v0
	s_waitcnt lgkmcnt(0)
	s_and_saveexec_b64 s[56:57], vcc
	s_cbranch_execz .LBB8_449
; %bb.448:                              ;   in Loop: Header=BB8_266 Depth=2
	s_bcnt1_i32_b64 vcc_lo, s[58:59]
	v_mov_b32_e32 v2, vcc_lo
	ds_add_u64 v0, v[2:3]
	s_trap 2
.LBB8_449:                              ;   in Loop: Header=BB8_266 Depth=2
	s_or_b64 exec, exec, s[56:57]
	s_trap 2
	ds_read_b64 v[10:11], v0
	v_lshl_add_u64 v[12:13], v[12:13], 0, v[34:35]
	s_waitcnt lgkmcnt(0)
	v_cmp_lt_u64_e32 vcc, v[10:11], v[12:13]
	s_and_saveexec_b64 s[56:57], vcc
	s_cbranch_execz .LBB8_465
; %bb.450:                              ;   in Loop: Header=BB8_266 Depth=2
	s_mov_b32 s68, 0
	s_mov_b64 s[58:59], 0
                                        ; implicit-def: $sgpr60_sgpr61
                                        ; implicit-def: $sgpr62_sgpr63
	s_branch .LBB8_452
.LBB8_451:                              ;   in Loop: Header=BB8_452 Depth=3
	s_or_b64 exec, exec, s[66:67]
	s_and_b64 vcc, exec, vcc
	s_or_b64 s[58:59], vcc, s[58:59]
	s_andn2_b64 vcc, s[60:61], exec
	s_and_b64 s[60:61], s[62:63], exec
	s_or_b64 s[60:61], vcc, s[60:61]
	s_andn2_b64 exec, exec, s[58:59]
	s_cbranch_execz .LBB8_463
.LBB8_452:                              ;   Parent Loop BB8_47 Depth=1
                                        ;     Parent Loop BB8_266 Depth=2
                                        ; =>    This Inner Loop Header: Depth=3
	s_add_i32 s68, s68, 1
	s_cmpk_lg_i32 s68, 0x2710
	s_cselect_b64 s[64:65], -1, 0
	s_and_b64 vcc, exec, s[64:65]
                                        ; implicit-def: $sgpr66_sgpr67
	s_cbranch_vccnz .LBB8_454
; %bb.453:                              ;   in Loop: Header=BB8_452 Depth=3
	s_trap 2
	ds_read_b64 v[10:11], v0
	s_andn2_b64 s[64:65], s[64:65], exec
	s_mov_b32 s68, 0
	s_mov_b64 s[66:67], -1
	s_waitcnt vmcnt(0) lgkmcnt(0)
	flat_load_dword v0, v[10:11] sc0 sc1
	s_waitcnt vmcnt(0) lgkmcnt(0)
	buffer_inv sc0 sc1
	v_cmp_eq_u32_e32 vcc, 0, v0
	s_and_b64 vcc, vcc, exec
	s_or_b64 s[64:65], s[64:65], vcc
.LBB8_454:                              ;   in Loop: Header=BB8_452 Depth=3
	s_andn2_b64 s[62:63], s[62:63], exec
	s_and_b64 s[66:67], s[66:67], exec
	s_mov_b64 vcc, -1
	s_or_b64 s[62:63], s[62:63], s[66:67]
	s_and_saveexec_b64 s[66:67], s[64:65]
	s_cbranch_execz .LBB8_451
; %bb.455:                              ;   in Loop: Header=BB8_452 Depth=3
	s_sleep 1
	s_trap 2
	ds_read_b64 v[10:11], v0
	s_andn2_b64 s[62:63], s[62:63], exec
	s_waitcnt lgkmcnt(0)
	v_cmp_ge_u64_e32 vcc, v[10:11], v[12:13]
	s_orn2_b64 vcc, vcc, exec
	s_branch .LBB8_451
.LBB8_456:                              ;   in Loop: Header=BB8_266 Depth=2
	s_or_b64 exec, exec, s[58:59]
	s_and_saveexec_b64 vcc, s[60:61]
	s_xor_b64 vcc, exec, vcc
	s_cbranch_execz .LBB8_458
; %bb.457:                              ;   in Loop: Header=BB8_266 Depth=2
	ds_write_b32 v0, v42
	s_trap 2
.LBB8_458:                              ;   in Loop: Header=BB8_266 Depth=2
	s_or_b64 exec, exec, s[56:57]
	;;#ASMSTART
	s_wakeup
	;;#ASMEND
.LBB8_459:                              ;   in Loop: Header=BB8_266 Depth=2
	s_or_b64 exec, exec, s[54:55]
.LBB8_460:                              ;   in Loop: Header=BB8_266 Depth=2
	s_andn2_saveexec_b64 s[28:29], s[28:29]
	s_cbranch_execz .LBB8_462
; %bb.461:                              ;   in Loop: Header=BB8_266 Depth=2
	;;#ASMSTART
	s_waitcnt lgkmcnt(0) vmcnt(0)
	;;#ASMEND
	s_barrier
.LBB8_462:                              ;   in Loop: Header=BB8_266 Depth=2
	s_or_b64 exec, exec, s[28:29]
	v_and_b32_e32 v1, 16, v62
                                        ; implicit-def: $vgpr8
	s_andn2_saveexec_b64 s[26:27], s[26:27]
	s_cbranch_execz .LBB8_474
	s_branch .LBB8_471
.LBB8_463:                              ;   in Loop: Header=BB8_266 Depth=2
	s_or_b64 exec, exec, s[58:59]
	s_and_saveexec_b64 vcc, s[60:61]
	s_xor_b64 vcc, exec, vcc
	s_cbranch_execz .LBB8_465
; %bb.464:                              ;   in Loop: Header=BB8_266 Depth=2
	ds_write_b32 v0, v42
	s_trap 2
.LBB8_465:                              ;   in Loop: Header=BB8_266 Depth=2
	s_or_b64 exec, exec, s[56:57]
	;;#ASMSTART
	s_wakeup
	;;#ASMEND
.LBB8_466:                              ;   in Loop: Header=BB8_266 Depth=2
	s_or_b64 exec, exec, s[54:55]
.LBB8_467:                              ;   in Loop: Header=BB8_266 Depth=2
	s_andn2_saveexec_b64 s[28:29], s[28:29]
	s_cbranch_execz .LBB8_469
; %bb.468:                              ;   in Loop: Header=BB8_266 Depth=2
	s_waitcnt lgkmcnt(0)
	s_barrier
.LBB8_469:                              ;   in Loop: Header=BB8_266 Depth=2
	s_or_b64 exec, exec, s[28:29]
	s_or_b64 exec, exec, s[26:27]
                                        ; implicit-def: $vgpr1
	s_and_saveexec_b64 s[26:27], s[50:51]
	s_xor_b64 s[26:27], exec, s[26:27]
	s_cbranch_execnz .LBB8_433
.LBB8_470:                              ;   in Loop: Header=BB8_266 Depth=2
	s_andn2_saveexec_b64 s[26:27], s[26:27]
	s_cbranch_execz .LBB8_474
.LBB8_471:                              ;   in Loop: Header=BB8_266 Depth=2
	s_trap 2
	ds_read_b32 v0, v0
	v_cmp_lt_i32_e32 vcc, 0, v8
	v_and_b32_e32 v2, 16, v62
	v_and_b32_e32 v1, 16, v62
	s_waitcnt lgkmcnt(0)
	v_readfirstlane_b32 s28, v0
	s_cmp_eq_u32 s28, 0
	s_cselect_b64 s[28:29], -1, 0
	s_and_b64 s[28:29], vcc, s[28:29]
	v_cmp_ne_u32_e32 vcc, 0, v2
	s_and_b64 vcc, vcc, s[28:29]
	s_and_saveexec_b64 s[28:29], vcc
	s_cbranch_execz .LBB8_473
; %bb.472:                              ;   in Loop: Header=BB8_266 Depth=2
	v_mov_b32_e32 v1, 1
	buffer_wbl2 sc1
	s_waitcnt vmcnt(0)
	buffer_inv sc1
.LBB8_473:                              ;   in Loop: Header=BB8_266 Depth=2
	s_or_b64 exec, exec, s[28:29]
.LBB8_474:                              ;   in Loop: Header=BB8_266 Depth=2
	s_or_b64 exec, exec, s[26:27]
	v_cmp_ne_u32_e32 vcc, 0, v1
	s_xor_b64 s[26:27], s[10:11], -1
	s_and_b64 s[28:29], vcc, s[26:27]
	s_and_saveexec_b64 s[26:27], s[28:29]
	s_cbranch_execz .LBB8_476
; %bb.475:                              ;   in Loop: Header=BB8_266 Depth=2
	flat_store_dword v[50:51], v42 sc0 sc1
.LBB8_476:                              ;   in Loop: Header=BB8_266 Depth=2
	s_or_b64 exec, exec, s[26:27]
	v_and_b32_e32 v0, 48, v62
	v_cmp_ne_u32_e32 vcc, 0, v0
	s_and_saveexec_b64 s[26:27], vcc
	s_cbranch_execz .LBB8_264
; %bb.477:                              ;   in Loop: Header=BB8_266 Depth=2
	v_lshl_add_u64 v[20:21], v[20:21], 0, 4
	flat_store_dwordx2 v[22:23], v[20:21] sc0 sc1
	s_branch .LBB8_264
.LBB8_478:                              ;   in Loop: Header=BB8_47 Depth=1
	v_mul_lo_u32 v1, v57, s72
	v_mul_lo_u32 v2, v56, s73
	v_mad_u64_u32 v[8:9], s[26:27], v56, s72, 0
	v_add3_u32 v9, v9, v2, v1
	v_sub_co_u32_e32 v10, vcc, v26, v8
	s_nop 1
	v_subb_co_u32_e32 v11, vcc, v27, v9, vcc
	v_cmp_lt_i64_e32 vcc, v[56:57], v[10:11]
	s_nop 1
	v_cndmask_b32_e32 v2, v10, v56, vcc
	v_max_i32_e32 v5, 0, v2
	v_add_u32_e32 v4, 15, v5
	v_ashrrev_i32_e32 v10, 31, v4
	v_lshrrev_b32_e32 v10, 28, v10
	v_add_u32_e32 v4, v4, v10
	v_cmp_gt_i32_e32 vcc, 1, v2
	v_and_b32_e32 v4, -16, v4
	s_or_b64 s[54:55], s[2:3], vcc
	v_max_i32_e32 v16, s79, v4
	s_xor_b64 s[26:27], s[54:55], -1
	v_mov_b32_e32 v10, 0
	s_and_saveexec_b64 s[56:57], s[26:27]
	s_cbranch_execz .LBB8_484
; %bb.479:                              ;   in Loop: Header=BB8_47 Depth=1
	s_and_saveexec_b64 s[26:27], s[0:1]
	s_cbranch_execz .LBB8_481
; %bb.480:                              ;   in Loop: Header=BB8_47 Depth=1
	s_trap 2
	ds_read2_b64 v[24:27], v0 offset1:1
	v_accvgpr_read_b32 v0, a44
	ds_read_b64 v[10:11], v0
	v_accvgpr_read_b32 v1, a45
	v_lshl_add_u64 v[8:9], v[8:9], 0, v[0:1]
	v_lshlrev_b64 v[8:9], 1, v[8:9]
	s_waitcnt lgkmcnt(0)
	v_lshl_add_u64 v[14:15], v[24:25], 0, v[8:9]
	ds_write_b64 v0, v[14:15]
	v_lshl_add_u64 v[14:15], v[26:27], 0, v[8:9]
	v_accvgpr_read_b32 v26, a42
	v_lshl_add_u64 v[8:9], v[10:11], 0, v[8:9]
	v_cmp_ne_u64_e32 vcc, 0, v[10:11]
	v_accvgpr_read_b32 v27, a43
	ds_write_b64 v0, v[14:15]
	v_cndmask_b32_e32 v9, 0, v9, vcc
	v_cndmask_b32_e32 v8, 0, v8, vcc
	ds_write_b64 v0, v[8:9]
.LBB8_481:                              ;   in Loop: Header=BB8_47 Depth=1
	s_or_b64 exec, exec, s[26:27]
	v_and_b32_e32 v2, 12, v62
	v_cmp_ne_u32_e32 vcc, 0, v2
	s_mov_b64 s[28:29], -1
	s_and_saveexec_b64 s[26:27], vcc
	s_cbranch_execz .LBB8_504
; %bb.482:                              ;   in Loop: Header=BB8_47 Depth=1
	v_and_b32_e32 v2, 8, v62
	v_lshl_add_u64 v[10:11], v[32:33], 0, v[2:3]
	v_lshl_add_u64 v[8:9], v[20:21], 0, 4
	v_cmp_lt_u64_e32 vcc, v[10:11], v[8:9]
	v_mov_b32_e32 v4, 1
	s_and_saveexec_b64 s[28:29], vcc
	s_cbranch_execz .LBB8_503
; %bb.483:                              ;   in Loop: Header=BB8_47 Depth=1
	s_mov_b64 s[30:31], 0
	v_mov_b32_e32 v4, 0
                                        ; implicit-def: $sgpr58_sgpr59
	s_branch .LBB8_491
.LBB8_484:                              ;   in Loop: Header=BB8_47 Depth=1
	s_or_b64 exec, exec, s[56:57]
	s_and_saveexec_b64 s[28:29], s[54:55]
	s_cbranch_execz .LBB8_726
.LBB8_485:                              ;   in Loop: Header=BB8_47 Depth=1
	v_and_b32_e32 v0, 12, v62
	v_cmp_ne_u32_e32 vcc, 0, v0
	s_mov_b64 s[30:31], -1
	s_and_saveexec_b64 s[26:27], vcc
	s_cbranch_execz .LBB8_530
; %bb.486:                              ;   in Loop: Header=BB8_47 Depth=1
	v_and_b32_e32 v2, 8, v62
	v_lshl_add_u64 v[14:15], v[32:33], 0, v[2:3]
	v_lshl_add_u64 v[8:9], v[20:21], 0, 4
	v_cmp_lt_u64_e32 vcc, v[14:15], v[8:9]
	v_mov_b32_e32 v4, 1
	s_and_saveexec_b64 s[30:31], vcc
	s_cbranch_execz .LBB8_529
; %bb.487:                              ;   in Loop: Header=BB8_47 Depth=1
	s_mov_b64 s[54:55], 0
	v_mov_b32_e32 v4, 0
                                        ; implicit-def: $sgpr56_sgpr57
	s_branch .LBB8_498
.LBB8_488:                              ;   in Loop: Header=BB8_491 Depth=2
	s_or_b64 exec, exec, s[66:67]
	v_mov_b32_e32 v10, 0
	s_orn2_b64 s[64:65], s[64:65], exec
.LBB8_489:                              ;   in Loop: Header=BB8_491 Depth=2
	s_or_b64 exec, exec, s[62:63]
	s_andn2_b64 vcc, s[58:59], exec
	s_and_b64 s[58:59], s[64:65], exec
	s_or_b64 s[58:59], vcc, s[58:59]
	v_mov_b32_e32 v4, v10
.LBB8_490:                              ;   in Loop: Header=BB8_491 Depth=2
	s_or_b64 exec, exec, s[60:61]
	s_waitcnt vmcnt(0) lgkmcnt(0)
	v_lshl_add_u64 v[10:11], v[32:33], 0, v[2:3]
	v_cmp_ge_u64_e32 vcc, v[10:11], v[8:9]
	s_xor_b64 s[60:61], s[58:59], -1
	s_or_b64 vcc, s[60:61], vcc
	s_and_b64 vcc, exec, vcc
	s_or_b64 s[30:31], vcc, s[30:31]
	s_andn2_b64 exec, exec, s[30:31]
	s_cbranch_execz .LBB8_502
.LBB8_491:                              ;   Parent Loop BB8_47 Depth=1
                                        ; =>  This Inner Loop Header: Depth=2
	s_sleep 1
	flat_load_dwordx2 v[32:33], v[22:23] sc0 sc1
	v_and_b32_e32 v10, 64, v62
	v_cmp_eq_u32_e32 vcc, 0, v10
	s_andn2_b64 s[58:59], s[58:59], exec
	s_and_saveexec_b64 s[60:61], vcc
	s_cbranch_execz .LBB8_490
; %bb.492:                              ;   in Loop: Header=BB8_491 Depth=2
	v_add_u32_e32 v10, 1, v4
	v_cmp_lt_i32_e32 vcc, s75, v4
	s_mov_b64 s[64:65], -1
	s_and_saveexec_b64 s[62:63], vcc
	s_cbranch_execz .LBB8_489
; %bb.493:                              ;   in Loop: Header=BB8_491 Depth=2
	s_trap 2
	ds_read_b64 v[10:11], v0
	s_waitcnt vmcnt(0) lgkmcnt(0)
	flat_load_dword v4, v[10:11] sc0 sc1
	s_waitcnt vmcnt(0) lgkmcnt(0)
	buffer_inv sc0 sc1
	v_cmp_ne_u32_e32 vcc, 0, v4
	s_and_saveexec_b64 s[66:67], vcc
	s_cbranch_execz .LBB8_488
; %bb.494:                              ;   in Loop: Header=BB8_491 Depth=2
	v_or_b32_e32 v62, 64, v62
	s_xor_b64 s[64:65], exec, -1
	ds_write_b32 v0, v4
	s_trap 2
	s_branch .LBB8_488
.LBB8_495:                              ;   in Loop: Header=BB8_498 Depth=2
	s_or_b64 exec, exec, s[64:65]
	v_mov_b32_e32 v11, 0
	s_orn2_b64 s[62:63], s[62:63], exec
.LBB8_496:                              ;   in Loop: Header=BB8_498 Depth=2
	s_or_b64 exec, exec, s[60:61]
	s_andn2_b64 vcc, s[56:57], exec
	s_and_b64 s[56:57], s[62:63], exec
	s_or_b64 s[56:57], vcc, s[56:57]
	v_mov_b32_e32 v4, v11
.LBB8_497:                              ;   in Loop: Header=BB8_498 Depth=2
	s_or_b64 exec, exec, s[58:59]
	s_waitcnt vmcnt(0) lgkmcnt(0)
	v_lshl_add_u64 v[14:15], v[32:33], 0, v[2:3]
	v_cmp_ge_u64_e32 vcc, v[14:15], v[8:9]
	s_xor_b64 s[58:59], s[56:57], -1
	s_or_b64 vcc, s[58:59], vcc
	s_and_b64 vcc, exec, vcc
	s_or_b64 s[54:55], vcc, s[54:55]
	s_andn2_b64 exec, exec, s[54:55]
	s_cbranch_execz .LBB8_528
.LBB8_498:                              ;   Parent Loop BB8_47 Depth=1
                                        ; =>  This Inner Loop Header: Depth=2
	s_sleep 1
	flat_load_dwordx2 v[32:33], v[22:23] sc0 sc1
	v_and_b32_e32 v0, 64, v62
	v_cmp_eq_u32_e32 vcc, 0, v0
	s_andn2_b64 s[56:57], s[56:57], exec
	s_and_saveexec_b64 s[58:59], vcc
	s_cbranch_execz .LBB8_497
; %bb.499:                              ;   in Loop: Header=BB8_498 Depth=2
	v_add_u32_e32 v11, 1, v4
	v_cmp_lt_i32_e32 vcc, s75, v4
	s_mov_b64 s[62:63], -1
	s_and_saveexec_b64 s[60:61], vcc
	s_cbranch_execz .LBB8_496
; %bb.500:                              ;   in Loop: Header=BB8_498 Depth=2
	s_trap 2
	ds_read_b64 v[14:15], v0
	s_waitcnt vmcnt(0) lgkmcnt(0)
	flat_load_dword v4, v[14:15] sc0 sc1
	s_waitcnt vmcnt(0) lgkmcnt(0)
	buffer_inv sc0 sc1
	v_cmp_ne_u32_e32 vcc, 0, v4
	s_and_saveexec_b64 s[64:65], vcc
	s_cbranch_execz .LBB8_495
; %bb.501:                              ;   in Loop: Header=BB8_498 Depth=2
	v_or_b32_e32 v62, 64, v62
	s_xor_b64 s[62:63], exec, -1
	ds_write_b32 v0, v4
	s_trap 2
	s_branch .LBB8_495
.LBB8_502:                              ;   in Loop: Header=BB8_47 Depth=1
	s_or_b64 exec, exec, s[30:31]
	v_and_b32_e32 v4, 12, v62
.LBB8_503:                              ;   in Loop: Header=BB8_47 Depth=1
	s_or_b64 exec, exec, s[28:29]
	v_cmp_eq_u32_e32 vcc, 0, v4
	s_orn2_b64 s[28:29], vcc, exec
	;;#ASMSTART
	s_wakeup
	;;#ASMEND
.LBB8_504:                              ;   in Loop: Header=BB8_47 Depth=1
	s_or_b64 exec, exec, s[26:27]
	s_xor_b64 s[26:27], s[28:29], -1
	v_min_i32_e32 v16, v16, v5
	s_and_saveexec_b64 s[28:29], s[26:27]
	s_cbranch_execz .LBB8_516
; %bb.505:                              ;   in Loop: Header=BB8_47 Depth=1
	v_and_b32_e32 v2, 0x108, v62
	v_cmp_ne_u32_e32 vcc, s83, v2
	v_and_b32_e32 v2, 7, v20
	s_and_saveexec_b64 s[26:27], vcc
	s_xor_b64 s[26:27], exec, s[26:27]
	s_andn2_saveexec_b64 s[26:27], s[26:27]
	s_cbranch_execz .LBB8_507
; %bb.506:                              ;   in Loop: Header=BB8_47 Depth=1
	v_ashrrev_i32_e32 v17, 31, v16
	v_mad_u64_u32 v[8:9], vcc, v2, 24, v[44:45]
	v_lshlrev_b64 v[10:11], 1, v[16:17]
	flat_store_dwordx2 v[8:9], v[10:11] offset:8
.LBB8_507:                              ;   in Loop: Header=BB8_47 Depth=1
	s_or_b64 exec, exec, s[26:27]
	v_and_b32_e32 v4, 0x100, v62
	v_cmp_ne_u32_e32 vcc, 0, v4
	s_mov_b64 s[26:27], -1
                                        ; implicit-def: $vgpr8_vgpr9
	s_and_saveexec_b64 s[30:31], vcc
	s_cbranch_execz .LBB8_511
; %bb.508:                              ;   in Loop: Header=BB8_47 Depth=1
	v_mad_u64_u32 v[10:11], s[26:27], v2, 24, v[44:45]
	v_mov_b32_e32 v4, v11
	v_mad_u64_u32 v[8:9], s[26:27], v3, 24, v[4:5]
	v_mov_b32_e32 v11, v8
	flat_load_dword v4, v[10:11]
                                        ; implicit-def: $vgpr8_vgpr9
	s_waitcnt vmcnt(0) lgkmcnt(0)
	v_cmp_ne_u32_e32 vcc, 1, v4
	v_cmp_eq_u32_e64 s[26:27], 1, v4
	s_and_saveexec_b64 s[58:59], s[26:27]
	s_cbranch_execz .LBB8_510
; %bb.509:                              ;   in Loop: Header=BB8_47 Depth=1
	flat_load_dword v8, v[10:11] offset:4 sc0 sc1
	s_waitcnt vmcnt(0) lgkmcnt(0)
	v_ashrrev_i32_e32 v9, 31, v8
	v_lshrrev_b64 v[8:9], 1, v[8:9]
.LBB8_510:                              ;   in Loop: Header=BB8_47 Depth=1
	s_or_b64 exec, exec, s[58:59]
	s_orn2_b64 s[26:27], vcc, exec
.LBB8_511:                              ;   in Loop: Header=BB8_47 Depth=1
	s_or_b64 exec, exec, s[30:31]
	s_and_saveexec_b64 vcc, s[26:27]
; %bb.512:                              ;   in Loop: Header=BB8_47 Depth=1
	v_mul_lo_u32 v4, v3, v58
	v_mul_lo_u32 v10, v2, v39
	v_mad_u64_u32 v[8:9], s[26:27], v2, v58, 0
	v_add3_u32 v9, v9, v10, v4
; %bb.513:                              ;   in Loop: Header=BB8_47 Depth=1
	s_or_b64 exec, exec, vcc
	v_and_b32_e32 v2, 0x2000, v62
	v_lshl_add_u64 v[8:9], v[8:9], 1, v[60:61]
	v_cmp_ne_u32_e32 vcc, 0, v2
	s_trap 2
	ds_write_b64 v0, v[8:9]
	s_and_saveexec_b64 s[26:27], vcc
	s_cbranch_execz .LBB8_515
; %bb.514:                              ;   in Loop: Header=BB8_47 Depth=1
	ds_read_b64 v[8:9], v0 offset:584
	s_waitcnt lgkmcnt(0)
	v_lshl_add_u64 v[8:9], v[8:9], 0, 1
	ds_write_b64 v0, v[8:9] offset:584
.LBB8_515:                              ;   in Loop: Header=BB8_47 Depth=1
	s_or_b64 exec, exec, s[26:27]
	v_lshl_add_u64 v[20:21], v[20:21], 0, 4
.LBB8_516:                              ;   in Loop: Header=BB8_47 Depth=1
	s_or_b64 exec, exec, s[28:29]
	s_and_saveexec_b64 s[26:27], s[6:7]
	s_cbranch_execz .LBB8_565
; %bb.517:                              ;   in Loop: Header=BB8_47 Depth=1
	s_and_saveexec_b64 s[28:29], s[40:41]
	s_xor_b64 s[28:29], exec, s[28:29]
	s_cbranch_execz .LBB8_562
; %bb.518:                              ;   in Loop: Header=BB8_47 Depth=1
	s_and_saveexec_b64 s[30:31], s[14:15]
	s_cbranch_execz .LBB8_561
; %bb.519:                              ;   in Loop: Header=BB8_47 Depth=1
	s_mov_b64 s[60:61], exec
	v_mbcnt_lo_u32_b32 v2, s60, 0
	v_mbcnt_hi_u32_b32 v2, s61, v2
	v_cmp_eq_u32_e32 vcc, 0, v2
	s_waitcnt lgkmcnt(0)
	s_and_saveexec_b64 s[58:59], vcc
	s_cbranch_execz .LBB8_521
; %bb.520:                              ;   in Loop: Header=BB8_47 Depth=1
	s_bcnt1_i32_b64 vcc_lo, s[60:61]
	v_mov_b32_e32 v2, vcc_lo
	ds_add_u64 v0, v[2:3]
	s_trap 2
.LBB8_521:                              ;   in Loop: Header=BB8_47 Depth=1
	s_or_b64 exec, exec, s[58:59]
	s_trap 2
	ds_read_b64 v[8:9], v0
	v_lshl_add_u64 v[12:13], v[12:13], 0, v[34:35]
	s_waitcnt lgkmcnt(0)
	v_cmp_lt_u64_e32 vcc, v[8:9], v[12:13]
	s_and_saveexec_b64 s[58:59], vcc
	s_cbranch_execz .LBB8_560
; %bb.522:                              ;   in Loop: Header=BB8_47 Depth=1
	s_mov_b32 s70, 0
	s_mov_b64 s[60:61], 0
                                        ; implicit-def: $sgpr62_sgpr63
                                        ; implicit-def: $sgpr64_sgpr65
	s_branch .LBB8_524
.LBB8_523:                              ;   in Loop: Header=BB8_524 Depth=2
	s_or_b64 exec, exec, s[68:69]
	s_and_b64 vcc, exec, vcc
	s_or_b64 s[60:61], vcc, s[60:61]
	s_andn2_b64 vcc, s[62:63], exec
	s_and_b64 s[62:63], s[64:65], exec
	s_or_b64 s[62:63], vcc, s[62:63]
	s_andn2_b64 exec, exec, s[60:61]
	s_cbranch_execz .LBB8_558
.LBB8_524:                              ;   Parent Loop BB8_47 Depth=1
                                        ; =>  This Inner Loop Header: Depth=2
	s_add_i32 s70, s70, 1
	s_cmpk_lg_i32 s70, 0x2710
	s_cselect_b64 s[66:67], -1, 0
	s_and_b64 vcc, exec, s[66:67]
                                        ; implicit-def: $sgpr68_sgpr69
	s_cbranch_vccnz .LBB8_526
; %bb.525:                              ;   in Loop: Header=BB8_524 Depth=2
	s_trap 2
	ds_read_b64 v[8:9], v0
	s_andn2_b64 s[66:67], s[66:67], exec
	s_mov_b32 s70, 0
	s_mov_b64 s[68:69], -1
	s_waitcnt vmcnt(0) lgkmcnt(0)
	flat_load_dword v2, v[8:9] sc0 sc1
	s_waitcnt vmcnt(0) lgkmcnt(0)
	buffer_inv sc0 sc1
	v_cmp_eq_u32_e32 vcc, 0, v2
	s_and_b64 vcc, vcc, exec
	s_or_b64 s[66:67], s[66:67], vcc
.LBB8_526:                              ;   in Loop: Header=BB8_524 Depth=2
	s_andn2_b64 s[64:65], s[64:65], exec
	s_and_b64 s[68:69], s[68:69], exec
	s_mov_b64 vcc, -1
	s_or_b64 s[64:65], s[64:65], s[68:69]
	s_and_saveexec_b64 s[68:69], s[66:67]
	s_cbranch_execz .LBB8_523
; %bb.527:                              ;   in Loop: Header=BB8_524 Depth=2
	s_sleep 1
	s_trap 2
	ds_read_b64 v[8:9], v0
	s_andn2_b64 s[64:65], s[64:65], exec
	s_waitcnt lgkmcnt(0)
	v_cmp_ge_u64_e32 vcc, v[8:9], v[12:13]
	s_orn2_b64 vcc, vcc, exec
	s_branch .LBB8_523
.LBB8_528:                              ;   in Loop: Header=BB8_47 Depth=1
	s_or_b64 exec, exec, s[54:55]
	v_and_b32_e32 v4, 12, v62
.LBB8_529:                              ;   in Loop: Header=BB8_47 Depth=1
	s_or_b64 exec, exec, s[30:31]
	v_cmp_eq_u32_e32 vcc, 0, v4
	s_orn2_b64 s[30:31], vcc, exec
	;;#ASMSTART
	s_wakeup
	;;#ASMEND
.LBB8_530:                              ;   in Loop: Header=BB8_47 Depth=1
	s_or_b64 exec, exec, s[26:27]
	v_sub_u32_e32 v0, v5, v10
	s_xor_b64 s[26:27], s[30:31], -1
	v_min_i32_e32 v8, v16, v0
	s_and_saveexec_b64 s[30:31], s[26:27]
	s_cbranch_execz .LBB8_546
; %bb.531:                              ;   in Loop: Header=BB8_47 Depth=1
	v_and_b32_e32 v0, 0x108, v62
	v_cmp_ne_u32_e32 vcc, s83, v0
	v_and_b32_e32 v2, 7, v20
	s_and_saveexec_b64 s[26:27], vcc
	s_xor_b64 s[26:27], exec, s[26:27]
	s_andn2_saveexec_b64 s[26:27], s[26:27]
	s_cbranch_execz .LBB8_533
; %bb.532:                              ;   in Loop: Header=BB8_47 Depth=1
	v_ashrrev_i32_e32 v9, 31, v8
	v_mad_u64_u32 v[10:11], vcc, v2, 24, v[44:45]
	v_lshlrev_b64 v[14:15], 1, v[8:9]
	flat_store_dwordx2 v[10:11], v[14:15] offset:8
.LBB8_533:                              ;   in Loop: Header=BB8_47 Depth=1
	s_or_b64 exec, exec, s[26:27]
	v_and_b32_e32 v0, 0x100, v62
	v_cmp_ne_u32_e32 vcc, 0, v0
	s_mov_b64 s[26:27], -1
                                        ; implicit-def: $vgpr10_vgpr11
	s_and_saveexec_b64 s[54:55], vcc
	s_cbranch_execz .LBB8_537
; %bb.534:                              ;   in Loop: Header=BB8_47 Depth=1
	v_mad_u64_u32 v[14:15], s[26:27], v2, 24, v[44:45]
	v_mov_b32_e32 v4, v15
	v_mad_u64_u32 v[10:11], s[26:27], v3, 24, v[4:5]
	v_mov_b32_e32 v15, v10
	flat_load_dword v0, v[14:15]
                                        ; implicit-def: $vgpr10_vgpr11
	s_waitcnt vmcnt(0) lgkmcnt(0)
	v_cmp_ne_u32_e32 vcc, 1, v0
	v_cmp_eq_u32_e64 s[26:27], 1, v0
	s_and_saveexec_b64 s[56:57], s[26:27]
	s_cbranch_execz .LBB8_536
; %bb.535:                              ;   in Loop: Header=BB8_47 Depth=1
	flat_load_dword v10, v[14:15] offset:4 sc0 sc1
	s_waitcnt vmcnt(0) lgkmcnt(0)
	v_ashrrev_i32_e32 v11, 31, v10
	v_lshrrev_b64 v[10:11], 1, v[10:11]
.LBB8_536:                              ;   in Loop: Header=BB8_47 Depth=1
	s_or_b64 exec, exec, s[56:57]
	s_orn2_b64 s[26:27], vcc, exec
.LBB8_537:                              ;   in Loop: Header=BB8_47 Depth=1
	s_or_b64 exec, exec, s[54:55]
	s_and_saveexec_b64 vcc, s[26:27]
; %bb.538:                              ;   in Loop: Header=BB8_47 Depth=1
	v_mul_lo_u32 v0, v3, v58
	v_mul_lo_u32 v1, v2, v39
	v_mad_u64_u32 v[10:11], s[26:27], v2, v58, 0
	v_add3_u32 v11, v11, v1, v0
; %bb.539:                              ;   in Loop: Header=BB8_47 Depth=1
	s_or_b64 exec, exec, vcc
	v_lshl_add_u64 v[10:11], v[10:11], 1, v[60:61]
	s_trap 2
	ds_write_b64 v0, v[10:11]
	v_and_b32_e32 v0, 0x2000, v62
	v_cmp_ne_u32_e32 vcc, 0, v0
	s_and_saveexec_b64 s[26:27], vcc
	s_cbranch_execz .LBB8_541
; %bb.540:                              ;   in Loop: Header=BB8_47 Depth=1
	ds_read_b64 v[10:11], v0 offset:584
	s_waitcnt lgkmcnt(0)
	v_lshl_add_u64 v[10:11], v[10:11], 0, 1
	ds_write_b64 v0, v[10:11] offset:584
.LBB8_541:                              ;   in Loop: Header=BB8_47 Depth=1
	s_or_b64 exec, exec, s[26:27]
	v_lshl_add_u64 v[20:21], v[20:21], 0, 4
	s_or_b64 exec, exec, s[30:31]
	s_and_saveexec_b64 s[26:27], s[6:7]
	s_cbranch_execnz .LBB8_547
.LBB8_542:                              ;   in Loop: Header=BB8_47 Depth=1
	s_or_b64 exec, exec, s[26:27]
                                        ; implicit-def: $vgpr1
	s_and_saveexec_b64 s[26:27], s[22:23]
	s_xor_b64 s[26:27], exec, s[26:27]
	s_cbranch_execz .LBB8_584
.LBB8_543:                              ;   in Loop: Header=BB8_47 Depth=1
	s_trap 2
	ds_read_b32 v0, v0
	v_cmp_lt_i32_e32 vcc, 0, v8
	v_and_b32_e32 v2, 16, v62
	v_and_b32_e32 v1, 16, v62
	s_waitcnt lgkmcnt(0)
	v_readfirstlane_b32 s30, v0
	s_cmp_eq_u32 s30, 0
	s_cselect_b64 s[30:31], -1, 0
	s_and_b64 s[30:31], vcc, s[30:31]
	v_cmp_ne_u32_e32 vcc, 0, v2
	s_and_b64 s[30:31], vcc, s[30:31]
	s_and_saveexec_b64 vcc, s[30:31]
	s_cbranch_execz .LBB8_545
; %bb.544:                              ;   in Loop: Header=BB8_47 Depth=1
	v_mov_b32_e32 v1, 1
	buffer_wbl2 sc1
	s_waitcnt vmcnt(0)
	buffer_inv sc1
.LBB8_545:                              ;   in Loop: Header=BB8_47 Depth=1
	s_or_b64 exec, exec, vcc
	s_andn2_saveexec_b64 s[26:27], s[26:27]
	s_cbranch_execz .LBB8_690
	s_branch .LBB8_585
.LBB8_546:                              ;   in Loop: Header=BB8_47 Depth=1
	s_or_b64 exec, exec, s[30:31]
	s_and_saveexec_b64 s[26:27], s[6:7]
	s_cbranch_execz .LBB8_542
.LBB8_547:                              ;   in Loop: Header=BB8_47 Depth=1
	s_and_saveexec_b64 vcc, s[40:41]
	s_xor_b64 s[30:31], exec, vcc
	s_cbranch_execz .LBB8_581
; %bb.548:                              ;   in Loop: Header=BB8_47 Depth=1
	s_and_saveexec_b64 s[54:55], s[14:15]
	s_cbranch_execz .LBB8_580
; %bb.549:                              ;   in Loop: Header=BB8_47 Depth=1
	s_mov_b64 s[58:59], exec
	v_mbcnt_lo_u32_b32 v0, s58, 0
	v_mbcnt_hi_u32_b32 v0, s59, v0
	v_cmp_eq_u32_e32 vcc, 0, v0
	s_waitcnt lgkmcnt(0)
	s_and_saveexec_b64 s[56:57], vcc
	s_cbranch_execz .LBB8_551
; %bb.550:                              ;   in Loop: Header=BB8_47 Depth=1
	s_bcnt1_i32_b64 vcc_lo, s[58:59]
	v_mov_b32_e32 v2, vcc_lo
	ds_add_u64 v0, v[2:3]
	s_trap 2
.LBB8_551:                              ;   in Loop: Header=BB8_47 Depth=1
	s_or_b64 exec, exec, s[56:57]
	s_trap 2
	ds_read_b64 v[10:11], v0
	v_lshl_add_u64 v[12:13], v[12:13], 0, v[34:35]
	s_waitcnt lgkmcnt(0)
	v_cmp_lt_u64_e32 vcc, v[10:11], v[12:13]
	s_and_saveexec_b64 s[56:57], vcc
	s_cbranch_execz .LBB8_579
; %bb.552:                              ;   in Loop: Header=BB8_47 Depth=1
	s_mov_b32 s68, 0
	s_mov_b64 s[58:59], 0
                                        ; implicit-def: $sgpr60_sgpr61
                                        ; implicit-def: $sgpr62_sgpr63
	s_branch .LBB8_554
.LBB8_553:                              ;   in Loop: Header=BB8_554 Depth=2
	s_or_b64 exec, exec, s[66:67]
	s_and_b64 vcc, exec, vcc
	s_or_b64 s[58:59], vcc, s[58:59]
	s_andn2_b64 vcc, s[60:61], exec
	s_and_b64 s[60:61], s[62:63], exec
	s_or_b64 s[60:61], vcc, s[60:61]
	s_andn2_b64 exec, exec, s[58:59]
	s_cbranch_execz .LBB8_577
.LBB8_554:                              ;   Parent Loop BB8_47 Depth=1
                                        ; =>  This Inner Loop Header: Depth=2
	s_add_i32 s68, s68, 1
	s_cmpk_lg_i32 s68, 0x2710
	s_cselect_b64 s[64:65], -1, 0
	s_and_b64 vcc, exec, s[64:65]
                                        ; implicit-def: $sgpr66_sgpr67
	s_cbranch_vccnz .LBB8_556
; %bb.555:                              ;   in Loop: Header=BB8_554 Depth=2
	s_trap 2
	ds_read_b64 v[10:11], v0
	s_andn2_b64 s[64:65], s[64:65], exec
	s_mov_b32 s68, 0
	s_mov_b64 s[66:67], -1
	s_waitcnt vmcnt(0) lgkmcnt(0)
	flat_load_dword v0, v[10:11] sc0 sc1
	s_waitcnt vmcnt(0) lgkmcnt(0)
	buffer_inv sc0 sc1
	v_cmp_eq_u32_e32 vcc, 0, v0
	s_and_b64 vcc, vcc, exec
	s_or_b64 s[64:65], s[64:65], vcc
.LBB8_556:                              ;   in Loop: Header=BB8_554 Depth=2
	s_andn2_b64 s[62:63], s[62:63], exec
	s_and_b64 s[66:67], s[66:67], exec
	s_mov_b64 vcc, -1
	s_or_b64 s[62:63], s[62:63], s[66:67]
	s_and_saveexec_b64 s[66:67], s[64:65]
	s_cbranch_execz .LBB8_553
; %bb.557:                              ;   in Loop: Header=BB8_554 Depth=2
	s_sleep 1
	s_trap 2
	ds_read_b64 v[10:11], v0
	s_andn2_b64 s[62:63], s[62:63], exec
	s_waitcnt lgkmcnt(0)
	v_cmp_ge_u64_e32 vcc, v[10:11], v[12:13]
	s_orn2_b64 vcc, vcc, exec
	s_branch .LBB8_553
.LBB8_558:                              ;   in Loop: Header=BB8_47 Depth=1
	s_or_b64 exec, exec, s[60:61]
	s_and_saveexec_b64 vcc, s[62:63]
	s_xor_b64 vcc, exec, vcc
	s_cbranch_execz .LBB8_560
; %bb.559:                              ;   in Loop: Header=BB8_47 Depth=1
	ds_write_b32 v0, v42
	s_trap 2
.LBB8_560:                              ;   in Loop: Header=BB8_47 Depth=1
	s_or_b64 exec, exec, s[58:59]
	;;#ASMSTART
	s_wakeup
	;;#ASMEND
.LBB8_561:                              ;   in Loop: Header=BB8_47 Depth=1
	s_or_b64 exec, exec, s[30:31]
.LBB8_562:                              ;   in Loop: Header=BB8_47 Depth=1
	s_andn2_saveexec_b64 s[28:29], s[28:29]
	s_cbranch_execz .LBB8_564
; %bb.563:                              ;   in Loop: Header=BB8_47 Depth=1
	s_waitcnt lgkmcnt(0)
	s_barrier
.LBB8_564:                              ;   in Loop: Header=BB8_47 Depth=1
	s_or_b64 exec, exec, s[28:29]
.LBB8_565:                              ;   in Loop: Header=BB8_47 Depth=1
	s_or_b64 exec, exec, s[26:27]
	s_trap 2
	ds_read_b32 v8, v0
	v_and_b32_e32 v2, 0x4000, v62
	v_cmp_ne_u32_e32 vcc, 0, v2
	s_xor_b64 s[26:27], s[4:5], -1
	s_and_b64 s[28:29], s[26:27], vcc
	s_and_saveexec_b64 s[26:27], s[28:29]
	s_cbranch_execz .LBB8_603
; %bb.566:                              ;   in Loop: Header=BB8_47 Depth=1
	s_and_saveexec_b64 s[28:29], s[40:41]
	s_xor_b64 s[28:29], exec, s[28:29]
	s_cbranch_execz .LBB8_600
; %bb.567:                              ;   in Loop: Header=BB8_47 Depth=1
	s_and_saveexec_b64 s[30:31], s[14:15]
	s_cbranch_execz .LBB8_599
; %bb.568:                              ;   in Loop: Header=BB8_47 Depth=1
	s_mov_b64 s[60:61], exec
	v_mbcnt_lo_u32_b32 v2, s60, 0
	v_mbcnt_hi_u32_b32 v2, s61, v2
	v_cmp_eq_u32_e32 vcc, 0, v2
	s_waitcnt lgkmcnt(0)
	s_and_saveexec_b64 s[58:59], vcc
	s_cbranch_execz .LBB8_570
; %bb.569:                              ;   in Loop: Header=BB8_47 Depth=1
	s_bcnt1_i32_b64 vcc_lo, s[60:61]
	v_mov_b32_e32 v2, vcc_lo
	ds_add_u64 v0, v[2:3]
	s_trap 2
.LBB8_570:                              ;   in Loop: Header=BB8_47 Depth=1
	s_or_b64 exec, exec, s[58:59]
	s_trap 2
	ds_read_b64 v[10:11], v0
	v_lshl_add_u64 v[12:13], v[12:13], 0, v[34:35]
	s_waitcnt lgkmcnt(0)
	v_cmp_lt_u64_e32 vcc, v[10:11], v[12:13]
	s_and_saveexec_b64 s[58:59], vcc
	s_cbranch_execz .LBB8_598
; %bb.571:                              ;   in Loop: Header=BB8_47 Depth=1
	s_mov_b32 s70, 0
	s_mov_b64 s[60:61], 0
                                        ; implicit-def: $sgpr62_sgpr63
                                        ; implicit-def: $sgpr64_sgpr65
	s_branch .LBB8_573
.LBB8_572:                              ;   in Loop: Header=BB8_573 Depth=2
	s_or_b64 exec, exec, s[68:69]
	s_and_b64 vcc, exec, vcc
	s_or_b64 s[60:61], vcc, s[60:61]
	s_andn2_b64 vcc, s[62:63], exec
	s_and_b64 s[62:63], s[64:65], exec
	s_or_b64 s[62:63], vcc, s[62:63]
	s_andn2_b64 exec, exec, s[60:61]
	s_cbranch_execz .LBB8_596
.LBB8_573:                              ;   Parent Loop BB8_47 Depth=1
                                        ; =>  This Inner Loop Header: Depth=2
	s_add_i32 s70, s70, 1
	s_cmpk_lg_i32 s70, 0x2710
	s_cselect_b64 s[66:67], -1, 0
	s_and_b64 vcc, exec, s[66:67]
                                        ; implicit-def: $sgpr68_sgpr69
	s_cbranch_vccnz .LBB8_575
; %bb.574:                              ;   in Loop: Header=BB8_573 Depth=2
	s_trap 2
	ds_read_b64 v[10:11], v0
	s_andn2_b64 s[66:67], s[66:67], exec
	s_mov_b32 s70, 0
	s_mov_b64 s[68:69], -1
	s_waitcnt vmcnt(0) lgkmcnt(0)
	flat_load_dword v2, v[10:11] sc0 sc1
	s_waitcnt vmcnt(0) lgkmcnt(0)
	buffer_inv sc0 sc1
	v_cmp_eq_u32_e32 vcc, 0, v2
	s_and_b64 vcc, vcc, exec
	s_or_b64 s[66:67], s[66:67], vcc
.LBB8_575:                              ;   in Loop: Header=BB8_573 Depth=2
	s_andn2_b64 s[64:65], s[64:65], exec
	s_and_b64 s[68:69], s[68:69], exec
	s_mov_b64 vcc, -1
	s_or_b64 s[64:65], s[64:65], s[68:69]
	s_and_saveexec_b64 s[68:69], s[66:67]
	s_cbranch_execz .LBB8_572
; %bb.576:                              ;   in Loop: Header=BB8_573 Depth=2
	s_sleep 1
	s_trap 2
	ds_read_b64 v[10:11], v0
	s_andn2_b64 s[64:65], s[64:65], exec
	s_waitcnt lgkmcnt(0)
	v_cmp_ge_u64_e32 vcc, v[10:11], v[12:13]
	s_orn2_b64 vcc, vcc, exec
	s_branch .LBB8_572
.LBB8_577:                              ;   in Loop: Header=BB8_47 Depth=1
	s_or_b64 exec, exec, s[58:59]
	s_and_saveexec_b64 vcc, s[60:61]
	s_xor_b64 vcc, exec, vcc
	s_cbranch_execz .LBB8_579
; %bb.578:                              ;   in Loop: Header=BB8_47 Depth=1
	ds_write_b32 v0, v42
	s_trap 2
.LBB8_579:                              ;   in Loop: Header=BB8_47 Depth=1
	s_or_b64 exec, exec, s[56:57]
	;;#ASMSTART
	s_wakeup
	;;#ASMEND
.LBB8_580:                              ;   in Loop: Header=BB8_47 Depth=1
	s_or_b64 exec, exec, s[54:55]
.LBB8_581:                              ;   in Loop: Header=BB8_47 Depth=1
	s_andn2_saveexec_b64 vcc, s[30:31]
	s_cbranch_execz .LBB8_583
; %bb.582:                              ;   in Loop: Header=BB8_47 Depth=1
	s_waitcnt lgkmcnt(0)
	s_barrier
.LBB8_583:                              ;   in Loop: Header=BB8_47 Depth=1
	s_or_b64 exec, exec, vcc
	s_or_b64 exec, exec, s[26:27]
                                        ; implicit-def: $vgpr1
	s_and_saveexec_b64 s[26:27], s[22:23]
	s_xor_b64 s[26:27], exec, s[26:27]
	s_cbranch_execnz .LBB8_543
.LBB8_584:                              ;   in Loop: Header=BB8_47 Depth=1
	s_andn2_saveexec_b64 s[26:27], s[26:27]
	s_cbranch_execz .LBB8_690
.LBB8_585:                              ;   in Loop: Header=BB8_47 Depth=1
	s_and_saveexec_b64 vcc, s[40:41]
	s_xor_b64 s[30:31], exec, vcc
	s_cbranch_execz .LBB8_687
; %bb.586:                              ;   in Loop: Header=BB8_47 Depth=1
	s_and_saveexec_b64 s[54:55], s[14:15]
	s_cbranch_execz .LBB8_686
; %bb.587:                              ;   in Loop: Header=BB8_47 Depth=1
	s_mov_b64 s[58:59], exec
	v_mbcnt_lo_u32_b32 v0, s58, 0
	v_mbcnt_hi_u32_b32 v0, s59, v0
	v_cmp_eq_u32_e32 vcc, 0, v0
	;;#ASMSTART
	s_waitcnt lgkmcnt(0) vmcnt(0)
	;;#ASMEND
	s_and_saveexec_b64 s[56:57], vcc
	s_cbranch_execz .LBB8_589
; %bb.588:                              ;   in Loop: Header=BB8_47 Depth=1
	s_bcnt1_i32_b64 vcc_lo, s[58:59]
	v_mov_b32_e32 v2, vcc_lo
	ds_add_u64 v0, v[2:3]
	s_trap 2
.LBB8_589:                              ;   in Loop: Header=BB8_47 Depth=1
	s_or_b64 exec, exec, s[56:57]
	s_trap 2
	ds_read_b64 v[8:9], v0
	v_lshl_add_u64 v[12:13], v[12:13], 0, v[34:35]
	s_waitcnt lgkmcnt(0)
	v_cmp_lt_u64_e32 vcc, v[8:9], v[12:13]
	s_and_saveexec_b64 s[56:57], vcc
	s_cbranch_execz .LBB8_685
; %bb.590:                              ;   in Loop: Header=BB8_47 Depth=1
	s_mov_b32 s68, 0
	s_mov_b64 s[58:59], 0
                                        ; implicit-def: $sgpr60_sgpr61
                                        ; implicit-def: $sgpr62_sgpr63
	s_branch .LBB8_592
.LBB8_591:                              ;   in Loop: Header=BB8_592 Depth=2
	s_or_b64 exec, exec, s[66:67]
	s_and_b64 vcc, exec, vcc
	s_or_b64 s[58:59], vcc, s[58:59]
	s_andn2_b64 vcc, s[60:61], exec
	s_and_b64 s[60:61], s[62:63], exec
	s_or_b64 s[60:61], vcc, s[60:61]
	s_andn2_b64 exec, exec, s[58:59]
	s_cbranch_execz .LBB8_683
.LBB8_592:                              ;   Parent Loop BB8_47 Depth=1
                                        ; =>  This Inner Loop Header: Depth=2
	s_add_i32 s68, s68, 1
	s_cmpk_lg_i32 s68, 0x2710
	s_cselect_b64 s[64:65], -1, 0
	s_and_b64 vcc, exec, s[64:65]
                                        ; implicit-def: $sgpr66_sgpr67
	s_cbranch_vccnz .LBB8_594
; %bb.593:                              ;   in Loop: Header=BB8_592 Depth=2
	s_trap 2
	ds_read_b64 v[8:9], v0
	s_andn2_b64 s[64:65], s[64:65], exec
	s_mov_b32 s68, 0
	s_mov_b64 s[66:67], -1
	s_waitcnt vmcnt(0) lgkmcnt(0)
	flat_load_dword v0, v[8:9] sc0 sc1
	s_waitcnt vmcnt(0) lgkmcnt(0)
	buffer_inv sc0 sc1
	v_cmp_eq_u32_e32 vcc, 0, v0
	s_and_b64 vcc, vcc, exec
	s_or_b64 s[64:65], s[64:65], vcc
.LBB8_594:                              ;   in Loop: Header=BB8_592 Depth=2
	s_andn2_b64 s[62:63], s[62:63], exec
	s_and_b64 s[66:67], s[66:67], exec
	s_mov_b64 vcc, -1
	s_or_b64 s[62:63], s[62:63], s[66:67]
	s_and_saveexec_b64 s[66:67], s[64:65]
	s_cbranch_execz .LBB8_591
; %bb.595:                              ;   in Loop: Header=BB8_592 Depth=2
	s_sleep 1
	s_trap 2
	ds_read_b64 v[8:9], v0
	s_andn2_b64 s[62:63], s[62:63], exec
	s_waitcnt lgkmcnt(0)
	v_cmp_ge_u64_e32 vcc, v[8:9], v[12:13]
	s_orn2_b64 vcc, vcc, exec
	s_branch .LBB8_591
.LBB8_596:                              ;   in Loop: Header=BB8_47 Depth=1
	s_or_b64 exec, exec, s[60:61]
	s_and_saveexec_b64 vcc, s[62:63]
	s_xor_b64 vcc, exec, vcc
	s_cbranch_execz .LBB8_598
; %bb.597:                              ;   in Loop: Header=BB8_47 Depth=1
	ds_write_b32 v0, v42
	s_trap 2
.LBB8_598:                              ;   in Loop: Header=BB8_47 Depth=1
	s_or_b64 exec, exec, s[58:59]
	;;#ASMSTART
	s_wakeup
	;;#ASMEND
.LBB8_599:                              ;   in Loop: Header=BB8_47 Depth=1
	s_or_b64 exec, exec, s[30:31]
.LBB8_600:                              ;   in Loop: Header=BB8_47 Depth=1
	s_andn2_saveexec_b64 s[28:29], s[28:29]
	s_cbranch_execz .LBB8_602
; %bb.601:                              ;   in Loop: Header=BB8_47 Depth=1
	s_waitcnt lgkmcnt(0)
	s_barrier
.LBB8_602:                              ;   in Loop: Header=BB8_47 Depth=1
	s_or_b64 exec, exec, s[28:29]
.LBB8_603:                              ;   in Loop: Header=BB8_47 Depth=1
	s_or_b64 exec, exec, s[26:27]
	s_trap 2
	ds_read_b64 v[10:11], v0
	s_waitcnt lgkmcnt(0)
	v_readfirstlane_b32 s26, v10
	v_readfirstlane_b32 s27, v11
	s_cmp_eq_u64 s[26:27], 0
	s_cselect_b64 s[26:27], -1, 0
	s_or_b64 s[28:29], s[26:27], s[26:27]
	s_mov_b64 s[26:27], 0
	s_and_b64 vcc, exec, s[28:29]
	s_cbranch_vccnz .LBB8_611
; %bb.604:                              ;   in Loop: Header=BB8_47 Depth=1
	s_trap 2
	ds_read_b64 v[10:11], v0
	v_cmp_eq_u32_e32 vcc, 0, v8
	s_nop 1
	v_cndmask_b32_e32 v43, 0, v16, vcc
	s_waitcnt lgkmcnt(0)
	v_cmp_ne_u64_e32 vcc, 0, v[10:11]
	v_lshlrev_b32_e32 v17, 1, v43
	s_cbranch_vccz .LBB8_616
; %bb.605:                              ;   in Loop: Header=BB8_47 Depth=1
	s_mov_b64 s[28:29], -1
	s_and_saveexec_b64 s[26:27], s[20:21]
	s_cbranch_execz .LBB8_607
; %bb.606:                              ;   in Loop: Header=BB8_47 Depth=1
	ds_read_b32 v0, v0 offset:720
	s_waitcnt lgkmcnt(0)
	v_and_b32_e32 v0, 15, v0
	v_cmp_eq_u32_e32 vcc, 0, v0
	s_orn2_b64 s[28:29], vcc, exec
.LBB8_607:                              ;   in Loop: Header=BB8_47 Depth=1
	s_or_b64 exec, exec, s[26:27]
	s_and_saveexec_b64 s[26:27], s[20:21]
	s_cbranch_execz .LBB8_609
; %bb.608:                              ;   in Loop: Header=BB8_47 Depth=1
	ds_read_b32 v0, v0 offset:784
	s_waitcnt lgkmcnt(0)
	v_and_b32_e32 v0, 15, v0
	v_cmp_eq_u32_e32 vcc, 0, v0
	s_and_b64 vcc, s[28:29], vcc
	s_andn2_b64 s[28:29], s[28:29], exec
	s_and_b64 vcc, vcc, exec
	s_or_b64 s[28:29], s[28:29], vcc
.LBB8_609:                              ;   in Loop: Header=BB8_47 Depth=1
	s_or_b64 exec, exec, s[26:27]
	s_xor_b64 s[28:29], s[28:29], -1
	v_cndmask_b32_e64 v0, 0, 1, s[28:29]
	s_mov_b64 s[26:27], -1
	;;#ASMSTART
	;;#ASMEND
	v_mov_b32_e32 v30, 0
	v_cmp_ne_u32_e32 vcc, 0, v0
	v_mov_b32_e32 v31, v17
	v_mov_b32_e32 v46, v52
	;; [unrolled: 1-line block ×3, first 2 shown]
	s_cbranch_vccz .LBB8_617
; %bb.610:                              ;   in Loop: Header=BB8_47 Depth=1
	s_and_saveexec_b64 s[30:31], s[26:27]
	s_cbranch_execnz .LBB8_632
	s_branch .LBB8_642
.LBB8_611:                              ;   in Loop: Header=BB8_47 Depth=1
	s_and_saveexec_b64 s[28:29], s[6:7]
	s_cbranch_execnz .LBB8_672
.LBB8_612:                              ;   in Loop: Header=BB8_47 Depth=1
	s_or_b64 exec, exec, s[28:29]
                                        ; implicit-def: $vgpr2
	s_and_saveexec_b64 s[28:29], s[22:23]
	s_xor_b64 s[28:29], exec, s[28:29]
	s_cbranch_execz .LBB8_702
.LBB8_613:                              ;   in Loop: Header=BB8_47 Depth=1
	v_and_b32_e32 v0, 16, v62
	v_cmp_ne_u32_e32 vcc, 0, v0
	v_and_b32_e32 v2, 16, v62
	s_and_b64 vcc, vcc, s[26:27]
	s_and_saveexec_b64 s[26:27], vcc
	s_cbranch_execz .LBB8_615
; %bb.614:                              ;   in Loop: Header=BB8_47 Depth=1
	v_mov_b32_e32 v2, 1
	buffer_wbl2 sc1
	s_waitcnt vmcnt(0) lgkmcnt(0)
	buffer_inv sc1
.LBB8_615:                              ;   in Loop: Header=BB8_47 Depth=1
	s_or_b64 exec, exec, s[26:27]
	s_andn2_saveexec_b64 s[26:27], s[28:29]
	s_cbranch_execz .LBB8_721
	s_branch .LBB8_703
.LBB8_616:                              ;   in Loop: Header=BB8_47 Depth=1
	s_cbranch_execnz .LBB8_643
	s_branch .LBB8_671
.LBB8_617:                              ;   in Loop: Header=BB8_47 Depth=1
	v_ashrrev_i32_e32 v0, 31, v17
	v_lshrrev_b32_e32 v0, 21, v0
	v_add_u32_e32 v0, v17, v0
	v_ashrrev_i32_e32 v2, 11, v0
	v_sub_u32_e32 v4, v2, v47
	v_cmp_lt_i32_e32 vcc, 0, v4
	s_and_saveexec_b64 s[26:27], vcc
	s_cbranch_execz .LBB8_621
; %bb.618:                              ;   in Loop: Header=BB8_47 Depth=1
	s_trap 2
	ds_read_b128 v[8:11], v0
	v_accvgpr_read_b32 v0, a40
	v_accvgpr_read_b32 v1, a41
	v_accvgpr_write_b32 a3, v17
	s_mov_b64 s[28:29], 0
	s_waitcnt lgkmcnt(0)
	v_lshl_add_u64 v[14:15], v[8:9], 0, v[0:1]
	v_lshl_add_u64 v[18:19], v[10:11], 0, v[0:1]
	v_mov_b64_e32 v[30:31], v[14:15]
	v_mov_b64_e32 v[46:47], v[18:19]
.LBB8_619:                              ;   Parent Loop BB8_47 Depth=1
                                        ; =>  This Inner Loop Header: Depth=2
	global_load_dwordx4 v[24:27], v[18:19], off nt
	global_load_dwordx4 v[36:39], v[14:15], off nt
	global_load_dwordx4 v[8:11], v[14:15], off offset:1024 nt
	global_load_dwordx4 v[48:51], v[18:19], off offset:1024 nt
	v_sub_u32_e32 v4, v4, v34
	v_cmp_gt_i32_e32 vcc, 1, v4
	v_lshl_add_u64 v[14:15], v[14:15], 0, v[54:55]
	v_lshl_add_u64 v[18:19], v[18:19], 0, v[54:55]
	s_or_b64 s[28:29], vcc, s[28:29]
	s_waitcnt vmcnt(0)
	v_mul_f16_e32 v0, v36, v24
	v_mul_f16_sdwa v1, v36, v24 dst_sel:WORD_1 dst_unused:UNUSED_PAD src0_sel:WORD_1 src1_sel:WORD_1
	v_mul_f16_e32 v6, v37, v25
	v_mul_f16_sdwa v7, v37, v25 dst_sel:WORD_1 dst_unused:UNUSED_PAD src0_sel:WORD_1 src1_sel:WORD_1
	;; [unrolled: 2-line block ×8, first 2 shown]
	v_or_b32_e32 v9, v7, v6
	v_or_b32_e32 v8, v1, v0
	;; [unrolled: 1-line block ×8, first 2 shown]
	global_store_dwordx4 v[30:31], v[8:11], off nt
	global_store_dwordx4 v[30:31], v[24:27], off offset:1024 nt
	global_store_dwordx4 v[46:47], v[8:11], off nt
	global_store_dwordx4 v[46:47], v[24:27], off offset:1024 nt
	v_lshl_add_u64 v[30:31], v[30:31], 0, v[54:55]
	v_lshl_add_u64 v[46:47], v[46:47], 0, v[54:55]
	s_andn2_b64 exec, exec, s[28:29]
	s_cbranch_execnz .LBB8_619
; %bb.620:                              ;   in Loop: Header=BB8_47 Depth=1
	s_or_b64 exec, exec, s[28:29]
	v_accvgpr_read_b32 v51, a19
	v_accvgpr_read_b32 v49, a23
	v_accvgpr_read_b32 v37, a29
	v_accvgpr_read_b32 v6, a32
	v_accvgpr_read_b32 v28, a34
	v_accvgpr_read_b32 v26, a42
	v_accvgpr_read_b32 v50, a18
	v_accvgpr_read_b32 v39, a15
	v_accvgpr_read_b32 v48, a22
	v_accvgpr_read_b32 v36, a28
	v_accvgpr_read_b32 v47, a30
	v_accvgpr_read_b32 v7, a33
	v_accvgpr_read_b32 v29, a35
	v_accvgpr_read_b32 v27, a43
	v_accvgpr_read_b32 v17, a3
.LBB8_621:                              ;   in Loop: Header=BB8_47 Depth=1
	s_or_b64 exec, exec, s[26:27]
	v_lshlrev_b32_e32 v2, 11, v2
	v_cmp_ne_u32_e32 vcc, v17, v2
	s_mov_b64 s[26:27], 0
	v_mov_b32_e32 v30, 0
                                        ; implicit-def: $vgpr31
                                        ; implicit-def: $vgpr46
                                        ; implicit-def: $vgpr8
	s_and_saveexec_b64 s[58:59], vcc
	s_cbranch_execz .LBB8_631
; %bb.622:                              ;   in Loop: Header=BB8_47 Depth=1
	v_lshlrev_b32_e32 v1, 6, v4
	v_accvgpr_read_b32 v4, a31
	v_sub_u32_e32 v1, v4, v1
	v_ashrrev_i32_e32 v4, 31, v1
	v_lshrrev_b32_e32 v4, 26, v4
	v_add_u32_e32 v4, v1, v4
	v_ashrrev_i32_e32 v6, 6, v4
	v_and_b32_e32 v4, 0xffffffc0, v4
	v_sub_u32_e32 v9, v1, v4
	v_sub_u32_e32 v0, v17, v2
	v_lshlrev_b32_e32 v1, 4, v9
	v_lshl_add_u32 v8, v6, 10, v1
	v_ashrrev_i32_e32 v1, 31, v0
	v_lshrrev_b32_e32 v1, 22, v1
	v_add_u32_e32 v1, v0, v1
	v_ashrrev_i32_e32 v7, 10, v1
	v_and_b32_e32 v1, 0xfffffc00, v1
	v_sub_u32_e32 v10, v0, v1
	v_cmp_lt_i32_e64 s[26:27], 15, v10
	v_sub_u32_e32 v4, v0, v8
	s_nop 0
	v_addc_co_u32_e64 v0, vcc, 0, v7, s[26:27]
	v_sub_u32_e32 v25, v0, v6
	v_cmp_lt_i32_e32 vcc, 15, v4
	s_and_saveexec_b64 s[60:61], vcc
	s_cbranch_execz .LBB8_628
; %bb.623:                              ;   in Loop: Header=BB8_47 Depth=1
	s_trap 2
	ds_read_b128 v[26:29], v0
	v_add_u32_e32 v8, v8, v2
	v_accvgpr_write_b32 a3, v9
	v_ashrrev_i32_e32 v9, 31, v8
	v_accvgpr_write_b32 a24, v10
	s_waitcnt lgkmcnt(0)
	v_lshl_add_u64 v[18:19], v[26:27], 0, v[8:9]
	v_lshl_add_u64 v[30:31], v[28:29], 0, v[8:9]
	v_accvgpr_write_b32 a14, v1
	v_mov_b32_e32 v38, v17
	s_mov_b64 s[62:63], 0
	v_mov_b64_e32 v[14:15], v[18:19]
	v_mov_b64_e32 v[46:47], v[30:31]
.LBB8_624:                              ;   Parent Loop BB8_47 Depth=1
                                        ; =>  This Loop Header: Depth=2
                                        ;       Child Loop BB8_625 Depth 3
	global_load_dwordx4 v[8:11], v[14:15], off nt
	global_load_dwordx4 v[26:29], v[46:47], off nt
	s_mov_b64 s[66:67], -1
	s_mov_b64 s[64:65], 0
	s_waitcnt vmcnt(0)
	v_mul_f16_e32 v0, v8, v26
	v_mul_f16_sdwa v1, v8, v26 dst_sel:WORD_1 dst_unused:UNUSED_PAD src0_sel:WORD_1 src1_sel:WORD_1
	v_mul_f16_e32 v6, v9, v27
	v_mul_f16_sdwa v7, v9, v27 dst_sel:WORD_1 dst_unused:UNUSED_PAD src0_sel:WORD_1 src1_sel:WORD_1
	;; [unrolled: 2-line block ×4, first 2 shown]
	v_or_b32_e32 v9, v7, v6
	v_or_b32_e32 v8, v1, v0
	;; [unrolled: 1-line block ×4, first 2 shown]
.LBB8_625:                              ;   Parent Loop BB8_47 Depth=1
                                        ;     Parent Loop BB8_624 Depth=2
                                        ; =>    This Inner Loop Header: Depth=3
	s_cmp_eq_u32 s64, 0
	s_cselect_b64 s[28:29], -1, 0
	s_cmp_eq_u32 s64, 1
	s_cselect_b64 s[30:31], -1, 0
	v_cndmask_b32_e64 v0, 0, 1, s[66:67]
	v_cndmask_b32_e64 v27, v19, v31, s[30:31]
	;; [unrolled: 1-line block ×3, first 2 shown]
	v_cmp_ne_u32_e32 vcc, 1, v0
	global_store_dwordx4 v[26:27], v[8:11], off nt
	v_lshl_add_u64 v[26:27], v[26:27], 0, s[42:43]
	s_mov_b64 s[66:67], 0
	s_mov_b64 s[64:65], 1
	s_and_b64 vcc, exec, vcc
	v_cndmask_b32_e64 v31, v31, v27, s[30:31]
	v_cndmask_b32_e64 v30, v30, v26, s[30:31]
	;; [unrolled: 1-line block ×4, first 2 shown]
	s_cbranch_vccz .LBB8_625
; %bb.626:                              ;   in Loop: Header=BB8_624 Depth=2
	v_accvgpr_read_b32 v0, a26
	v_sub_u32_e32 v4, v4, v53
	v_accvgpr_read_b32 v1, a27
	v_cmp_gt_i32_e32 vcc, 16, v4
	v_lshl_add_u64 v[14:15], v[14:15], 0, v[40:41]
	v_lshl_add_u64 v[46:47], v[46:47], 0, v[40:41]
	;; [unrolled: 1-line block ×4, first 2 shown]
	s_or_b64 s[62:63], vcc, s[62:63]
	v_sub_u32_e32 v25, v25, v34
	s_andn2_b64 exec, exec, s[62:63]
	s_cbranch_execnz .LBB8_624
; %bb.627:                              ;   in Loop: Header=BB8_47 Depth=1
	s_or_b64 exec, exec, s[62:63]
	v_accvgpr_read_b32 v28, a34
	v_accvgpr_read_b32 v26, a42
	v_accvgpr_read_b32 v47, a30
	v_accvgpr_read_b32 v29, a35
	v_accvgpr_read_b32 v27, a43
	v_mov_b32_e32 v17, v38
	v_accvgpr_read_b32 v9, a3
	v_accvgpr_read_b32 v1, a14
	;; [unrolled: 1-line block ×3, first 2 shown]
.LBB8_628:                              ;   in Loop: Header=BB8_47 Depth=1
	s_or_b64 exec, exec, s[60:61]
	v_and_b32_e32 v4, 14, v17
	v_cndmask_b32_e64 v31, v10, v4, s[26:27]
	s_mov_b64 s[28:29], 0
	v_mov_b32_e32 v30, 0
	v_cmp_ne_u32_e32 vcc, 0, v31
                                        ; implicit-def: $vgpr46
                                        ; implicit-def: $vgpr8
	s_mov_b64 s[30:31], exec
	v_accvgpr_read_b32 v6, a32
	s_and_b64 vcc, s[30:31], vcc
	v_accvgpr_read_b32 v7, a33
	s_mov_b64 exec, vcc
	s_cbranch_execz .LBB8_630
; %bb.629:                              ;   in Loop: Header=BB8_47 Depth=1
	v_sub_u32_e32 v0, v10, v4
	v_cndmask_b32_e64 v0, 0, v0, s[26:27]
	v_cmp_lt_i32_e32 vcc, 0, v25
	v_add3_u32 v30, v1, v2, v0
	s_mov_b64 s[28:29], exec
	v_cndmask_b32_e32 v0, 0, v34, vcc
	v_sub_u32_e32 v0, v0, v25
	v_lshl_add_u32 v46, v0, 6, v9
	v_ashrrev_i32_e32 v0, 31, v46
	v_lshrrev_b32_e32 v0, 26, v0
	v_add_u32_e32 v0, v46, v0
	v_ashrrev_i32_e32 v8, 6, v0
.LBB8_630:                              ;   in Loop: Header=BB8_47 Depth=1
	s_or_b64 exec, exec, s[30:31]
	s_and_b64 s[26:27], s[28:29], exec
.LBB8_631:                              ;   in Loop: Header=BB8_47 Depth=1
	s_or_b64 exec, exec, s[58:59]
	s_and_saveexec_b64 s[30:31], s[26:27]
	s_cbranch_execz .LBB8_642
.LBB8_632:                              ;   in Loop: Header=BB8_47 Depth=1
	v_ashrrev_i32_e32 v0, 31, v31
	v_lshrrev_b32_e32 v0, 22, v0
	v_add_u32_e32 v0, v31, v0
	v_ashrrev_i32_e32 v25, 10, v0
	v_sub_u32_e32 v2, v25, v8
	v_ashrrev_i32_e32 v0, 31, v46
	v_cmp_lt_i32_e32 vcc, 0, v2
	v_lshrrev_b32_e32 v4, 26, v0
	s_and_saveexec_b64 s[26:27], vcc
	s_cbranch_execz .LBB8_636
; %bb.633:                              ;   in Loop: Header=BB8_47 Depth=1
	v_add_u32_e32 v0, v46, v4
	v_and_b32_e32 v0, 0x7fffffc0, v0
	v_sub_u32_e32 v0, v46, v0
	s_trap 2
	ds_read_b128 v[26:29], v0
	v_lshlrev_b32_e32 v0, 1, v0
	v_lshlrev_b32_e32 v1, 10, v8
	v_add3_u32 v10, v0, v30, v1
	v_ashrrev_i32_e32 v11, 31, v10
	s_waitcnt lgkmcnt(0)
	v_lshl_add_u64 v[8:9], v[26:27], 0, v[10:11]
	v_lshl_add_u64 v[10:11], v[28:29], 0, v[10:11]
	v_accvgpr_write_b32 a3, v17
	s_mov_b64 s[28:29], 0
	v_mov_b64_e32 v[14:15], v[8:9]
	v_mov_b64_e32 v[18:19], v[10:11]
.LBB8_634:                              ;   Parent Loop BB8_47 Depth=1
                                        ; =>  This Inner Loop Header: Depth=2
	flat_load_ushort v0, v[8:9] nt
	flat_load_ushort v1, v[8:9] offset:128 nt
	flat_load_ushort v6, v[8:9] offset:256 nt
	;; [unrolled: 1-line block ×7, first 2 shown]
	flat_load_ushort v28, v[10:11] nt
	flat_load_ushort v29, v[10:11] offset:128 nt
	flat_load_ushort v36, v[10:11] offset:256 nt
	;; [unrolled: 1-line block ×7, first 2 shown]
	v_sub_u32_e32 v2, v2, v34
	v_cmp_gt_i32_e32 vcc, 1, v2
	v_lshl_add_u64 v[8:9], v[8:9], 0, v[40:41]
	v_lshl_add_u64 v[10:11], v[10:11], 0, v[40:41]
	s_or_b64 s[28:29], vcc, s[28:29]
	s_waitcnt vmcnt(0) lgkmcnt(0)
	v_mul_f16_e32 v0, v0, v28
	v_mul_f16_e32 v1, v1, v29
	;; [unrolled: 1-line block ×8, first 2 shown]
	flat_store_short v[14:15], v0 nt
	flat_store_short v[14:15], v1 offset:128 nt
	flat_store_short v[14:15], v6 offset:256 nt
	;; [unrolled: 1-line block ×7, first 2 shown]
	flat_store_short v[18:19], v0 nt
	flat_store_short v[18:19], v1 offset:128 nt
	flat_store_short v[18:19], v6 offset:256 nt
	;; [unrolled: 1-line block ×7, first 2 shown]
	v_lshl_add_u64 v[14:15], v[14:15], 0, v[40:41]
	v_lshl_add_u64 v[18:19], v[18:19], 0, v[40:41]
	s_andn2_b64 exec, exec, s[28:29]
	s_cbranch_execnz .LBB8_634
; %bb.635:                              ;   in Loop: Header=BB8_47 Depth=1
	s_or_b64 exec, exec, s[28:29]
	v_accvgpr_read_b32 v49, a23
	v_accvgpr_read_b32 v37, a29
	;; [unrolled: 1-line block ×12, first 2 shown]
.LBB8_636:                              ;   in Loop: Header=BB8_47 Depth=1
	s_or_b64 exec, exec, s[26:27]
	v_lshlrev_b32_e32 v8, 10, v25
	v_cmp_ne_u32_e32 vcc, v31, v8
	s_and_b64 exec, exec, vcc
	s_cbranch_execz .LBB8_642
; %bb.637:                              ;   in Loop: Header=BB8_47 Depth=1
	v_add_u32_e32 v0, v46, v4
	v_and_b32_e32 v0, 0xffffffc0, v0
	v_sub_u32_e32 v0, v46, v0
	v_lshlrev_b32_e32 v1, 6, v2
	v_sub_u32_e32 v0, v0, v1
	v_ashrrev_i32_e32 v1, 31, v0
	v_lshrrev_b32_e32 v1, 26, v1
	v_add_u32_e32 v1, v0, v1
	v_and_b32_e32 v2, 0x7fffffc0, v1
	v_sub_u32_e32 v0, v0, v2
	v_lshlrev_b32_e32 v1, 1, v1
	v_and_b32_e32 v1, 0xffffff80, v1
	v_lshlrev_b32_e32 v0, 1, v0
	v_add3_u32 v4, v1, v0, v8
	v_sub_u32_e32 v2, v31, v4
	v_cmp_lt_i32_e32 vcc, 1, v2
	s_and_b64 exec, exec, vcc
	s_cbranch_execz .LBB8_642
; %bb.638:                              ;   in Loop: Header=BB8_47 Depth=1
	s_trap 2
	ds_read_b128 v[8:11], v0
	v_add_u32_e32 v14, v4, v30
	v_ashrrev_i32_e32 v15, 31, v14
	s_mov_b64 s[58:59], 0
	s_waitcnt lgkmcnt(0)
	v_lshl_add_u64 v[8:9], v[8:9], 0, v[14:15]
	v_lshl_add_u64 v[10:11], v[10:11], 0, v[14:15]
	v_mov_b64_e32 v[14:15], v[8:9]
	v_mov_b64_e32 v[18:19], v[10:11]
.LBB8_639:                              ;   Parent Loop BB8_47 Depth=1
                                        ; =>  This Loop Header: Depth=2
                                        ;       Child Loop BB8_640 Depth 3
	flat_load_ushort v0, v[14:15] nt
	flat_load_ushort v1, v[18:19] nt
	s_mov_b64 s[62:63], -1
	s_mov_b64 s[60:61], 0
	s_waitcnt vmcnt(0) lgkmcnt(0)
	v_mul_f16_e32 v4, v0, v1
.LBB8_640:                              ;   Parent Loop BB8_47 Depth=1
                                        ;     Parent Loop BB8_639 Depth=2
                                        ; =>    This Inner Loop Header: Depth=3
	s_cmp_eq_u32 s60, 0
	s_cselect_b64 s[26:27], -1, 0
	s_cmp_eq_u32 s60, 1
	s_cselect_b64 s[28:29], -1, 0
	v_cndmask_b32_e64 v0, 0, 1, s[62:63]
	v_cndmask_b32_e64 v25, v9, v11, s[28:29]
	;; [unrolled: 1-line block ×3, first 2 shown]
	v_cmp_ne_u32_e32 vcc, 1, v0
	flat_store_short v[24:25], v4 nt
	v_lshl_add_u64 v[24:25], v[24:25], 0, s[44:45]
	s_mov_b64 s[62:63], 0
	s_mov_b64 s[60:61], 1
	s_and_b64 vcc, exec, vcc
	v_cndmask_b32_e64 v11, v11, v25, s[28:29]
	v_cndmask_b32_e64 v10, v10, v24, s[28:29]
	;; [unrolled: 1-line block ×4, first 2 shown]
	s_cbranch_vccz .LBB8_640
; %bb.641:                              ;   in Loop: Header=BB8_639 Depth=2
	v_sub_u32_e32 v2, v2, v59
	v_cmp_gt_i32_e32 vcc, 2, v2
	v_lshl_add_u64 v[14:15], v[14:15], 0, v[28:29]
	v_lshl_add_u64 v[18:19], v[18:19], 0, v[28:29]
	;; [unrolled: 1-line block ×3, first 2 shown]
	s_or_b64 s[58:59], vcc, s[58:59]
	v_lshl_add_u64 v[10:11], v[10:11], 0, v[36:37]
	s_andn2_b64 exec, exec, s[58:59]
	s_cbranch_execnz .LBB8_639
.LBB8_642:                              ;   in Loop: Header=BB8_47 Depth=1
	s_or_b64 exec, exec, s[30:31]
	s_branch .LBB8_671
.LBB8_643:                              ;   in Loop: Header=BB8_47 Depth=1
	s_mov_b64 s[28:29], -1
	s_and_saveexec_b64 s[26:27], s[20:21]
	s_cbranch_execz .LBB8_645
; %bb.644:                              ;   in Loop: Header=BB8_47 Depth=1
	ds_read_b32 v2, v0 offset:720
	s_waitcnt lgkmcnt(0)
	v_and_b32_e32 v2, 15, v2
	v_cmp_eq_u32_e32 vcc, 0, v2
	s_orn2_b64 s[28:29], vcc, exec
.LBB8_645:                              ;   in Loop: Header=BB8_47 Depth=1
	s_or_b64 exec, exec, s[26:27]
	s_and_saveexec_b64 s[26:27], s[16:17]
	s_cbranch_execz .LBB8_647
; %bb.646:                              ;   in Loop: Header=BB8_47 Depth=1
	ds_read_b32 v2, v0 offset:784
	s_waitcnt lgkmcnt(0)
	v_and_b32_e32 v2, 15, v2
	v_cmp_eq_u32_e32 vcc, 0, v2
	s_and_b64 vcc, s[28:29], vcc
	s_andn2_b64 s[28:29], s[28:29], exec
	s_and_b64 vcc, vcc, exec
	s_or_b64 s[28:29], s[28:29], vcc
.LBB8_647:                              ;   in Loop: Header=BB8_47 Depth=1
	s_or_b64 exec, exec, s[26:27]
	s_xor_b64 s[28:29], s[28:29], -1
	v_cndmask_b32_e64 v2, 0, 1, s[28:29]
	s_mov_b64 s[26:27], -1
	;;#ASMSTART
	;;#ASMEND
	v_mov_b32_e32 v24, 0
	v_cmp_ne_u32_e32 vcc, 0, v2
	s_cbranch_vccz .LBB8_649
; %bb.648:                              ;   in Loop: Header=BB8_47 Depth=1
	v_mov_b32_e32 v1, v52
	v_mov_b32_e32 v8, v47
	s_and_saveexec_b64 s[28:29], s[26:27]
	s_cbranch_execnz .LBB8_662
	s_branch .LBB8_670
.LBB8_649:                              ;   in Loop: Header=BB8_47 Depth=1
	v_ashrrev_i32_e32 v2, 31, v17
	v_lshrrev_b32_e32 v2, 21, v2
	v_add_u32_e32 v2, v17, v2
	v_ashrrev_i32_e32 v2, 11, v2
	v_sub_u32_e32 v4, v2, v47
	v_cmp_lt_i32_e32 vcc, 0, v4
	s_and_saveexec_b64 s[26:27], vcc
	s_cbranch_execz .LBB8_653
; %bb.650:                              ;   in Loop: Header=BB8_47 Depth=1
	s_trap 2
	ds_read_b128 v[8:11], v0
	ds_read_b64 v[14:15], v0
	v_accvgpr_read_b32 v0, a40
	v_accvgpr_read_b32 v1, a41
	s_mov_b64 s[28:29], 0
	s_waitcnt lgkmcnt(0)
	v_lshl_add_u64 v[8:9], v[8:9], 0, v[0:1]
	v_lshl_add_u64 v[10:11], v[10:11], 0, v[0:1]
	v_lshl_add_u64 v[14:15], v[14:15], 0, v[0:1]
.LBB8_651:                              ;   Parent Loop BB8_47 Depth=1
                                        ; =>  This Inner Loop Header: Depth=2
	global_load_dwordx4 v[24:27], v[10:11], off nt
	global_load_dwordx4 v[28:31], v[8:9], off nt
	global_load_dwordx4 v[36:39], v[8:9], off offset:1024 nt
	global_load_dwordx4 v[46:49], v[10:11], off offset:1024 nt
	v_sub_u32_e32 v4, v4, v34
	v_cmp_gt_i32_e32 vcc, 1, v4
	v_lshl_add_u64 v[8:9], v[8:9], 0, v[54:55]
	v_lshl_add_u64 v[10:11], v[10:11], 0, v[54:55]
	s_or_b64 s[28:29], vcc, s[28:29]
	s_waitcnt vmcnt(0)
	v_mul_f16_e32 v18, v28, v24
	v_mul_f16_sdwa v19, v28, v24 dst_sel:WORD_1 dst_unused:UNUSED_PAD src0_sel:WORD_1 src1_sel:WORD_1
	v_mul_f16_e32 v24, v29, v25
	v_mul_f16_sdwa v25, v29, v25 dst_sel:WORD_1 dst_unused:UNUSED_PAD src0_sel:WORD_1 src1_sel:WORD_1
	;; [unrolled: 2-line block ×8, first 2 shown]
	v_or_b32_e32 v25, v25, v24
	v_or_b32_e32 v24, v19, v18
	;; [unrolled: 1-line block ×8, first 2 shown]
	global_store_dwordx4 v[14:15], v[24:27], off nt
	global_store_dwordx4 v[14:15], v[28:31], off offset:1024 nt
	v_lshl_add_u64 v[14:15], v[14:15], 0, v[54:55]
	s_andn2_b64 exec, exec, s[28:29]
	s_cbranch_execnz .LBB8_651
; %bb.652:                              ;   in Loop: Header=BB8_47 Depth=1
	s_or_b64 exec, exec, s[28:29]
	v_accvgpr_read_b32 v51, a19
	v_accvgpr_read_b32 v49, a23
	v_accvgpr_read_b32 v37, a29
	v_accvgpr_read_b32 v28, a34
	v_accvgpr_read_b32 v26, a42
	v_accvgpr_read_b32 v50, a18
	v_accvgpr_read_b32 v39, a15
	v_accvgpr_read_b32 v48, a22
	v_accvgpr_read_b32 v36, a28
	v_accvgpr_read_b32 v47, a30
	v_accvgpr_read_b32 v29, a35
	v_accvgpr_read_b32 v27, a43
.LBB8_653:                              ;   in Loop: Header=BB8_47 Depth=1
	s_or_b64 exec, exec, s[26:27]
	v_lshlrev_b32_e32 v2, 11, v2
	v_cmp_ne_u32_e32 vcc, v17, v2
	s_mov_b64 s[26:27], 0
	v_mov_b32_e32 v24, 0
                                        ; implicit-def: $vgpr1
                                        ; implicit-def: $vgpr8
	s_and_saveexec_b64 s[28:29], vcc
	s_cbranch_execz .LBB8_661
; %bb.654:                              ;   in Loop: Header=BB8_47 Depth=1
	v_lshlrev_b32_e32 v4, 6, v4
	v_accvgpr_read_b32 v0, a31
	v_sub_u32_e32 v4, v0, v4
	v_sub_u32_e32 v9, v17, v2
	v_ashrrev_i32_e32 v8, 31, v4
	v_lshrrev_b32_e32 v8, 26, v8
	v_ashrrev_i32_e32 v11, 31, v9
	v_add_u32_e32 v8, v4, v8
	v_lshrrev_b32_e32 v11, 22, v11
	v_ashrrev_i32_e32 v10, 6, v8
	v_and_b32_e32 v8, 0xffffffc0, v8
	v_add_u32_e32 v11, v9, v11
	v_sub_u32_e32 v4, v4, v8
	v_and_b32_e32 v18, 0xfffffc00, v11
	v_lshlrev_b32_e32 v8, 4, v4
	v_sub_u32_e32 v25, v9, v18
	v_lshl_add_u32 v8, v10, 10, v8
	v_ashrrev_i32_e32 v14, 10, v11
	v_cmp_lt_i32_e32 vcc, 15, v25
	v_sub_u32_e32 v30, v9, v8
	s_nop 0
	v_addc_co_u32_e64 v9, s[26:27], 0, v14, vcc
	v_sub_u32_e32 v19, v9, v10
	v_cmp_lt_i32_e64 s[26:27], 15, v30
	s_and_saveexec_b64 s[30:31], s[26:27]
	s_cbranch_execz .LBB8_658
; %bb.655:                              ;   in Loop: Header=BB8_47 Depth=1
	s_trap 2
	ds_read_b128 v[26:29], v0
	ds_read_b64 v[14:15], v0
	v_add_u32_e32 v36, v8, v2
	v_ashrrev_i32_e32 v37, 31, v36
	s_mov_b64 s[58:59], 0
	s_waitcnt lgkmcnt(0)
	v_lshl_add_u64 v[8:9], v[26:27], 0, v[36:37]
	v_lshl_add_u64 v[10:11], v[28:29], 0, v[36:37]
	;; [unrolled: 1-line block ×3, first 2 shown]
.LBB8_656:                              ;   Parent Loop BB8_47 Depth=1
                                        ; =>  This Inner Loop Header: Depth=2
	global_load_dwordx4 v[26:29], v[8:9], off nt
	global_load_dwordx4 v[36:39], v[10:11], off nt
	v_sub_u32_e32 v30, v30, v53
	v_cmp_gt_i32_e64 s[26:27], 16, v30
	v_lshl_add_u64 v[8:9], v[8:9], 0, v[40:41]
	v_lshl_add_u64 v[10:11], v[10:11], 0, v[40:41]
	v_sub_u32_e32 v19, v19, v34
	s_or_b64 s[58:59], s[26:27], s[58:59]
	s_waitcnt vmcnt(0)
	v_mul_f16_e32 v24, v26, v36
	v_mul_f16_sdwa v26, v26, v36 dst_sel:WORD_1 dst_unused:UNUSED_PAD src0_sel:WORD_1 src1_sel:WORD_1
	v_mul_f16_e32 v31, v27, v37
	v_mul_f16_sdwa v27, v27, v37 dst_sel:WORD_1 dst_unused:UNUSED_PAD src0_sel:WORD_1 src1_sel:WORD_1
	;; [unrolled: 2-line block ×4, first 2 shown]
	v_or_b32_e32 v27, v27, v31
	v_or_b32_e32 v26, v26, v24
	;; [unrolled: 1-line block ×4, first 2 shown]
	global_store_dwordx4 v[14:15], v[26:29], off nt
	v_lshl_add_u64 v[14:15], v[14:15], 0, v[40:41]
	s_andn2_b64 exec, exec, s[58:59]
	s_cbranch_execnz .LBB8_656
; %bb.657:                              ;   in Loop: Header=BB8_47 Depth=1
	s_or_b64 exec, exec, s[58:59]
	v_accvgpr_read_b32 v37, a29
	v_accvgpr_read_b32 v28, a34
	;; [unrolled: 1-line block ×7, first 2 shown]
.LBB8_658:                              ;   in Loop: Header=BB8_47 Depth=1
	s_or_b64 exec, exec, s[30:31]
	v_and_b32_e32 v9, 14, v17
	v_cndmask_b32_e32 v17, v25, v9, vcc
	v_cmp_ne_u32_e64 s[26:27], 0, v17
	s_mov_b64 s[30:31], 0
	v_mov_b32_e32 v24, 0
                                        ; implicit-def: $vgpr1
                                        ; implicit-def: $vgpr8
	s_and_saveexec_b64 s[58:59], s[26:27]
	s_cbranch_execz .LBB8_660
; %bb.659:                              ;   in Loop: Header=BB8_47 Depth=1
	v_sub_u32_e32 v8, v25, v9
	v_cndmask_b32_e32 v8, 0, v8, vcc
	v_cmp_lt_i32_e32 vcc, 0, v19
	v_add3_u32 v24, v18, v2, v8
	s_mov_b64 s[30:31], exec
	v_cndmask_b32_e32 v2, 0, v34, vcc
	v_sub_u32_e32 v2, v2, v19
	v_lshl_add_u32 v1, v2, 6, v4
	v_ashrrev_i32_e32 v2, 31, v1
	v_lshrrev_b32_e32 v2, 26, v2
	v_add_u32_e32 v2, v1, v2
	v_ashrrev_i32_e32 v8, 6, v2
.LBB8_660:                              ;   in Loop: Header=BB8_47 Depth=1
	s_or_b64 exec, exec, s[58:59]
	s_and_b64 s[26:27], s[30:31], exec
.LBB8_661:                              ;   in Loop: Header=BB8_47 Depth=1
	s_or_b64 exec, exec, s[28:29]
	s_and_saveexec_b64 s[28:29], s[26:27]
	s_cbranch_execz .LBB8_670
.LBB8_662:                              ;   in Loop: Header=BB8_47 Depth=1
	v_ashrrev_i32_e32 v2, 31, v17
	v_lshrrev_b32_e32 v2, 22, v2
	v_add_u32_e32 v2, v17, v2
	v_ashrrev_i32_e32 v0, 10, v2
	v_sub_u32_e32 v2, v0, v8
	v_cmp_lt_i32_e32 vcc, 0, v2
	s_and_saveexec_b64 s[30:31], vcc
	s_cbranch_execz .LBB8_666
; %bb.663:                              ;   in Loop: Header=BB8_47 Depth=1
	v_ashrrev_i32_e32 v4, 31, v1
	v_lshrrev_b32_e32 v4, 26, v4
	s_trap 2
	v_add_u32_e32 v4, v1, v4
	ds_read_b128 v[26:29], v0
	ds_read_b64 v[14:15], v0
	v_and_b32_e32 v4, 0x7fffffc0, v4
	v_sub_u32_e32 v4, v1, v4
	v_lshlrev_b32_e32 v4, 1, v4
	v_lshlrev_b32_e32 v8, 10, v8
	v_add3_u32 v18, v4, v24, v8
	v_ashrrev_i32_e32 v19, 31, v18
	s_waitcnt lgkmcnt(0)
	v_lshl_add_u64 v[14:15], v[14:15], 0, s[52:53]
	v_accvgpr_write_b32 a25, v0
	v_accvgpr_write_b32 a3, v17
	;; [unrolled: 1-line block ×4, first 2 shown]
	v_lshl_add_u64 v[8:9], v[26:27], 0, v[18:19]
	v_lshl_add_u64 v[10:11], v[28:29], 0, v[18:19]
	;; [unrolled: 1-line block ×3, first 2 shown]
	s_mov_b64 s[58:59], 0
.LBB8_664:                              ;   Parent Loop BB8_47 Depth=1
                                        ; =>  This Inner Loop Header: Depth=2
	flat_load_ushort v4, v[8:9] nt
	flat_load_ushort v24, v[8:9] offset:128 nt
	flat_load_ushort v46, v[8:9] offset:256 nt
	;; [unrolled: 1-line block ×7, first 2 shown]
	flat_load_ushort v17, v[10:11] nt
	flat_load_ushort v45, v[10:11] offset:128 nt
	flat_load_ushort v31, v[10:11] offset:256 nt
	flat_load_ushort v44, v[10:11] offset:384 nt
	flat_load_ushort v6, v[10:11] offset:512 nt
	flat_load_ushort v7, v[10:11] offset:640 nt
	flat_load_ushort v60, v[10:11] offset:768 nt
	flat_load_ushort v61, v[10:11] offset:896 nt
	v_add_co_u32_e32 v14, vcc, s84, v18
	v_sub_u32_e32 v2, v2, v34
	s_nop 0
	v_addc_co_u32_e32 v15, vcc, -1, v19, vcc
	v_add_co_u32_e32 v26, vcc, s85, v18
	v_cmp_gt_i32_e64 s[26:27], 1, v2
	s_nop 0
	v_addc_co_u32_e32 v27, vcc, -1, v19, vcc
	v_add_co_u32_e32 v28, vcc, s86, v18
	v_lshl_add_u64 v[8:9], v[8:9], 0, v[40:41]
	s_nop 0
	v_addc_co_u32_e32 v29, vcc, -1, v19, vcc
	v_add_co_u32_e32 v36, vcc, 0xfffffe00, v18
	v_lshl_add_u64 v[10:11], v[10:11], 0, v[40:41]
	s_nop 0
	v_addc_co_u32_e32 v37, vcc, -1, v19, vcc
	v_add_co_u32_e32 v38, vcc, 0xfffffe80, v18
	s_or_b64 s[58:59], s[26:27], s[58:59]
	s_nop 0
	v_addc_co_u32_e32 v39, vcc, -1, v19, vcc
	v_add_co_u32_e32 v48, vcc, 0xffffff00, v18
	s_waitcnt vmcnt(0) lgkmcnt(0)
	v_mul_f16_e32 v4, v4, v17
	v_addc_co_u32_e32 v49, vcc, -1, v19, vcc
	v_add_co_u32_e32 v50, vcc, 0xffffff80, v18
	v_mul_f16_e32 v17, v24, v45
	s_nop 0
	v_addc_co_u32_e32 v51, vcc, -1, v19, vcc
	v_mul_f16_e32 v24, v46, v31
	v_mul_f16_e32 v31, v47, v44
	;; [unrolled: 1-line block ×6, first 2 shown]
	flat_store_short v[14:15], v4 nt
	flat_store_short v[26:27], v17 nt
	;; [unrolled: 1-line block ×8, first 2 shown]
	v_lshl_add_u64 v[18:19], v[18:19], 0, v[40:41]
	s_andn2_b64 exec, exec, s[58:59]
	s_cbranch_execnz .LBB8_664
; %bb.665:                              ;   in Loop: Header=BB8_47 Depth=1
	s_or_b64 exec, exec, s[58:59]
	v_accvgpr_mov_b32 a39, a7
	v_accvgpr_read_b32 v45, a13
	v_accvgpr_read_b32 v61, a17
	;; [unrolled: 1-line block ×8, first 2 shown]
	v_accvgpr_mov_b32 a38, a6
	v_accvgpr_read_b32 v44, a12
	v_accvgpr_read_b32 v60, a16
	;; [unrolled: 1-line block ×14, first 2 shown]
.LBB8_666:                              ;   in Loop: Header=BB8_47 Depth=1
	s_or_b64 exec, exec, s[30:31]
	v_lshlrev_b32_e32 v4, 10, v0
	v_cmp_ne_u32_e32 vcc, v17, v4
	s_and_b64 exec, exec, vcc
	s_cbranch_execz .LBB8_670
; %bb.667:                              ;   in Loop: Header=BB8_47 Depth=1
	v_ashrrev_i32_e32 v0, 31, v1
	v_lshrrev_b32_e32 v0, 26, v0
	v_add_u32_e32 v0, v1, v0
	v_and_b32_e32 v0, 0xffffffc0, v0
	v_sub_u32_e32 v0, v1, v0
	v_lshlrev_b32_e32 v1, 6, v2
	v_sub_u32_e32 v0, v0, v1
	v_ashrrev_i32_e32 v1, 31, v0
	v_lshrrev_b32_e32 v1, 26, v1
	v_add_u32_e32 v1, v0, v1
	v_and_b32_e32 v2, 0x7fffffc0, v1
	v_sub_u32_e32 v0, v0, v2
	v_lshlrev_b32_e32 v1, 1, v1
	v_and_b32_e32 v1, 0xffffff80, v1
	v_lshlrev_b32_e32 v0, 1, v0
	v_add3_u32 v4, v1, v0, v4
	v_sub_u32_e32 v2, v17, v4
	v_cmp_lt_i32_e32 vcc, 1, v2
	s_and_b64 exec, exec, vcc
	s_cbranch_execz .LBB8_670
; %bb.668:                              ;   in Loop: Header=BB8_47 Depth=1
	s_trap 2
	ds_read_b128 v[8:11], v0
	ds_read_b64 v[14:15], v0
	v_add_u32_e32 v18, v4, v24
	v_ashrrev_i32_e32 v19, 31, v18
	s_mov_b64 s[26:27], 0
	s_waitcnt lgkmcnt(0)
	v_lshl_add_u64 v[8:9], v[8:9], 0, v[18:19]
	v_lshl_add_u64 v[10:11], v[10:11], 0, v[18:19]
	;; [unrolled: 1-line block ×3, first 2 shown]
.LBB8_669:                              ;   Parent Loop BB8_47 Depth=1
                                        ; =>  This Inner Loop Header: Depth=2
	flat_load_ushort v0, v[8:9] nt
	flat_load_ushort v1, v[10:11] nt
	v_sub_u32_e32 v2, v2, v59
	v_cmp_gt_i32_e32 vcc, 2, v2
	v_lshl_add_u64 v[8:9], v[8:9], 0, v[28:29]
	v_lshl_add_u64 v[10:11], v[10:11], 0, v[28:29]
	s_or_b64 s[26:27], vcc, s[26:27]
	s_waitcnt vmcnt(0) lgkmcnt(0)
	v_mul_f16_e32 v0, v0, v1
	flat_store_short v[14:15], v0 nt
	v_lshl_add_u64 v[14:15], v[14:15], 0, v[28:29]
	s_andn2_b64 exec, exec, s[26:27]
	s_cbranch_execnz .LBB8_669
.LBB8_670:                              ;   in Loop: Header=BB8_47 Depth=1
	s_or_b64 exec, exec, s[28:29]
.LBB8_671:                              ;   in Loop: Header=BB8_47 Depth=1
	v_cmp_lt_i32_e64 s[26:27], 0, v43
	s_and_saveexec_b64 s[28:29], s[6:7]
	s_cbranch_execz .LBB8_612
.LBB8_672:                              ;   in Loop: Header=BB8_47 Depth=1
	s_and_saveexec_b64 vcc, s[40:41]
	s_xor_b64 s[30:31], exec, vcc
	s_cbranch_execz .LBB8_699
; %bb.673:                              ;   in Loop: Header=BB8_47 Depth=1
	s_and_saveexec_b64 s[58:59], s[14:15]
	s_cbranch_execz .LBB8_698
; %bb.674:                              ;   in Loop: Header=BB8_47 Depth=1
	s_mov_b64 s[62:63], exec
	v_mbcnt_lo_u32_b32 v0, s62, 0
	v_mbcnt_hi_u32_b32 v0, s63, v0
	v_cmp_eq_u32_e32 vcc, 0, v0
	s_waitcnt lgkmcnt(0)
	s_and_saveexec_b64 s[60:61], vcc
	s_cbranch_execz .LBB8_676
; %bb.675:                              ;   in Loop: Header=BB8_47 Depth=1
	s_bcnt1_i32_b64 vcc_lo, s[62:63]
	v_mov_b32_e32 v2, vcc_lo
	ds_add_u64 v0, v[2:3]
	s_trap 2
.LBB8_676:                              ;   in Loop: Header=BB8_47 Depth=1
	s_or_b64 exec, exec, s[60:61]
	s_trap 2
	ds_read_b64 v[8:9], v0
	v_lshl_add_u64 v[12:13], v[12:13], 0, v[34:35]
	s_waitcnt lgkmcnt(0)
	v_cmp_lt_u64_e32 vcc, v[8:9], v[12:13]
	s_and_saveexec_b64 s[60:61], vcc
	s_cbranch_execz .LBB8_697
; %bb.677:                              ;   in Loop: Header=BB8_47 Depth=1
	s_mov_b32 s87, 0
	s_mov_b64 s[62:63], 0
                                        ; implicit-def: $sgpr64_sgpr65
                                        ; implicit-def: $sgpr66_sgpr67
	s_branch .LBB8_679
.LBB8_678:                              ;   in Loop: Header=BB8_679 Depth=2
	s_or_b64 exec, exec, s[70:71]
	s_and_b64 vcc, exec, vcc
	s_or_b64 s[62:63], vcc, s[62:63]
	s_andn2_b64 vcc, s[64:65], exec
	s_and_b64 s[64:65], s[66:67], exec
	s_or_b64 s[64:65], vcc, s[64:65]
	s_andn2_b64 exec, exec, s[62:63]
	s_cbranch_execz .LBB8_695
.LBB8_679:                              ;   Parent Loop BB8_47 Depth=1
                                        ; =>  This Inner Loop Header: Depth=2
	s_add_i32 s87, s87, 1
	s_cmpk_lg_i32 s87, 0x2710
	s_cselect_b64 s[68:69], -1, 0
	s_and_b64 vcc, exec, s[68:69]
                                        ; implicit-def: $sgpr70_sgpr71
	s_cbranch_vccnz .LBB8_681
; %bb.680:                              ;   in Loop: Header=BB8_679 Depth=2
	s_trap 2
	ds_read_b64 v[8:9], v0
	s_andn2_b64 s[68:69], s[68:69], exec
	s_mov_b32 s87, 0
	s_mov_b64 s[70:71], -1
	s_waitcnt vmcnt(0) lgkmcnt(0)
	flat_load_dword v0, v[8:9] sc0 sc1
	s_waitcnt vmcnt(0) lgkmcnt(0)
	buffer_inv sc0 sc1
	v_cmp_eq_u32_e32 vcc, 0, v0
	s_and_b64 vcc, vcc, exec
	s_or_b64 s[68:69], s[68:69], vcc
.LBB8_681:                              ;   in Loop: Header=BB8_679 Depth=2
	s_andn2_b64 s[66:67], s[66:67], exec
	s_and_b64 s[70:71], s[70:71], exec
	s_mov_b64 vcc, -1
	s_or_b64 s[66:67], s[66:67], s[70:71]
	s_and_saveexec_b64 s[70:71], s[68:69]
	s_cbranch_execz .LBB8_678
; %bb.682:                              ;   in Loop: Header=BB8_679 Depth=2
	s_sleep 1
	s_trap 2
	ds_read_b64 v[8:9], v0
	s_andn2_b64 s[66:67], s[66:67], exec
	s_waitcnt lgkmcnt(0)
	v_cmp_ge_u64_e32 vcc, v[8:9], v[12:13]
	s_orn2_b64 vcc, vcc, exec
	s_branch .LBB8_678
.LBB8_683:                              ;   in Loop: Header=BB8_47 Depth=1
	s_or_b64 exec, exec, s[58:59]
	s_and_saveexec_b64 vcc, s[60:61]
	s_xor_b64 vcc, exec, vcc
	s_cbranch_execz .LBB8_685
; %bb.684:                              ;   in Loop: Header=BB8_47 Depth=1
	ds_write_b32 v0, v42
	s_trap 2
.LBB8_685:                              ;   in Loop: Header=BB8_47 Depth=1
	s_or_b64 exec, exec, s[56:57]
	;;#ASMSTART
	s_wakeup
	;;#ASMEND
.LBB8_686:                              ;   in Loop: Header=BB8_47 Depth=1
	s_or_b64 exec, exec, s[54:55]
.LBB8_687:                              ;   in Loop: Header=BB8_47 Depth=1
	s_andn2_saveexec_b64 vcc, s[30:31]
	s_cbranch_execz .LBB8_689
; %bb.688:                              ;   in Loop: Header=BB8_47 Depth=1
	;;#ASMSTART
	s_waitcnt lgkmcnt(0) vmcnt(0)
	;;#ASMEND
	s_barrier
.LBB8_689:                              ;   in Loop: Header=BB8_47 Depth=1
	s_or_b64 exec, exec, vcc
	v_and_b32_e32 v1, 16, v62
.LBB8_690:                              ;   in Loop: Header=BB8_47 Depth=1
	s_or_b64 exec, exec, s[26:27]
	v_cmp_ne_u32_e32 vcc, 0, v1
	s_xor_b64 s[26:27], s[10:11], -1
	s_and_b64 vcc, vcc, s[26:27]
	s_and_saveexec_b64 s[26:27], vcc
	s_cbranch_execz .LBB8_692
; %bb.691:                              ;   in Loop: Header=BB8_47 Depth=1
	flat_store_dword v[50:51], v42 sc0 sc1
.LBB8_692:                              ;   in Loop: Header=BB8_47 Depth=1
	s_or_b64 exec, exec, s[26:27]
	v_and_b32_e32 v0, 48, v62
	v_cmp_ne_u32_e32 vcc, 0, v0
	s_and_saveexec_b64 s[26:27], vcc
	s_cbranch_execz .LBB8_694
; %bb.693:                              ;   in Loop: Header=BB8_47 Depth=1
	v_lshl_add_u64 v[20:21], v[20:21], 0, 4
	flat_store_dwordx2 v[22:23], v[20:21] sc0 sc1
.LBB8_694:                              ;   in Loop: Header=BB8_47 Depth=1
	s_or_b64 exec, exec, s[26:27]
	s_or_b64 exec, exec, s[28:29]
	s_and_b64 vcc, exec, s[24:25]
	s_cbranch_vccnz .LBB8_978
	s_branch .LBB8_727
.LBB8_695:                              ;   in Loop: Header=BB8_47 Depth=1
	s_or_b64 exec, exec, s[62:63]
	s_and_saveexec_b64 vcc, s[64:65]
	s_xor_b64 vcc, exec, vcc
	s_cbranch_execz .LBB8_697
; %bb.696:                              ;   in Loop: Header=BB8_47 Depth=1
	ds_write_b32 v0, v42
	s_trap 2
.LBB8_697:                              ;   in Loop: Header=BB8_47 Depth=1
	s_or_b64 exec, exec, s[60:61]
	;;#ASMSTART
	s_wakeup
	;;#ASMEND
.LBB8_698:                              ;   in Loop: Header=BB8_47 Depth=1
	s_or_b64 exec, exec, s[58:59]
.LBB8_699:                              ;   in Loop: Header=BB8_47 Depth=1
	s_andn2_saveexec_b64 vcc, s[30:31]
	s_cbranch_execz .LBB8_701
; %bb.700:                              ;   in Loop: Header=BB8_47 Depth=1
	s_waitcnt lgkmcnt(0)
	s_barrier
.LBB8_701:                              ;   in Loop: Header=BB8_47 Depth=1
	s_or_b64 exec, exec, vcc
	s_or_b64 exec, exec, s[28:29]
                                        ; implicit-def: $vgpr2
	s_and_saveexec_b64 s[28:29], s[22:23]
	s_xor_b64 s[28:29], exec, s[28:29]
	s_cbranch_execnz .LBB8_613
.LBB8_702:                              ;   in Loop: Header=BB8_47 Depth=1
	s_andn2_saveexec_b64 s[26:27], s[28:29]
	s_cbranch_execz .LBB8_721
.LBB8_703:                              ;   in Loop: Header=BB8_47 Depth=1
	s_and_saveexec_b64 s[28:29], s[40:41]
	s_xor_b64 s[28:29], exec, s[28:29]
	s_cbranch_execz .LBB8_718
; %bb.704:                              ;   in Loop: Header=BB8_47 Depth=1
	s_and_saveexec_b64 s[30:31], s[14:15]
	s_cbranch_execz .LBB8_717
; %bb.705:                              ;   in Loop: Header=BB8_47 Depth=1
	s_mov_b64 s[60:61], exec
	v_mbcnt_lo_u32_b32 v0, s60, 0
	v_mbcnt_hi_u32_b32 v0, s61, v0
	v_cmp_eq_u32_e32 vcc, 0, v0
	;;#ASMSTART
	s_waitcnt lgkmcnt(0) vmcnt(0)
	;;#ASMEND
	s_and_saveexec_b64 s[58:59], vcc
	s_cbranch_execz .LBB8_707
; %bb.706:                              ;   in Loop: Header=BB8_47 Depth=1
	s_bcnt1_i32_b64 vcc_lo, s[60:61]
	v_mov_b32_e32 v2, vcc_lo
	ds_add_u64 v0, v[2:3]
	s_trap 2
.LBB8_707:                              ;   in Loop: Header=BB8_47 Depth=1
	s_or_b64 exec, exec, s[58:59]
	s_trap 2
	ds_read_b64 v[8:9], v0
	v_lshl_add_u64 v[12:13], v[12:13], 0, v[34:35]
	s_waitcnt lgkmcnt(0)
	v_cmp_lt_u64_e32 vcc, v[8:9], v[12:13]
	s_and_saveexec_b64 s[58:59], vcc
	s_cbranch_execz .LBB8_716
; %bb.708:                              ;   in Loop: Header=BB8_47 Depth=1
	s_mov_b32 s70, 0
	s_mov_b64 s[60:61], 0
                                        ; implicit-def: $sgpr62_sgpr63
                                        ; implicit-def: $sgpr64_sgpr65
	s_branch .LBB8_710
.LBB8_709:                              ;   in Loop: Header=BB8_710 Depth=2
	s_or_b64 exec, exec, s[68:69]
	s_and_b64 vcc, exec, vcc
	s_or_b64 s[60:61], vcc, s[60:61]
	s_andn2_b64 vcc, s[62:63], exec
	s_and_b64 s[62:63], s[64:65], exec
	s_or_b64 s[62:63], vcc, s[62:63]
	s_andn2_b64 exec, exec, s[60:61]
	s_cbranch_execz .LBB8_714
.LBB8_710:                              ;   Parent Loop BB8_47 Depth=1
                                        ; =>  This Inner Loop Header: Depth=2
	s_add_i32 s70, s70, 1
	s_cmpk_lg_i32 s70, 0x2710
	s_cselect_b64 s[66:67], -1, 0
	s_and_b64 vcc, exec, s[66:67]
                                        ; implicit-def: $sgpr68_sgpr69
	s_cbranch_vccnz .LBB8_712
; %bb.711:                              ;   in Loop: Header=BB8_710 Depth=2
	s_trap 2
	ds_read_b64 v[8:9], v0
	s_andn2_b64 s[66:67], s[66:67], exec
	s_mov_b32 s70, 0
	s_mov_b64 s[68:69], -1
	s_waitcnt vmcnt(0) lgkmcnt(0)
	flat_load_dword v0, v[8:9] sc0 sc1
	s_waitcnt vmcnt(0) lgkmcnt(0)
	buffer_inv sc0 sc1
	v_cmp_eq_u32_e32 vcc, 0, v0
	s_and_b64 vcc, vcc, exec
	s_or_b64 s[66:67], s[66:67], vcc
.LBB8_712:                              ;   in Loop: Header=BB8_710 Depth=2
	s_andn2_b64 s[64:65], s[64:65], exec
	s_and_b64 s[68:69], s[68:69], exec
	s_mov_b64 vcc, -1
	s_or_b64 s[64:65], s[64:65], s[68:69]
	s_and_saveexec_b64 s[68:69], s[66:67]
	s_cbranch_execz .LBB8_709
; %bb.713:                              ;   in Loop: Header=BB8_710 Depth=2
	s_sleep 1
	s_trap 2
	ds_read_b64 v[8:9], v0
	s_andn2_b64 s[64:65], s[64:65], exec
	s_waitcnt lgkmcnt(0)
	v_cmp_ge_u64_e32 vcc, v[8:9], v[12:13]
	s_orn2_b64 vcc, vcc, exec
	s_branch .LBB8_709
.LBB8_714:                              ;   in Loop: Header=BB8_47 Depth=1
	s_or_b64 exec, exec, s[60:61]
	s_and_saveexec_b64 vcc, s[62:63]
	s_xor_b64 vcc, exec, vcc
	s_cbranch_execz .LBB8_716
; %bb.715:                              ;   in Loop: Header=BB8_47 Depth=1
	ds_write_b32 v0, v42
	s_trap 2
.LBB8_716:                              ;   in Loop: Header=BB8_47 Depth=1
	s_or_b64 exec, exec, s[58:59]
	;;#ASMSTART
	s_wakeup
	;;#ASMEND
.LBB8_717:                              ;   in Loop: Header=BB8_47 Depth=1
	s_or_b64 exec, exec, s[30:31]
.LBB8_718:                              ;   in Loop: Header=BB8_47 Depth=1
	s_andn2_saveexec_b64 s[28:29], s[28:29]
	s_cbranch_execz .LBB8_720
; %bb.719:                              ;   in Loop: Header=BB8_47 Depth=1
	;;#ASMSTART
	s_waitcnt lgkmcnt(0) vmcnt(0)
	;;#ASMEND
	s_barrier
.LBB8_720:                              ;   in Loop: Header=BB8_47 Depth=1
	s_or_b64 exec, exec, s[28:29]
	v_and_b32_e32 v2, 16, v62
.LBB8_721:                              ;   in Loop: Header=BB8_47 Depth=1
	s_or_b64 exec, exec, s[26:27]
	v_cmp_ne_u32_e32 vcc, 0, v2
	s_xor_b64 s[26:27], s[10:11], -1
	s_and_b64 s[28:29], vcc, s[26:27]
	s_and_saveexec_b64 s[26:27], s[28:29]
	s_cbranch_execz .LBB8_723
; %bb.722:                              ;   in Loop: Header=BB8_47 Depth=1
	flat_store_dword v[50:51], v42 sc0 sc1
.LBB8_723:                              ;   in Loop: Header=BB8_47 Depth=1
	s_or_b64 exec, exec, s[26:27]
	v_and_b32_e32 v0, 48, v62
	v_cmp_ne_u32_e32 vcc, 0, v0
	s_and_saveexec_b64 s[26:27], vcc
	s_cbranch_execz .LBB8_725
; %bb.724:                              ;   in Loop: Header=BB8_47 Depth=1
	v_lshl_add_u64 v[20:21], v[20:21], 0, 4
	flat_store_dwordx2 v[22:23], v[20:21] sc0 sc1
.LBB8_725:                              ;   in Loop: Header=BB8_47 Depth=1
	s_or_b64 exec, exec, s[26:27]
	v_mov_b32_e32 v10, v16
	s_or_b64 exec, exec, s[56:57]
	s_and_saveexec_b64 s[28:29], s[54:55]
	s_cbranch_execnz .LBB8_485
.LBB8_726:                              ;   in Loop: Header=BB8_47 Depth=1
	s_or_b64 exec, exec, s[28:29]
	s_and_b64 vcc, exec, s[24:25]
	s_cbranch_vccnz .LBB8_978
.LBB8_727:                              ;   in Loop: Header=BB8_47 Depth=1
	s_mov_b32 s70, 1
.LBB8_728:                              ;   Parent Loop BB8_47 Depth=1
                                        ; =>  This Loop Header: Depth=2
                                        ;       Child Loop BB8_741 Depth 3
                                        ;       Child Loop BB8_774 Depth 3
	;; [unrolled: 1-line block ×9, first 2 shown]
                                        ;         Child Loop BB8_875 Depth 4
                                        ;       Child Loop BB8_884 Depth 3
                                        ;       Child Loop BB8_889 Depth 3
                                        ;         Child Loop BB8_890 Depth 4
                                        ;       Child Loop BB8_929 Depth 3
                                        ;       Child Loop BB8_960 Depth 3
	;; [unrolled: 1-line block ×5, first 2 shown]
	s_sub_i32 s24, s76, s70
	s_cmp_le_i32 s72, s24
	s_cselect_b32 s25, s72, 0
	s_sub_i32 s24, s24, s25
	s_ashr_i32 s25, s24, 31
	v_mul_lo_u32 v0, v56, s25
	v_mul_lo_u32 v1, v57, s24
	v_mad_u64_u32 v[8:9], s[24:25], v56, s24, 0
	v_add3_u32 v9, v9, v0, v1
	v_sub_co_u32_e32 v10, vcc, v26, v8
	s_nop 1
	v_subb_co_u32_e32 v11, vcc, v27, v9, vcc
	v_cmp_lt_i64_e32 vcc, v[56:57], v[10:11]
	s_nop 1
	v_cndmask_b32_e32 v0, v10, v56, vcc
	v_max_i32_e32 v1, 0, v0
	v_add_u32_e32 v2, 15, v1
	v_ashrrev_i32_e32 v4, 31, v2
	v_lshrrev_b32_e32 v4, 28, v4
	v_add_u32_e32 v2, v2, v4
	v_cmp_gt_i32_e32 vcc, 1, v0
	v_and_b32_e32 v2, -16, v2
	s_or_b64 s[30:31], s[2:3], vcc
	v_max_i32_e32 v16, s79, v2
	s_xor_b64 s[24:25], s[30:31], -1
	v_mov_b32_e32 v10, 0
	s_and_saveexec_b64 s[54:55], s[24:25]
	s_cbranch_execz .LBB8_734
; %bb.729:                              ;   in Loop: Header=BB8_728 Depth=2
	s_and_saveexec_b64 s[24:25], s[0:1]
	s_cbranch_execz .LBB8_731
; %bb.730:                              ;   in Loop: Header=BB8_728 Depth=2
	s_trap 2
	ds_read_b128 v[24:27], v0
	v_accvgpr_read_b32 v4, a44
	v_accvgpr_read_b32 v5, a45
	v_lshl_add_u64 v[8:9], v[8:9], 0, v[4:5]
	v_lshlrev_b64 v[8:9], 1, v[8:9]
	s_waitcnt lgkmcnt(0)
	v_lshl_add_u64 v[10:11], v[24:25], 0, v[8:9]
	v_lshl_add_u64 v[8:9], v[26:27], 0, v[8:9]
	v_cmp_ne_u64_e32 vcc, 0, v[26:27]
	v_accvgpr_read_b32 v26, a42
	v_accvgpr_read_b32 v27, a43
	v_cndmask_b32_e32 v9, 0, v9, vcc
	v_cndmask_b32_e32 v8, 0, v8, vcc
	ds_write_b64 v0, v[10:11]
	ds_write_b64 v0, v[8:9]
.LBB8_731:                              ;   in Loop: Header=BB8_728 Depth=2
	s_or_b64 exec, exec, s[24:25]
	v_and_b32_e32 v0, 12, v62
	v_cmp_ne_u32_e32 vcc, 0, v0
	s_mov_b64 s[26:27], -1
	s_and_saveexec_b64 s[24:25], vcc
	s_cbranch_execz .LBB8_754
; %bb.732:                              ;   in Loop: Header=BB8_728 Depth=2
	v_and_b32_e32 v2, 8, v62
	v_lshl_add_u64 v[10:11], v[32:33], 0, v[2:3]
	v_lshl_add_u64 v[8:9], v[20:21], 0, 4
	v_cmp_lt_u64_e32 vcc, v[10:11], v[8:9]
	v_mov_b32_e32 v4, 1
	s_and_saveexec_b64 s[26:27], vcc
	s_cbranch_execz .LBB8_753
; %bb.733:                              ;   in Loop: Header=BB8_728 Depth=2
	s_mov_b64 s[28:29], 0
	v_mov_b32_e32 v4, 0
                                        ; implicit-def: $sgpr56_sgpr57
	s_branch .LBB8_741
.LBB8_734:                              ;   in Loop: Header=BB8_728 Depth=2
	s_or_b64 exec, exec, s[54:55]
	s_and_saveexec_b64 s[26:27], s[30:31]
	s_cbranch_execz .LBB8_976
.LBB8_735:                              ;   in Loop: Header=BB8_728 Depth=2
	v_and_b32_e32 v0, 12, v62
	v_cmp_ne_u32_e32 vcc, 0, v0
	s_mov_b64 s[28:29], -1
	s_and_saveexec_b64 s[24:25], vcc
	s_cbranch_execz .LBB8_780
; %bb.736:                              ;   in Loop: Header=BB8_728 Depth=2
	v_and_b32_e32 v2, 8, v62
	v_lshl_add_u64 v[14:15], v[32:33], 0, v[2:3]
	v_lshl_add_u64 v[8:9], v[20:21], 0, 4
	v_cmp_lt_u64_e32 vcc, v[14:15], v[8:9]
	v_mov_b32_e32 v4, 1
	s_and_saveexec_b64 s[28:29], vcc
	s_cbranch_execz .LBB8_779
; %bb.737:                              ;   in Loop: Header=BB8_728 Depth=2
	s_mov_b64 s[30:31], 0
	v_mov_b32_e32 v4, 0
                                        ; implicit-def: $sgpr54_sgpr55
	s_branch .LBB8_748
.LBB8_738:                              ;   in Loop: Header=BB8_741 Depth=3
	s_or_b64 exec, exec, s[64:65]
	v_mov_b32_e32 v10, 0
	s_orn2_b64 s[62:63], s[62:63], exec
.LBB8_739:                              ;   in Loop: Header=BB8_741 Depth=3
	s_or_b64 exec, exec, s[60:61]
	s_andn2_b64 vcc, s[56:57], exec
	s_and_b64 s[56:57], s[62:63], exec
	s_or_b64 s[56:57], vcc, s[56:57]
	v_mov_b32_e32 v4, v10
.LBB8_740:                              ;   in Loop: Header=BB8_741 Depth=3
	s_or_b64 exec, exec, s[58:59]
	s_waitcnt vmcnt(0) lgkmcnt(0)
	v_lshl_add_u64 v[10:11], v[32:33], 0, v[2:3]
	v_cmp_ge_u64_e32 vcc, v[10:11], v[8:9]
	s_xor_b64 s[58:59], s[56:57], -1
	s_or_b64 vcc, s[58:59], vcc
	s_and_b64 vcc, exec, vcc
	s_or_b64 s[28:29], vcc, s[28:29]
	s_andn2_b64 exec, exec, s[28:29]
	s_cbranch_execz .LBB8_752
.LBB8_741:                              ;   Parent Loop BB8_47 Depth=1
                                        ;     Parent Loop BB8_728 Depth=2
                                        ; =>    This Inner Loop Header: Depth=3
	s_sleep 1
	flat_load_dwordx2 v[32:33], v[22:23] sc0 sc1
	v_and_b32_e32 v0, 64, v62
	v_cmp_eq_u32_e32 vcc, 0, v0
	s_andn2_b64 s[56:57], s[56:57], exec
	s_and_saveexec_b64 s[58:59], vcc
	s_cbranch_execz .LBB8_740
; %bb.742:                              ;   in Loop: Header=BB8_741 Depth=3
	v_add_u32_e32 v10, 1, v4
	v_cmp_lt_i32_e32 vcc, s75, v4
	s_mov_b64 s[62:63], -1
	s_and_saveexec_b64 s[60:61], vcc
	s_cbranch_execz .LBB8_739
; %bb.743:                              ;   in Loop: Header=BB8_741 Depth=3
	s_trap 2
	ds_read_b64 v[10:11], v0
	s_waitcnt vmcnt(0) lgkmcnt(0)
	flat_load_dword v4, v[10:11] sc0 sc1
	s_waitcnt vmcnt(0) lgkmcnt(0)
	buffer_inv sc0 sc1
	v_cmp_ne_u32_e32 vcc, 0, v4
	s_and_saveexec_b64 s[64:65], vcc
	s_cbranch_execz .LBB8_738
; %bb.744:                              ;   in Loop: Header=BB8_741 Depth=3
	v_or_b32_e32 v62, 64, v62
	s_xor_b64 s[62:63], exec, -1
	ds_write_b32 v0, v4
	s_trap 2
	s_branch .LBB8_738
.LBB8_745:                              ;   in Loop: Header=BB8_748 Depth=3
	s_or_b64 exec, exec, s[62:63]
	v_mov_b32_e32 v11, 0
	s_orn2_b64 s[60:61], s[60:61], exec
.LBB8_746:                              ;   in Loop: Header=BB8_748 Depth=3
	s_or_b64 exec, exec, s[58:59]
	s_andn2_b64 vcc, s[54:55], exec
	s_and_b64 s[54:55], s[60:61], exec
	s_or_b64 s[54:55], vcc, s[54:55]
	v_mov_b32_e32 v4, v11
.LBB8_747:                              ;   in Loop: Header=BB8_748 Depth=3
	s_or_b64 exec, exec, s[56:57]
	s_waitcnt vmcnt(0) lgkmcnt(0)
	v_lshl_add_u64 v[14:15], v[32:33], 0, v[2:3]
	v_cmp_ge_u64_e32 vcc, v[14:15], v[8:9]
	s_xor_b64 s[56:57], s[54:55], -1
	s_or_b64 vcc, s[56:57], vcc
	s_and_b64 vcc, exec, vcc
	s_or_b64 s[30:31], vcc, s[30:31]
	s_andn2_b64 exec, exec, s[30:31]
	s_cbranch_execz .LBB8_778
.LBB8_748:                              ;   Parent Loop BB8_47 Depth=1
                                        ;     Parent Loop BB8_728 Depth=2
                                        ; =>    This Inner Loop Header: Depth=3
	s_sleep 1
	flat_load_dwordx2 v[32:33], v[22:23] sc0 sc1
	v_and_b32_e32 v0, 64, v62
	v_cmp_eq_u32_e32 vcc, 0, v0
	s_andn2_b64 s[54:55], s[54:55], exec
	s_and_saveexec_b64 s[56:57], vcc
	s_cbranch_execz .LBB8_747
; %bb.749:                              ;   in Loop: Header=BB8_748 Depth=3
	v_add_u32_e32 v11, 1, v4
	v_cmp_lt_i32_e32 vcc, s75, v4
	s_mov_b64 s[60:61], -1
	s_and_saveexec_b64 s[58:59], vcc
	s_cbranch_execz .LBB8_746
; %bb.750:                              ;   in Loop: Header=BB8_748 Depth=3
	s_trap 2
	ds_read_b64 v[14:15], v0
	s_waitcnt vmcnt(0) lgkmcnt(0)
	flat_load_dword v4, v[14:15] sc0 sc1
	s_waitcnt vmcnt(0) lgkmcnt(0)
	buffer_inv sc0 sc1
	v_cmp_ne_u32_e32 vcc, 0, v4
	s_and_saveexec_b64 s[62:63], vcc
	s_cbranch_execz .LBB8_745
; %bb.751:                              ;   in Loop: Header=BB8_748 Depth=3
	v_or_b32_e32 v62, 64, v62
	s_xor_b64 s[60:61], exec, -1
	ds_write_b32 v0, v4
	s_trap 2
	s_branch .LBB8_745
.LBB8_752:                              ;   in Loop: Header=BB8_728 Depth=2
	s_or_b64 exec, exec, s[28:29]
	v_and_b32_e32 v4, 12, v62
.LBB8_753:                              ;   in Loop: Header=BB8_728 Depth=2
	s_or_b64 exec, exec, s[26:27]
	v_cmp_eq_u32_e32 vcc, 0, v4
	s_orn2_b64 s[26:27], vcc, exec
	;;#ASMSTART
	s_wakeup
	;;#ASMEND
.LBB8_754:                              ;   in Loop: Header=BB8_728 Depth=2
	s_or_b64 exec, exec, s[24:25]
	s_xor_b64 s[24:25], s[26:27], -1
	v_min_i32_e32 v16, v16, v1
	s_and_saveexec_b64 s[26:27], s[24:25]
	s_cbranch_execz .LBB8_766
; %bb.755:                              ;   in Loop: Header=BB8_728 Depth=2
	v_and_b32_e32 v0, 0x108, v62
	v_cmp_ne_u32_e32 vcc, s83, v0
	v_and_b32_e32 v2, 7, v20
	s_and_saveexec_b64 s[24:25], vcc
	s_xor_b64 s[24:25], exec, s[24:25]
	s_andn2_saveexec_b64 s[24:25], s[24:25]
	s_cbranch_execz .LBB8_757
; %bb.756:                              ;   in Loop: Header=BB8_728 Depth=2
	v_ashrrev_i32_e32 v17, 31, v16
	v_mad_u64_u32 v[8:9], s[28:29], v2, 24, v[44:45]
	v_lshlrev_b64 v[10:11], 1, v[16:17]
	flat_store_dwordx2 v[8:9], v[10:11] offset:8
.LBB8_757:                              ;   in Loop: Header=BB8_728 Depth=2
	s_or_b64 exec, exec, s[24:25]
	v_and_b32_e32 v0, 0x100, v62
	v_cmp_ne_u32_e32 vcc, 0, v0
	s_mov_b64 s[24:25], -1
                                        ; implicit-def: $vgpr8_vgpr9
	s_and_saveexec_b64 s[28:29], vcc
	s_cbranch_execz .LBB8_761
; %bb.758:                              ;   in Loop: Header=BB8_728 Depth=2
	v_mad_u64_u32 v[10:11], s[24:25], v2, 24, v[44:45]
	v_mov_b32_e32 v4, v11
	v_mad_u64_u32 v[8:9], s[24:25], v3, 24, v[4:5]
	v_mov_b32_e32 v11, v8
	flat_load_dword v0, v[10:11]
                                        ; implicit-def: $vgpr8_vgpr9
	s_waitcnt vmcnt(0) lgkmcnt(0)
	v_cmp_ne_u32_e32 vcc, 1, v0
	v_cmp_eq_u32_e64 s[24:25], 1, v0
	s_and_saveexec_b64 s[56:57], s[24:25]
	s_cbranch_execz .LBB8_760
; %bb.759:                              ;   in Loop: Header=BB8_728 Depth=2
	flat_load_dword v8, v[10:11] offset:4 sc0 sc1
	s_waitcnt vmcnt(0) lgkmcnt(0)
	v_ashrrev_i32_e32 v9, 31, v8
	v_lshrrev_b64 v[8:9], 1, v[8:9]
.LBB8_760:                              ;   in Loop: Header=BB8_728 Depth=2
	s_or_b64 exec, exec, s[56:57]
	s_orn2_b64 s[24:25], vcc, exec
.LBB8_761:                              ;   in Loop: Header=BB8_728 Depth=2
	s_or_b64 exec, exec, s[28:29]
	s_and_saveexec_b64 s[28:29], s[24:25]
; %bb.762:                              ;   in Loop: Header=BB8_728 Depth=2
	v_mul_lo_u32 v0, v3, v58
	v_mul_lo_u32 v4, v2, v39
	v_mad_u64_u32 v[8:9], s[24:25], v2, v58, 0
	v_add3_u32 v9, v9, v4, v0
; %bb.763:                              ;   in Loop: Header=BB8_728 Depth=2
	s_or_b64 exec, exec, s[28:29]
	v_lshl_add_u64 v[8:9], v[8:9], 1, v[60:61]
	s_trap 2
	ds_write_b64 v0, v[8:9]
	v_and_b32_e32 v0, 0x2000, v62
	v_cmp_ne_u32_e32 vcc, 0, v0
	s_and_saveexec_b64 s[24:25], vcc
	s_cbranch_execz .LBB8_765
; %bb.764:                              ;   in Loop: Header=BB8_728 Depth=2
	ds_read_b64 v[8:9], v0 offset:584
	s_waitcnt lgkmcnt(0)
	v_lshl_add_u64 v[8:9], v[8:9], 0, 1
	ds_write_b64 v0, v[8:9] offset:584
.LBB8_765:                              ;   in Loop: Header=BB8_728 Depth=2
	s_or_b64 exec, exec, s[24:25]
	v_lshl_add_u64 v[20:21], v[20:21], 0, 4
.LBB8_766:                              ;   in Loop: Header=BB8_728 Depth=2
	s_or_b64 exec, exec, s[26:27]
	s_and_saveexec_b64 s[24:25], s[6:7]
	s_cbranch_execz .LBB8_815
; %bb.767:                              ;   in Loop: Header=BB8_728 Depth=2
	s_and_saveexec_b64 s[26:27], s[40:41]
	s_xor_b64 s[26:27], exec, s[26:27]
	s_cbranch_execz .LBB8_812
; %bb.768:                              ;   in Loop: Header=BB8_728 Depth=2
	s_and_saveexec_b64 s[28:29], s[14:15]
	s_cbranch_execz .LBB8_811
; %bb.769:                              ;   in Loop: Header=BB8_728 Depth=2
	s_mov_b64 s[58:59], exec
	v_mbcnt_lo_u32_b32 v0, s58, 0
	v_mbcnt_hi_u32_b32 v0, s59, v0
	v_cmp_eq_u32_e32 vcc, 0, v0
	s_waitcnt lgkmcnt(0)
	s_and_saveexec_b64 s[56:57], vcc
	s_cbranch_execz .LBB8_771
; %bb.770:                              ;   in Loop: Header=BB8_728 Depth=2
	s_bcnt1_i32_b64 vcc_lo, s[58:59]
	v_mov_b32_e32 v2, vcc_lo
	ds_add_u64 v0, v[2:3]
	s_trap 2
.LBB8_771:                              ;   in Loop: Header=BB8_728 Depth=2
	s_or_b64 exec, exec, s[56:57]
	s_trap 2
	ds_read_b64 v[8:9], v0
	v_lshl_add_u64 v[12:13], v[12:13], 0, v[34:35]
	s_waitcnt lgkmcnt(0)
	v_cmp_lt_u64_e32 vcc, v[8:9], v[12:13]
	s_and_saveexec_b64 s[56:57], vcc
	s_cbranch_execz .LBB8_810
; %bb.772:                              ;   in Loop: Header=BB8_728 Depth=2
	s_mov_b32 s68, 0
	s_mov_b64 s[58:59], 0
                                        ; implicit-def: $sgpr60_sgpr61
                                        ; implicit-def: $sgpr62_sgpr63
	s_branch .LBB8_774
.LBB8_773:                              ;   in Loop: Header=BB8_774 Depth=3
	s_or_b64 exec, exec, s[66:67]
	s_and_b64 vcc, exec, vcc
	s_or_b64 s[58:59], vcc, s[58:59]
	s_andn2_b64 vcc, s[60:61], exec
	s_and_b64 s[60:61], s[62:63], exec
	s_or_b64 s[60:61], vcc, s[60:61]
	s_andn2_b64 exec, exec, s[58:59]
	s_cbranch_execz .LBB8_808
.LBB8_774:                              ;   Parent Loop BB8_47 Depth=1
                                        ;     Parent Loop BB8_728 Depth=2
                                        ; =>    This Inner Loop Header: Depth=3
	s_add_i32 s68, s68, 1
	s_cmpk_lg_i32 s68, 0x2710
	s_cselect_b64 s[64:65], -1, 0
	s_and_b64 vcc, exec, s[64:65]
                                        ; implicit-def: $sgpr66_sgpr67
	s_cbranch_vccnz .LBB8_776
; %bb.775:                              ;   in Loop: Header=BB8_774 Depth=3
	s_trap 2
	ds_read_b64 v[8:9], v0
	s_andn2_b64 s[64:65], s[64:65], exec
	s_mov_b32 s68, 0
	s_mov_b64 s[66:67], -1
	s_waitcnt vmcnt(0) lgkmcnt(0)
	flat_load_dword v0, v[8:9] sc0 sc1
	s_waitcnt vmcnt(0) lgkmcnt(0)
	buffer_inv sc0 sc1
	v_cmp_eq_u32_e32 vcc, 0, v0
	s_and_b64 vcc, vcc, exec
	s_or_b64 s[64:65], s[64:65], vcc
.LBB8_776:                              ;   in Loop: Header=BB8_774 Depth=3
	s_andn2_b64 s[62:63], s[62:63], exec
	s_and_b64 s[66:67], s[66:67], exec
	s_mov_b64 vcc, -1
	s_or_b64 s[62:63], s[62:63], s[66:67]
	s_and_saveexec_b64 s[66:67], s[64:65]
	s_cbranch_execz .LBB8_773
; %bb.777:                              ;   in Loop: Header=BB8_774 Depth=3
	s_sleep 1
	s_trap 2
	ds_read_b64 v[8:9], v0
	s_andn2_b64 s[62:63], s[62:63], exec
	s_waitcnt lgkmcnt(0)
	v_cmp_ge_u64_e32 vcc, v[8:9], v[12:13]
	s_orn2_b64 vcc, vcc, exec
	s_branch .LBB8_773
.LBB8_778:                              ;   in Loop: Header=BB8_728 Depth=2
	s_or_b64 exec, exec, s[30:31]
	v_and_b32_e32 v4, 12, v62
.LBB8_779:                              ;   in Loop: Header=BB8_728 Depth=2
	s_or_b64 exec, exec, s[28:29]
	v_cmp_eq_u32_e32 vcc, 0, v4
	s_orn2_b64 s[28:29], vcc, exec
	;;#ASMSTART
	s_wakeup
	;;#ASMEND
.LBB8_780:                              ;   in Loop: Header=BB8_728 Depth=2
	s_or_b64 exec, exec, s[24:25]
	v_sub_u32_e32 v0, v1, v10
	s_xor_b64 s[24:25], s[28:29], -1
	v_min_i32_e32 v8, v16, v0
	s_and_saveexec_b64 s[28:29], s[24:25]
	s_cbranch_execz .LBB8_796
; %bb.781:                              ;   in Loop: Header=BB8_728 Depth=2
	v_and_b32_e32 v0, 0x108, v62
	v_cmp_ne_u32_e32 vcc, s83, v0
	v_and_b32_e32 v2, 7, v20
	s_and_saveexec_b64 s[24:25], vcc
	s_xor_b64 s[24:25], exec, s[24:25]
	s_andn2_saveexec_b64 s[24:25], s[24:25]
	s_cbranch_execz .LBB8_783
; %bb.782:                              ;   in Loop: Header=BB8_728 Depth=2
	v_ashrrev_i32_e32 v9, 31, v8
	v_mad_u64_u32 v[10:11], vcc, v2, 24, v[44:45]
	v_lshlrev_b64 v[14:15], 1, v[8:9]
	flat_store_dwordx2 v[10:11], v[14:15] offset:8
.LBB8_783:                              ;   in Loop: Header=BB8_728 Depth=2
	s_or_b64 exec, exec, s[24:25]
	v_and_b32_e32 v0, 0x100, v62
	v_cmp_ne_u32_e32 vcc, 0, v0
	s_mov_b64 s[24:25], -1
                                        ; implicit-def: $vgpr10_vgpr11
	s_and_saveexec_b64 s[30:31], vcc
	s_cbranch_execz .LBB8_787
; %bb.784:                              ;   in Loop: Header=BB8_728 Depth=2
	v_mad_u64_u32 v[14:15], s[24:25], v2, 24, v[44:45]
	v_mov_b32_e32 v4, v15
	v_mad_u64_u32 v[10:11], s[24:25], v3, 24, v[4:5]
	v_mov_b32_e32 v15, v10
	flat_load_dword v0, v[14:15]
                                        ; implicit-def: $vgpr10_vgpr11
	s_waitcnt vmcnt(0) lgkmcnt(0)
	v_cmp_ne_u32_e32 vcc, 1, v0
	v_cmp_eq_u32_e64 s[24:25], 1, v0
	s_and_saveexec_b64 s[54:55], s[24:25]
	s_cbranch_execz .LBB8_786
; %bb.785:                              ;   in Loop: Header=BB8_728 Depth=2
	flat_load_dword v10, v[14:15] offset:4 sc0 sc1
	s_waitcnt vmcnt(0) lgkmcnt(0)
	v_ashrrev_i32_e32 v11, 31, v10
	v_lshrrev_b64 v[10:11], 1, v[10:11]
.LBB8_786:                              ;   in Loop: Header=BB8_728 Depth=2
	s_or_b64 exec, exec, s[54:55]
	s_orn2_b64 s[24:25], vcc, exec
.LBB8_787:                              ;   in Loop: Header=BB8_728 Depth=2
	s_or_b64 exec, exec, s[30:31]
	s_and_saveexec_b64 vcc, s[24:25]
; %bb.788:                              ;   in Loop: Header=BB8_728 Depth=2
	v_mul_lo_u32 v0, v3, v58
	v_mul_lo_u32 v1, v2, v39
	v_mad_u64_u32 v[10:11], s[24:25], v2, v58, 0
	v_add3_u32 v11, v11, v1, v0
; %bb.789:                              ;   in Loop: Header=BB8_728 Depth=2
	s_or_b64 exec, exec, vcc
	v_lshl_add_u64 v[10:11], v[10:11], 1, v[60:61]
	s_trap 2
	ds_write_b64 v0, v[10:11]
	v_and_b32_e32 v0, 0x2000, v62
	v_cmp_ne_u32_e32 vcc, 0, v0
	s_and_saveexec_b64 s[24:25], vcc
	s_cbranch_execz .LBB8_791
; %bb.790:                              ;   in Loop: Header=BB8_728 Depth=2
	ds_read_b64 v[10:11], v0 offset:584
	s_waitcnt lgkmcnt(0)
	v_lshl_add_u64 v[10:11], v[10:11], 0, 1
	ds_write_b64 v0, v[10:11] offset:584
.LBB8_791:                              ;   in Loop: Header=BB8_728 Depth=2
	s_or_b64 exec, exec, s[24:25]
	v_lshl_add_u64 v[20:21], v[20:21], 0, 4
	s_or_b64 exec, exec, s[28:29]
	s_and_saveexec_b64 s[24:25], s[6:7]
	s_cbranch_execnz .LBB8_797
.LBB8_792:                              ;   in Loop: Header=BB8_728 Depth=2
	s_or_b64 exec, exec, s[24:25]
                                        ; implicit-def: $vgpr1
	s_and_saveexec_b64 s[24:25], s[22:23]
	s_xor_b64 s[24:25], exec, s[24:25]
	s_cbranch_execz .LBB8_834
.LBB8_793:                              ;   in Loop: Header=BB8_728 Depth=2
	s_trap 2
	ds_read_b32 v0, v0
	v_cmp_lt_i32_e32 vcc, 0, v8
	v_and_b32_e32 v2, 16, v62
	v_and_b32_e32 v1, 16, v62
	s_waitcnt lgkmcnt(0)
	v_readfirstlane_b32 s28, v0
	s_cmp_eq_u32 s28, 0
	s_cselect_b64 s[28:29], -1, 0
	s_and_b64 s[28:29], vcc, s[28:29]
	v_cmp_ne_u32_e32 vcc, 0, v2
	s_and_b64 vcc, vcc, s[28:29]
	s_and_saveexec_b64 s[28:29], vcc
	s_cbranch_execz .LBB8_795
; %bb.794:                              ;   in Loop: Header=BB8_728 Depth=2
	v_mov_b32_e32 v1, 1
	buffer_wbl2 sc1
	s_waitcnt vmcnt(0)
	buffer_inv sc1
.LBB8_795:                              ;   in Loop: Header=BB8_728 Depth=2
	s_or_b64 exec, exec, s[28:29]
	s_andn2_saveexec_b64 s[24:25], s[24:25]
	s_cbranch_execz .LBB8_940
	s_branch .LBB8_835
.LBB8_796:                              ;   in Loop: Header=BB8_728 Depth=2
	s_or_b64 exec, exec, s[28:29]
	s_and_saveexec_b64 s[24:25], s[6:7]
	s_cbranch_execz .LBB8_792
.LBB8_797:                              ;   in Loop: Header=BB8_728 Depth=2
	s_and_saveexec_b64 s[28:29], s[40:41]
	s_xor_b64 s[28:29], exec, s[28:29]
	s_cbranch_execz .LBB8_831
; %bb.798:                              ;   in Loop: Header=BB8_728 Depth=2
	s_and_saveexec_b64 s[30:31], s[14:15]
	s_cbranch_execz .LBB8_830
; %bb.799:                              ;   in Loop: Header=BB8_728 Depth=2
	s_mov_b64 s[56:57], exec
	v_mbcnt_lo_u32_b32 v0, s56, 0
	v_mbcnt_hi_u32_b32 v0, s57, v0
	v_cmp_eq_u32_e32 vcc, 0, v0
	s_waitcnt lgkmcnt(0)
	s_and_saveexec_b64 s[54:55], vcc
	s_cbranch_execz .LBB8_801
; %bb.800:                              ;   in Loop: Header=BB8_728 Depth=2
	s_bcnt1_i32_b64 vcc_lo, s[56:57]
	v_mov_b32_e32 v2, vcc_lo
	ds_add_u64 v0, v[2:3]
	s_trap 2
.LBB8_801:                              ;   in Loop: Header=BB8_728 Depth=2
	s_or_b64 exec, exec, s[54:55]
	s_trap 2
	ds_read_b64 v[10:11], v0
	v_lshl_add_u64 v[12:13], v[12:13], 0, v[34:35]
	s_waitcnt lgkmcnt(0)
	v_cmp_lt_u64_e32 vcc, v[10:11], v[12:13]
	s_and_saveexec_b64 s[54:55], vcc
	s_cbranch_execz .LBB8_829
; %bb.802:                              ;   in Loop: Header=BB8_728 Depth=2
	s_mov_b32 s66, 0
	s_mov_b64 s[56:57], 0
                                        ; implicit-def: $sgpr58_sgpr59
                                        ; implicit-def: $sgpr60_sgpr61
	s_branch .LBB8_804
.LBB8_803:                              ;   in Loop: Header=BB8_804 Depth=3
	s_or_b64 exec, exec, s[64:65]
	s_and_b64 vcc, exec, vcc
	s_or_b64 s[56:57], vcc, s[56:57]
	s_andn2_b64 vcc, s[58:59], exec
	s_and_b64 s[58:59], s[60:61], exec
	s_or_b64 s[58:59], vcc, s[58:59]
	s_andn2_b64 exec, exec, s[56:57]
	s_cbranch_execz .LBB8_827
.LBB8_804:                              ;   Parent Loop BB8_47 Depth=1
                                        ;     Parent Loop BB8_728 Depth=2
                                        ; =>    This Inner Loop Header: Depth=3
	s_add_i32 s66, s66, 1
	s_cmpk_lg_i32 s66, 0x2710
	s_cselect_b64 s[62:63], -1, 0
	s_and_b64 vcc, exec, s[62:63]
                                        ; implicit-def: $sgpr64_sgpr65
	s_cbranch_vccnz .LBB8_806
; %bb.805:                              ;   in Loop: Header=BB8_804 Depth=3
	s_trap 2
	ds_read_b64 v[10:11], v0
	s_andn2_b64 s[62:63], s[62:63], exec
	s_mov_b32 s66, 0
	s_mov_b64 s[64:65], -1
	s_waitcnt vmcnt(0) lgkmcnt(0)
	flat_load_dword v0, v[10:11] sc0 sc1
	s_waitcnt vmcnt(0) lgkmcnt(0)
	buffer_inv sc0 sc1
	v_cmp_eq_u32_e32 vcc, 0, v0
	s_and_b64 vcc, vcc, exec
	s_or_b64 s[62:63], s[62:63], vcc
.LBB8_806:                              ;   in Loop: Header=BB8_804 Depth=3
	s_andn2_b64 s[60:61], s[60:61], exec
	s_and_b64 s[64:65], s[64:65], exec
	s_mov_b64 vcc, -1
	s_or_b64 s[60:61], s[60:61], s[64:65]
	s_and_saveexec_b64 s[64:65], s[62:63]
	s_cbranch_execz .LBB8_803
; %bb.807:                              ;   in Loop: Header=BB8_804 Depth=3
	s_sleep 1
	s_trap 2
	ds_read_b64 v[10:11], v0
	s_andn2_b64 s[60:61], s[60:61], exec
	s_waitcnt lgkmcnt(0)
	v_cmp_ge_u64_e32 vcc, v[10:11], v[12:13]
	s_orn2_b64 vcc, vcc, exec
	s_branch .LBB8_803
.LBB8_808:                              ;   in Loop: Header=BB8_728 Depth=2
	s_or_b64 exec, exec, s[58:59]
	s_and_saveexec_b64 vcc, s[60:61]
	s_xor_b64 vcc, exec, vcc
	s_cbranch_execz .LBB8_810
; %bb.809:                              ;   in Loop: Header=BB8_728 Depth=2
	ds_write_b32 v0, v42
	s_trap 2
.LBB8_810:                              ;   in Loop: Header=BB8_728 Depth=2
	s_or_b64 exec, exec, s[56:57]
	;;#ASMSTART
	s_wakeup
	;;#ASMEND
.LBB8_811:                              ;   in Loop: Header=BB8_728 Depth=2
	s_or_b64 exec, exec, s[28:29]
.LBB8_812:                              ;   in Loop: Header=BB8_728 Depth=2
	s_andn2_saveexec_b64 s[26:27], s[26:27]
	s_cbranch_execz .LBB8_814
; %bb.813:                              ;   in Loop: Header=BB8_728 Depth=2
	s_waitcnt lgkmcnt(0)
	s_barrier
.LBB8_814:                              ;   in Loop: Header=BB8_728 Depth=2
	s_or_b64 exec, exec, s[26:27]
.LBB8_815:                              ;   in Loop: Header=BB8_728 Depth=2
	s_or_b64 exec, exec, s[24:25]
	s_trap 2
	ds_read_b32 v8, v0
	v_and_b32_e32 v0, 0x4000, v62
	v_cmp_ne_u32_e32 vcc, 0, v0
	s_xor_b64 s[24:25], s[4:5], -1
	s_and_b64 s[26:27], s[24:25], vcc
	s_and_saveexec_b64 s[24:25], s[26:27]
	s_cbranch_execz .LBB8_853
; %bb.816:                              ;   in Loop: Header=BB8_728 Depth=2
	s_and_saveexec_b64 s[26:27], s[40:41]
	s_xor_b64 s[26:27], exec, s[26:27]
	s_cbranch_execz .LBB8_850
; %bb.817:                              ;   in Loop: Header=BB8_728 Depth=2
	s_and_saveexec_b64 s[28:29], s[14:15]
	s_cbranch_execz .LBB8_849
; %bb.818:                              ;   in Loop: Header=BB8_728 Depth=2
	s_mov_b64 s[58:59], exec
	v_mbcnt_lo_u32_b32 v0, s58, 0
	v_mbcnt_hi_u32_b32 v0, s59, v0
	v_cmp_eq_u32_e32 vcc, 0, v0
	s_waitcnt lgkmcnt(0)
	s_and_saveexec_b64 s[56:57], vcc
	s_cbranch_execz .LBB8_820
; %bb.819:                              ;   in Loop: Header=BB8_728 Depth=2
	s_bcnt1_i32_b64 vcc_lo, s[58:59]
	v_mov_b32_e32 v2, vcc_lo
	ds_add_u64 v0, v[2:3]
	s_trap 2
.LBB8_820:                              ;   in Loop: Header=BB8_728 Depth=2
	s_or_b64 exec, exec, s[56:57]
	s_trap 2
	ds_read_b64 v[10:11], v0
	v_lshl_add_u64 v[12:13], v[12:13], 0, v[34:35]
	s_waitcnt lgkmcnt(0)
	v_cmp_lt_u64_e32 vcc, v[10:11], v[12:13]
	s_and_saveexec_b64 s[56:57], vcc
	s_cbranch_execz .LBB8_848
; %bb.821:                              ;   in Loop: Header=BB8_728 Depth=2
	s_mov_b32 s68, 0
	s_mov_b64 s[58:59], 0
                                        ; implicit-def: $sgpr60_sgpr61
                                        ; implicit-def: $sgpr62_sgpr63
	s_branch .LBB8_823
.LBB8_822:                              ;   in Loop: Header=BB8_823 Depth=3
	s_or_b64 exec, exec, s[66:67]
	s_and_b64 vcc, exec, vcc
	s_or_b64 s[58:59], vcc, s[58:59]
	s_andn2_b64 vcc, s[60:61], exec
	s_and_b64 s[60:61], s[62:63], exec
	s_or_b64 s[60:61], vcc, s[60:61]
	s_andn2_b64 exec, exec, s[58:59]
	s_cbranch_execz .LBB8_846
.LBB8_823:                              ;   Parent Loop BB8_47 Depth=1
                                        ;     Parent Loop BB8_728 Depth=2
                                        ; =>    This Inner Loop Header: Depth=3
	s_add_i32 s68, s68, 1
	s_cmpk_lg_i32 s68, 0x2710
	s_cselect_b64 s[64:65], -1, 0
	s_and_b64 vcc, exec, s[64:65]
                                        ; implicit-def: $sgpr66_sgpr67
	s_cbranch_vccnz .LBB8_825
; %bb.824:                              ;   in Loop: Header=BB8_823 Depth=3
	s_trap 2
	ds_read_b64 v[10:11], v0
	s_andn2_b64 s[64:65], s[64:65], exec
	s_mov_b32 s68, 0
	s_mov_b64 s[66:67], -1
	s_waitcnt vmcnt(0) lgkmcnt(0)
	flat_load_dword v0, v[10:11] sc0 sc1
	s_waitcnt vmcnt(0) lgkmcnt(0)
	buffer_inv sc0 sc1
	v_cmp_eq_u32_e32 vcc, 0, v0
	s_and_b64 vcc, vcc, exec
	s_or_b64 s[64:65], s[64:65], vcc
.LBB8_825:                              ;   in Loop: Header=BB8_823 Depth=3
	s_andn2_b64 s[62:63], s[62:63], exec
	s_and_b64 s[66:67], s[66:67], exec
	s_mov_b64 vcc, -1
	s_or_b64 s[62:63], s[62:63], s[66:67]
	s_and_saveexec_b64 s[66:67], s[64:65]
	s_cbranch_execz .LBB8_822
; %bb.826:                              ;   in Loop: Header=BB8_823 Depth=3
	s_sleep 1
	s_trap 2
	ds_read_b64 v[10:11], v0
	s_andn2_b64 s[62:63], s[62:63], exec
	s_waitcnt lgkmcnt(0)
	v_cmp_ge_u64_e32 vcc, v[10:11], v[12:13]
	s_orn2_b64 vcc, vcc, exec
	s_branch .LBB8_822
.LBB8_827:                              ;   in Loop: Header=BB8_728 Depth=2
	s_or_b64 exec, exec, s[56:57]
	s_and_saveexec_b64 vcc, s[58:59]
	s_xor_b64 vcc, exec, vcc
	s_cbranch_execz .LBB8_829
; %bb.828:                              ;   in Loop: Header=BB8_728 Depth=2
	ds_write_b32 v0, v42
	s_trap 2
.LBB8_829:                              ;   in Loop: Header=BB8_728 Depth=2
	s_or_b64 exec, exec, s[54:55]
	;;#ASMSTART
	s_wakeup
	;;#ASMEND
.LBB8_830:                              ;   in Loop: Header=BB8_728 Depth=2
	s_or_b64 exec, exec, s[30:31]
.LBB8_831:                              ;   in Loop: Header=BB8_728 Depth=2
	s_andn2_saveexec_b64 s[28:29], s[28:29]
	s_cbranch_execz .LBB8_833
; %bb.832:                              ;   in Loop: Header=BB8_728 Depth=2
	s_waitcnt lgkmcnt(0)
	s_barrier
.LBB8_833:                              ;   in Loop: Header=BB8_728 Depth=2
	s_or_b64 exec, exec, s[28:29]
	s_or_b64 exec, exec, s[24:25]
                                        ; implicit-def: $vgpr1
	s_and_saveexec_b64 s[24:25], s[22:23]
	s_xor_b64 s[24:25], exec, s[24:25]
	s_cbranch_execnz .LBB8_793
.LBB8_834:                              ;   in Loop: Header=BB8_728 Depth=2
	s_andn2_saveexec_b64 s[24:25], s[24:25]
	s_cbranch_execz .LBB8_940
.LBB8_835:                              ;   in Loop: Header=BB8_728 Depth=2
	s_and_saveexec_b64 s[28:29], s[40:41]
	s_xor_b64 s[28:29], exec, s[28:29]
	s_cbranch_execz .LBB8_937
; %bb.836:                              ;   in Loop: Header=BB8_728 Depth=2
	s_and_saveexec_b64 s[30:31], s[14:15]
	s_cbranch_execz .LBB8_936
; %bb.837:                              ;   in Loop: Header=BB8_728 Depth=2
	s_mov_b64 s[56:57], exec
	v_mbcnt_lo_u32_b32 v0, s56, 0
	v_mbcnt_hi_u32_b32 v0, s57, v0
	v_cmp_eq_u32_e32 vcc, 0, v0
	;;#ASMSTART
	s_waitcnt lgkmcnt(0) vmcnt(0)
	;;#ASMEND
	s_and_saveexec_b64 s[54:55], vcc
	s_cbranch_execz .LBB8_839
; %bb.838:                              ;   in Loop: Header=BB8_728 Depth=2
	s_bcnt1_i32_b64 vcc_lo, s[56:57]
	v_mov_b32_e32 v2, vcc_lo
	ds_add_u64 v0, v[2:3]
	s_trap 2
.LBB8_839:                              ;   in Loop: Header=BB8_728 Depth=2
	s_or_b64 exec, exec, s[54:55]
	s_trap 2
	ds_read_b64 v[8:9], v0
	v_lshl_add_u64 v[12:13], v[12:13], 0, v[34:35]
	s_waitcnt lgkmcnt(0)
	v_cmp_lt_u64_e32 vcc, v[8:9], v[12:13]
	s_and_saveexec_b64 s[54:55], vcc
	s_cbranch_execz .LBB8_935
; %bb.840:                              ;   in Loop: Header=BB8_728 Depth=2
	s_mov_b32 s66, 0
	s_mov_b64 s[56:57], 0
                                        ; implicit-def: $sgpr58_sgpr59
                                        ; implicit-def: $sgpr60_sgpr61
	s_branch .LBB8_842
.LBB8_841:                              ;   in Loop: Header=BB8_842 Depth=3
	s_or_b64 exec, exec, s[64:65]
	s_and_b64 vcc, exec, vcc
	s_or_b64 s[56:57], vcc, s[56:57]
	s_andn2_b64 vcc, s[58:59], exec
	s_and_b64 s[58:59], s[60:61], exec
	s_or_b64 s[58:59], vcc, s[58:59]
	s_andn2_b64 exec, exec, s[56:57]
	s_cbranch_execz .LBB8_933
.LBB8_842:                              ;   Parent Loop BB8_47 Depth=1
                                        ;     Parent Loop BB8_728 Depth=2
                                        ; =>    This Inner Loop Header: Depth=3
	s_add_i32 s66, s66, 1
	s_cmpk_lg_i32 s66, 0x2710
	s_cselect_b64 s[62:63], -1, 0
	s_and_b64 vcc, exec, s[62:63]
                                        ; implicit-def: $sgpr64_sgpr65
	s_cbranch_vccnz .LBB8_844
; %bb.843:                              ;   in Loop: Header=BB8_842 Depth=3
	s_trap 2
	ds_read_b64 v[8:9], v0
	s_andn2_b64 s[62:63], s[62:63], exec
	s_mov_b32 s66, 0
	s_mov_b64 s[64:65], -1
	s_waitcnt vmcnt(0) lgkmcnt(0)
	flat_load_dword v0, v[8:9] sc0 sc1
	s_waitcnt vmcnt(0) lgkmcnt(0)
	buffer_inv sc0 sc1
	v_cmp_eq_u32_e32 vcc, 0, v0
	s_and_b64 vcc, vcc, exec
	s_or_b64 s[62:63], s[62:63], vcc
.LBB8_844:                              ;   in Loop: Header=BB8_842 Depth=3
	s_andn2_b64 s[60:61], s[60:61], exec
	s_and_b64 s[64:65], s[64:65], exec
	s_mov_b64 vcc, -1
	s_or_b64 s[60:61], s[60:61], s[64:65]
	s_and_saveexec_b64 s[64:65], s[62:63]
	s_cbranch_execz .LBB8_841
; %bb.845:                              ;   in Loop: Header=BB8_842 Depth=3
	s_sleep 1
	s_trap 2
	ds_read_b64 v[8:9], v0
	s_andn2_b64 s[60:61], s[60:61], exec
	s_waitcnt lgkmcnt(0)
	v_cmp_ge_u64_e32 vcc, v[8:9], v[12:13]
	s_orn2_b64 vcc, vcc, exec
	s_branch .LBB8_841
.LBB8_846:                              ;   in Loop: Header=BB8_728 Depth=2
	s_or_b64 exec, exec, s[58:59]
	s_and_saveexec_b64 vcc, s[60:61]
	s_xor_b64 vcc, exec, vcc
	s_cbranch_execz .LBB8_848
; %bb.847:                              ;   in Loop: Header=BB8_728 Depth=2
	ds_write_b32 v0, v42
	s_trap 2
.LBB8_848:                              ;   in Loop: Header=BB8_728 Depth=2
	s_or_b64 exec, exec, s[56:57]
	;;#ASMSTART
	s_wakeup
	;;#ASMEND
.LBB8_849:                              ;   in Loop: Header=BB8_728 Depth=2
	s_or_b64 exec, exec, s[28:29]
.LBB8_850:                              ;   in Loop: Header=BB8_728 Depth=2
	s_andn2_saveexec_b64 s[26:27], s[26:27]
	s_cbranch_execz .LBB8_852
; %bb.851:                              ;   in Loop: Header=BB8_728 Depth=2
	s_waitcnt lgkmcnt(0)
	s_barrier
.LBB8_852:                              ;   in Loop: Header=BB8_728 Depth=2
	s_or_b64 exec, exec, s[26:27]
.LBB8_853:                              ;   in Loop: Header=BB8_728 Depth=2
	s_or_b64 exec, exec, s[24:25]
	s_trap 2
	ds_read_b64 v[10:11], v0
	s_waitcnt lgkmcnt(0)
	v_readfirstlane_b32 s24, v10
	v_readfirstlane_b32 s25, v11
	s_cmp_eq_u64 s[24:25], 0
	s_cselect_b64 s[24:25], -1, 0
	s_or_b64 s[26:27], s[24:25], s[24:25]
	s_mov_b64 s[24:25], 0
	s_and_b64 vcc, exec, s[26:27]
	s_cbranch_vccnz .LBB8_861
; %bb.854:                              ;   in Loop: Header=BB8_728 Depth=2
	s_trap 2
	ds_read_b64 v[10:11], v0
	v_cmp_eq_u32_e32 vcc, 0, v8
	s_nop 1
	v_cndmask_b32_e32 v2, 0, v16, vcc
	s_waitcnt lgkmcnt(0)
	v_cmp_ne_u64_e32 vcc, 0, v[10:11]
	v_lshlrev_b32_e32 v17, 1, v2
	s_cbranch_vccz .LBB8_866
; %bb.855:                              ;   in Loop: Header=BB8_728 Depth=2
	s_mov_b64 s[26:27], -1
	s_and_saveexec_b64 s[24:25], s[18:19]
	s_cbranch_execz .LBB8_857
; %bb.856:                              ;   in Loop: Header=BB8_728 Depth=2
	ds_read_b32 v0, v0 offset:720
	s_waitcnt lgkmcnt(0)
	v_and_b32_e32 v0, 15, v0
	v_cmp_eq_u32_e32 vcc, 0, v0
	s_orn2_b64 s[26:27], vcc, exec
.LBB8_857:                              ;   in Loop: Header=BB8_728 Depth=2
	s_or_b64 exec, exec, s[24:25]
	s_and_saveexec_b64 s[24:25], s[20:21]
	s_cbranch_execz .LBB8_859
; %bb.858:                              ;   in Loop: Header=BB8_728 Depth=2
	ds_read_b32 v0, v0 offset:784
	s_waitcnt lgkmcnt(0)
	v_and_b32_e32 v0, 15, v0
	v_cmp_eq_u32_e32 vcc, 0, v0
	s_and_b64 s[28:29], s[26:27], vcc
	s_andn2_b64 s[26:27], s[26:27], exec
	s_and_b64 s[28:29], s[28:29], exec
	s_or_b64 s[26:27], s[26:27], s[28:29]
.LBB8_859:                              ;   in Loop: Header=BB8_728 Depth=2
	s_or_b64 exec, exec, s[24:25]
	s_xor_b64 s[26:27], s[26:27], -1
	v_cndmask_b32_e64 v0, 0, 1, s[26:27]
	s_mov_b64 s[24:25], -1
	;;#ASMSTART
	;;#ASMEND
	v_mov_b32_e32 v14, 0
	v_cmp_ne_u32_e32 vcc, 0, v0
	v_mov_b32_e32 v15, v17
	v_mov_b32_e32 v30, v52
	;; [unrolled: 1-line block ×3, first 2 shown]
	s_cbranch_vccz .LBB8_867
; %bb.860:                              ;   in Loop: Header=BB8_728 Depth=2
	s_and_saveexec_b64 s[28:29], s[24:25]
	s_cbranch_execnz .LBB8_882
	s_branch .LBB8_892
.LBB8_861:                              ;   in Loop: Header=BB8_728 Depth=2
	s_and_saveexec_b64 s[26:27], s[6:7]
	s_cbranch_execnz .LBB8_922
.LBB8_862:                              ;   in Loop: Header=BB8_728 Depth=2
	s_or_b64 exec, exec, s[26:27]
                                        ; implicit-def: $vgpr2
	s_and_saveexec_b64 s[26:27], s[22:23]
	s_xor_b64 s[26:27], exec, s[26:27]
	s_cbranch_execz .LBB8_952
.LBB8_863:                              ;   in Loop: Header=BB8_728 Depth=2
	v_and_b32_e32 v0, 16, v62
	v_cmp_ne_u32_e32 vcc, 0, v0
	v_and_b32_e32 v2, 16, v62
	s_and_b64 s[28:29], vcc, s[24:25]
	s_and_saveexec_b64 s[24:25], s[28:29]
	s_cbranch_execz .LBB8_865
; %bb.864:                              ;   in Loop: Header=BB8_728 Depth=2
	v_mov_b32_e32 v2, 1
	buffer_wbl2 sc1
	s_waitcnt vmcnt(0) lgkmcnt(0)
	buffer_inv sc1
.LBB8_865:                              ;   in Loop: Header=BB8_728 Depth=2
	s_or_b64 exec, exec, s[24:25]
	s_andn2_saveexec_b64 s[24:25], s[26:27]
	s_cbranch_execz .LBB8_971
	s_branch .LBB8_953
.LBB8_866:                              ;   in Loop: Header=BB8_728 Depth=2
	s_cbranch_execnz .LBB8_893
	s_branch .LBB8_921
.LBB8_867:                              ;   in Loop: Header=BB8_728 Depth=2
	v_ashrrev_i32_e32 v0, 31, v17
	v_lshrrev_b32_e32 v0, 21, v0
	v_add_u32_e32 v0, v17, v0
	v_ashrrev_i32_e32 v18, 11, v0
	v_sub_u32_e32 v4, v18, v47
	v_cmp_lt_i32_e32 vcc, 0, v4
	s_and_saveexec_b64 s[24:25], vcc
	s_cbranch_execz .LBB8_871
; %bb.868:                              ;   in Loop: Header=BB8_728 Depth=2
	s_trap 2
	ds_read_b64 v[8:9], v0
	ds_read_b128 v[24:27], v0
	v_accvgpr_read_b32 v14, a40
	v_accvgpr_read_b32 v15, a41
	s_mov_b64 s[26:27], 0
	s_waitcnt lgkmcnt(0)
	v_lshl_add_u64 v[8:9], v[8:9], 0, v[14:15]
	v_lshl_add_u64 v[10:11], v[24:25], 0, v[14:15]
	;; [unrolled: 1-line block ×3, first 2 shown]
.LBB8_869:                              ;   Parent Loop BB8_47 Depth=1
                                        ;     Parent Loop BB8_728 Depth=2
                                        ; =>    This Inner Loop Header: Depth=3
	global_load_dwordx4 v[24:27], v[8:9], off nt
	global_load_dwordx4 v[28:31], v[8:9], off offset:1024 nt
	v_sub_u32_e32 v4, v4, v34
	v_cmp_gt_i32_e32 vcc, 1, v4
	v_lshl_add_u64 v[8:9], v[8:9], 0, v[54:55]
	s_or_b64 s[26:27], vcc, s[26:27]
	s_waitcnt vmcnt(0)
	global_store_dwordx4 v[10:11], v[24:27], off nt
	global_store_dwordx4 v[10:11], v[28:31], off offset:1024 nt
	global_store_dwordx4 v[14:15], v[24:27], off nt
	global_store_dwordx4 v[14:15], v[28:31], off offset:1024 nt
	v_lshl_add_u64 v[10:11], v[10:11], 0, v[54:55]
	v_lshl_add_u64 v[14:15], v[14:15], 0, v[54:55]
	s_andn2_b64 exec, exec, s[26:27]
	s_cbranch_execnz .LBB8_869
; %bb.870:                              ;   in Loop: Header=BB8_728 Depth=2
	s_or_b64 exec, exec, s[26:27]
	v_accvgpr_read_b32 v28, a34
	v_accvgpr_read_b32 v26, a42
	;; [unrolled: 1-line block ×4, first 2 shown]
.LBB8_871:                              ;   in Loop: Header=BB8_728 Depth=2
	s_or_b64 exec, exec, s[24:25]
	v_lshlrev_b32_e32 v46, 11, v18
	v_cmp_ne_u32_e32 vcc, v17, v46
	s_mov_b64 s[24:25], 0
	v_mov_b32_e32 v14, 0
                                        ; implicit-def: $vgpr15
                                        ; implicit-def: $vgpr30
                                        ; implicit-def: $vgpr8
	s_and_saveexec_b64 s[56:57], vcc
	s_cbranch_execz .LBB8_881
; %bb.872:                              ;   in Loop: Header=BB8_728 Depth=2
	v_lshlrev_b32_e32 v4, 6, v4
	v_accvgpr_read_b32 v5, a31
	v_sub_u32_e32 v4, v5, v4
	v_ashrrev_i32_e32 v5, 31, v4
	v_lshrrev_b32_e32 v5, 26, v5
	v_add_u32_e32 v5, v4, v5
	v_ashrrev_i32_e32 v6, 6, v5
	v_and_b32_e32 v5, 0xffffffc0, v5
	v_sub_u32_e32 v25, v4, v5
	v_sub_u32_e32 v0, v17, v46
	v_lshlrev_b32_e32 v4, 4, v25
	v_lshl_add_u32 v8, v6, 10, v4
	v_ashrrev_i32_e32 v4, 31, v0
	v_lshrrev_b32_e32 v4, 22, v4
	v_add_u32_e32 v4, v0, v4
	v_and_b32_e32 v47, 0xfffffc00, v4
	v_sub_u32_e32 v48, v0, v47
	v_ashrrev_i32_e32 v5, 10, v4
	v_cmp_lt_i32_e64 s[24:25], 15, v48
	v_sub_u32_e32 v49, v0, v8
	s_nop 0
	v_addc_co_u32_e64 v0, vcc, 0, v5, s[24:25]
	v_sub_u32_e32 v4, v0, v6
	v_cmp_lt_i32_e32 vcc, 15, v49
	s_mov_b64 s[58:59], exec
	v_accvgpr_read_b32 v6, a26
	s_and_b64 s[26:27], s[58:59], vcc
	v_accvgpr_read_b32 v7, a27
	s_mov_b64 exec, s[26:27]
	s_cbranch_execz .LBB8_878
; %bb.873:                              ;   in Loop: Header=BB8_728 Depth=2
	s_trap 2
	ds_read_b64 v[10:11], v0
	ds_read_b128 v[26:29], v0
	v_add_u32_e32 v8, v8, v46
	v_ashrrev_i32_e32 v9, 31, v8
	s_mov_b64 s[60:61], 0
	s_waitcnt lgkmcnt(0)
	v_lshl_add_u64 v[14:15], v[10:11], 0, v[8:9]
	v_lshl_add_u64 v[18:19], v[26:27], 0, v[8:9]
	;; [unrolled: 1-line block ×3, first 2 shown]
.LBB8_874:                              ;   Parent Loop BB8_47 Depth=1
                                        ;     Parent Loop BB8_728 Depth=2
                                        ; =>    This Loop Header: Depth=3
                                        ;         Child Loop BB8_875 Depth 4
	global_load_dwordx4 v[8:11], v[14:15], off nt
	s_mov_b64 s[64:65], -1
	s_mov_b64 s[62:63], 0
	s_waitcnt vmcnt(0)
.LBB8_875:                              ;   Parent Loop BB8_47 Depth=1
                                        ;     Parent Loop BB8_728 Depth=2
                                        ;       Parent Loop BB8_874 Depth=3
                                        ; =>      This Inner Loop Header: Depth=4
	s_cmp_eq_u32 s62, 0
	s_cselect_b64 s[26:27], -1, 0
	s_cmp_eq_u32 s62, 1
	s_cselect_b64 s[28:29], -1, 0
	v_cndmask_b32_e64 v0, 0, 1, s[64:65]
	v_cndmask_b32_e64 v27, v19, v31, s[28:29]
	;; [unrolled: 1-line block ×3, first 2 shown]
	v_cmp_ne_u32_e32 vcc, 1, v0
	global_store_dwordx4 v[26:27], v[8:11], off nt
	v_lshl_add_u64 v[26:27], v[26:27], 0, s[42:43]
	s_mov_b64 s[64:65], 0
	s_mov_b64 s[62:63], 1
	s_and_b64 vcc, exec, vcc
	v_cndmask_b32_e64 v31, v31, v27, s[28:29]
	v_cndmask_b32_e64 v30, v30, v26, s[28:29]
	v_cndmask_b32_e64 v19, v19, v27, s[26:27]
	v_cndmask_b32_e64 v18, v18, v26, s[26:27]
	s_cbranch_vccz .LBB8_875
; %bb.876:                              ;   in Loop: Header=BB8_874 Depth=3
	v_sub_u32_e32 v49, v49, v53
	v_cmp_gt_i32_e32 vcc, 16, v49
	v_lshl_add_u64 v[18:19], v[18:19], 0, v[6:7]
	v_lshl_add_u64 v[30:31], v[30:31], 0, v[6:7]
	;; [unrolled: 1-line block ×3, first 2 shown]
	s_or_b64 s[60:61], vcc, s[60:61]
	v_sub_u32_e32 v4, v4, v34
	s_andn2_b64 exec, exec, s[60:61]
	s_cbranch_execnz .LBB8_874
; %bb.877:                              ;   in Loop: Header=BB8_728 Depth=2
	s_or_b64 exec, exec, s[60:61]
	v_accvgpr_read_b32 v28, a34
	v_accvgpr_read_b32 v26, a42
	;; [unrolled: 1-line block ×4, first 2 shown]
.LBB8_878:                              ;   in Loop: Header=BB8_728 Depth=2
	s_or_b64 exec, exec, s[58:59]
	v_and_b32_e32 v9, 14, v17
	v_cndmask_b32_e64 v15, v48, v9, s[24:25]
	s_mov_b64 s[26:27], 0
	v_mov_b32_e32 v14, 0
	v_cmp_ne_u32_e32 vcc, 0, v15
                                        ; implicit-def: $vgpr30
                                        ; implicit-def: $vgpr8
	s_mov_b64 s[28:29], exec
	v_accvgpr_read_b32 v6, a32
	s_and_b64 vcc, s[28:29], vcc
	v_accvgpr_read_b32 v7, a33
	s_mov_b64 exec, vcc
	s_cbranch_execz .LBB8_880
; %bb.879:                              ;   in Loop: Header=BB8_728 Depth=2
	v_sub_u32_e32 v0, v48, v9
	v_cndmask_b32_e64 v0, 0, v0, s[24:25]
	v_cmp_lt_i32_e32 vcc, 0, v4
	v_add3_u32 v14, v47, v46, v0
	s_mov_b64 s[26:27], exec
	v_cndmask_b32_e32 v0, 0, v34, vcc
	v_sub_u32_e32 v0, v0, v4
	v_lshl_add_u32 v30, v0, 6, v25
	v_ashrrev_i32_e32 v0, 31, v30
	v_lshrrev_b32_e32 v0, 26, v0
	v_add_u32_e32 v0, v30, v0
	v_ashrrev_i32_e32 v8, 6, v0
.LBB8_880:                              ;   in Loop: Header=BB8_728 Depth=2
	s_or_b64 exec, exec, s[28:29]
	v_accvgpr_read_b32 v49, a23
	s_and_b64 s[24:25], s[26:27], exec
	v_accvgpr_read_b32 v48, a22
	v_accvgpr_read_b32 v47, a30
.LBB8_881:                              ;   in Loop: Header=BB8_728 Depth=2
	s_or_b64 exec, exec, s[56:57]
	s_and_saveexec_b64 s[28:29], s[24:25]
	s_cbranch_execz .LBB8_892
.LBB8_882:                              ;   in Loop: Header=BB8_728 Depth=2
	v_ashrrev_i32_e32 v0, 31, v15
	v_lshrrev_b32_e32 v0, 22, v0
	v_add_u32_e32 v0, v15, v0
	v_ashrrev_i32_e32 v46, 10, v0
	v_sub_u32_e32 v25, v46, v8
	v_ashrrev_i32_e32 v0, 31, v30
	v_cmp_lt_i32_e32 vcc, 0, v25
	v_lshrrev_b32_e32 v31, 26, v0
	s_and_saveexec_b64 s[24:25], vcc
	s_cbranch_execz .LBB8_886
; %bb.883:                              ;   in Loop: Header=BB8_728 Depth=2
	v_add_u32_e32 v0, v30, v31
	v_and_b32_e32 v0, 0x7fffffc0, v0
	v_sub_u32_e32 v0, v30, v0
	s_trap 2
	ds_read_b64 v[18:19], v0
	ds_read_b128 v[26:29], v0
	v_lshlrev_b32_e32 v0, 1, v0
	v_lshlrev_b32_e32 v4, 10, v8
	v_add3_u32 v36, v0, v14, v4
	v_ashrrev_i32_e32 v37, 31, v36
	s_waitcnt lgkmcnt(0)
	v_lshl_add_u64 v[18:19], v[18:19], 0, s[52:53]
	v_lshl_add_u64 v[8:9], v[26:27], 0, v[36:37]
	;; [unrolled: 1-line block ×4, first 2 shown]
	s_mov_b64 s[26:27], 0
.LBB8_884:                              ;   Parent Loop BB8_47 Depth=1
                                        ;     Parent Loop BB8_728 Depth=2
                                        ; =>    This Inner Loop Header: Depth=3
	v_add_co_u32_e32 v26, vcc, 0xfffffc80, v18
	flat_load_ushort v0, v[18:19] nt
	s_nop 0
	v_addc_co_u32_e32 v27, vcc, -1, v19, vcc
	v_add_co_u32_e32 v28, vcc, 0xfffffd00, v18
	flat_load_ushort v4, v[26:27] nt
	s_nop 0
	v_addc_co_u32_e32 v29, vcc, -1, v19, vcc
	;; [unrolled: 4-line block ×7, first 2 shown]
	flat_load_ushort v26, v[26:27] nt
	v_sub_u32_e32 v25, v25, v34
	v_cmp_gt_i32_e32 vcc, 1, v25
	s_or_b64 s[26:27], vcc, s[26:27]
	v_lshl_add_u64 v[18:19], v[18:19], 0, v[40:41]
	s_waitcnt vmcnt(0) lgkmcnt(0)
	flat_store_short v[8:9], v0 offset:896 nt
	flat_store_short v[8:9], v4 nt
	flat_store_short v[8:9], v5 offset:128 nt
	flat_store_short v[8:9], v6 offset:256 nt
	;; [unrolled: 1-line block ×6, first 2 shown]
	flat_store_short v[10:11], v4 nt
	flat_store_short v[10:11], v5 offset:128 nt
	flat_store_short v[10:11], v6 offset:256 nt
	;; [unrolled: 1-line block ×7, first 2 shown]
	v_lshl_add_u64 v[8:9], v[8:9], 0, v[40:41]
	v_lshl_add_u64 v[10:11], v[10:11], 0, v[40:41]
	s_andn2_b64 exec, exec, s[26:27]
	s_cbranch_execnz .LBB8_884
; %bb.885:                              ;   in Loop: Header=BB8_728 Depth=2
	s_or_b64 exec, exec, s[26:27]
	v_accvgpr_read_b32 v37, a29
	v_accvgpr_read_b32 v6, a32
	;; [unrolled: 1-line block ×8, first 2 shown]
.LBB8_886:                              ;   in Loop: Header=BB8_728 Depth=2
	s_or_b64 exec, exec, s[24:25]
	v_lshlrev_b32_e32 v4, 10, v46
	v_cmp_ne_u32_e32 vcc, v15, v4
	s_and_b64 exec, exec, vcc
	s_cbranch_execz .LBB8_892
; %bb.887:                              ;   in Loop: Header=BB8_728 Depth=2
	v_add_u32_e32 v0, v30, v31
	v_and_b32_e32 v0, 0xffffffc0, v0
	v_sub_u32_e32 v0, v30, v0
	v_lshlrev_b32_e32 v5, 6, v25
	v_sub_u32_e32 v0, v0, v5
	v_ashrrev_i32_e32 v5, 31, v0
	v_lshrrev_b32_e32 v5, 26, v5
	v_add_u32_e32 v5, v0, v5
	v_and_b32_e32 v6, 0x7fffffc0, v5
	v_sub_u32_e32 v0, v0, v6
	v_lshlrev_b32_e32 v5, 1, v5
	v_and_b32_e32 v5, 0xffffff80, v5
	v_lshlrev_b32_e32 v0, 1, v0
	v_add3_u32 v8, v5, v0, v4
	v_accvgpr_read_b32 v6, a32
	v_sub_u32_e32 v4, v15, v8
	v_accvgpr_read_b32 v7, a33
	v_cmp_lt_i32_e32 vcc, 1, v4
	s_and_b64 exec, exec, vcc
	s_cbranch_execz .LBB8_892
; %bb.888:                              ;   in Loop: Header=BB8_728 Depth=2
	s_trap 2
	ds_read_b64 v[10:11], v0
	ds_read_b128 v[24:27], v0
	v_add_u32_e32 v14, v8, v14
	v_ashrrev_i32_e32 v15, 31, v14
	s_mov_b64 s[56:57], 0
	s_waitcnt lgkmcnt(0)
	v_lshl_add_u64 v[8:9], v[10:11], 0, v[14:15]
	v_lshl_add_u64 v[10:11], v[24:25], 0, v[14:15]
	;; [unrolled: 1-line block ×3, first 2 shown]
	v_accvgpr_read_b32 v26, a42
	v_accvgpr_read_b32 v27, a43
.LBB8_889:                              ;   Parent Loop BB8_47 Depth=1
                                        ;     Parent Loop BB8_728 Depth=2
                                        ; =>    This Loop Header: Depth=3
                                        ;         Child Loop BB8_890 Depth 4
	flat_load_ushort v18, v[8:9] nt
	s_mov_b64 s[60:61], -1
	s_mov_b64 s[58:59], 0
	s_waitcnt vmcnt(0)
.LBB8_890:                              ;   Parent Loop BB8_47 Depth=1
                                        ;     Parent Loop BB8_728 Depth=2
                                        ;       Parent Loop BB8_889 Depth=3
                                        ; =>      This Inner Loop Header: Depth=4
	s_cmp_eq_u32 s58, 0
	s_cselect_b64 s[24:25], -1, 0
	s_cmp_eq_u32 s58, 1
	s_cselect_b64 s[26:27], -1, 0
	v_cndmask_b32_e64 v0, 0, 1, s[60:61]
	v_cndmask_b32_e64 v25, v11, v15, s[26:27]
	v_cndmask_b32_e64 v24, v10, v14, s[26:27]
	v_cmp_ne_u32_e32 vcc, 1, v0
	s_waitcnt lgkmcnt(0)
	flat_store_short v[24:25], v18 nt
	v_lshl_add_u64 v[24:25], v[24:25], 0, s[44:45]
	s_mov_b64 s[60:61], 0
	s_mov_b64 s[58:59], 1
	s_and_b64 vcc, exec, vcc
	v_cndmask_b32_e64 v15, v15, v25, s[26:27]
	v_cndmask_b32_e64 v14, v14, v24, s[26:27]
	;; [unrolled: 1-line block ×4, first 2 shown]
	s_cbranch_vccz .LBB8_890
; %bb.891:                              ;   in Loop: Header=BB8_889 Depth=3
	v_sub_u32_e32 v4, v4, v59
	v_cmp_gt_i32_e32 vcc, 2, v4
	v_lshl_add_u64 v[10:11], v[10:11], 0, v[36:37]
	v_lshl_add_u64 v[14:15], v[14:15], 0, v[36:37]
	s_or_b64 s[56:57], vcc, s[56:57]
	v_lshl_add_u64 v[8:9], v[28:29], 0, v[8:9]
	s_andn2_b64 exec, exec, s[56:57]
	s_cbranch_execnz .LBB8_889
.LBB8_892:                              ;   in Loop: Header=BB8_728 Depth=2
	s_or_b64 exec, exec, s[28:29]
	s_branch .LBB8_921
.LBB8_893:                              ;   in Loop: Header=BB8_728 Depth=2
	s_mov_b64 s[24:25], -1
	s_and_saveexec_b64 s[26:27], s[18:19]
	s_cbranch_execz .LBB8_895
; %bb.894:                              ;   in Loop: Header=BB8_728 Depth=2
	ds_read_b32 v0, v0 offset:720
	s_waitcnt lgkmcnt(0)
	v_and_b32_e32 v0, 15, v0
	v_cmp_eq_u32_e32 vcc, 0, v0
	s_orn2_b64 s[24:25], vcc, exec
.LBB8_895:                              ;   in Loop: Header=BB8_728 Depth=2
	s_or_b64 exec, exec, s[26:27]
	s_and_saveexec_b64 s[26:27], s[16:17]
	s_cbranch_execz .LBB8_897
; %bb.896:                              ;   in Loop: Header=BB8_728 Depth=2
	ds_read_b32 v0, v0 offset:784
	s_waitcnt lgkmcnt(0)
	v_and_b32_e32 v0, 15, v0
	v_cmp_eq_u32_e32 vcc, 0, v0
	s_and_b64 s[28:29], s[24:25], vcc
	s_andn2_b64 s[24:25], s[24:25], exec
	s_and_b64 s[28:29], s[28:29], exec
	s_or_b64 s[24:25], s[24:25], s[28:29]
.LBB8_897:                              ;   in Loop: Header=BB8_728 Depth=2
	s_or_b64 exec, exec, s[26:27]
	s_xor_b64 s[24:25], s[24:25], -1
	v_cndmask_b32_e64 v0, 0, 1, s[24:25]
	s_mov_b64 s[28:29], -1
	;;#ASMSTART
	;;#ASMEND
	v_mov_b32_e32 v18, 0
	v_cmp_ne_u32_e32 vcc, 0, v0
	s_cbranch_vccz .LBB8_899
; %bb.898:                              ;   in Loop: Header=BB8_728 Depth=2
	v_mov_b32_e32 v4, v52
	v_mov_b32_e32 v10, v47
	s_and_saveexec_b64 s[24:25], s[28:29]
	s_cbranch_execnz .LBB8_912
	s_branch .LBB8_920
.LBB8_899:                              ;   in Loop: Header=BB8_728 Depth=2
	v_ashrrev_i32_e32 v0, 31, v17
	v_lshrrev_b32_e32 v0, 20, v0
	v_add_u32_e32 v0, v17, v0
	v_ashrrev_i32_e32 v4, 12, v0
	v_sub_u32_e32 v15, v4, v47
	v_cmp_lt_i32_e32 vcc, 0, v15
	s_and_saveexec_b64 s[24:25], vcc
	s_cbranch_execz .LBB8_903
; %bb.900:                              ;   in Loop: Header=BB8_728 Depth=2
	s_trap 2
	ds_read_b64 v[8:9], v0
	v_accvgpr_read_b32 v43, a37
	s_mov_b64 s[26:27], 0
	v_accvgpr_read_b32 v42, a36
	s_waitcnt lgkmcnt(0)
	v_mov_b64_e32 v[10:11], v[8:9]
.LBB8_901:                              ;   Parent Loop BB8_47 Depth=1
                                        ;     Parent Loop BB8_728 Depth=2
                                        ; =>    This Inner Loop Header: Depth=3
	v_lshl_add_u64 v[18:19], v[42:43], 0, v[10:11]
	global_load_dwordx4 v[24:27], v[18:19], off nt
	global_load_dwordx4 v[28:31], v[18:19], off offset:1024 nt
	global_load_dwordx4 v[36:39], v[18:19], off offset:2048 nt
	;; [unrolled: 1-line block ×3, first 2 shown]
	v_sub_u32_e32 v15, v15, v34
	v_cmp_gt_i32_e32 vcc, 1, v15
	v_lshl_add_u64 v[18:19], v[42:43], 0, v[8:9]
	v_lshl_add_u64 v[10:11], v[10:11], 0, v[6:7]
	v_lshl_add_u64 v[8:9], v[8:9], 0, v[6:7]
	s_or_b64 s[26:27], vcc, s[26:27]
	s_waitcnt vmcnt(0)
	global_store_dwordx4 v[18:19], v[24:27], off nt
	global_store_dwordx4 v[18:19], v[28:31], off offset:1024 nt
	global_store_dwordx4 v[18:19], v[36:39], off offset:2048 nt
	;; [unrolled: 1-line block ×3, first 2 shown]
	s_andn2_b64 exec, exec, s[26:27]
	s_cbranch_execnz .LBB8_901
; %bb.902:                              ;   in Loop: Header=BB8_728 Depth=2
	s_or_b64 exec, exec, s[26:27]
	v_accvgpr_read_b32 v51, a19
	v_accvgpr_read_b32 v49, a23
	;; [unrolled: 1-line block ×10, first 2 shown]
	v_mov_b32_e32 v42, 1
	v_accvgpr_read_b32 v27, a43
.LBB8_903:                              ;   in Loop: Header=BB8_728 Depth=2
	s_or_b64 exec, exec, s[24:25]
	v_lshlrev_b32_e32 v14, 12, v4
	v_cmp_ne_u32_e32 vcc, v17, v14
	s_mov_b64 s[28:29], 0
	v_mov_b32_e32 v18, 0
                                        ; implicit-def: $vgpr4
                                        ; implicit-def: $vgpr10
	s_and_saveexec_b64 s[26:27], vcc
	s_cbranch_execz .LBB8_911
; %bb.904:                              ;   in Loop: Header=BB8_728 Depth=2
	v_lshlrev_b32_e32 v4, 6, v15
	v_accvgpr_read_b32 v5, a31
	v_sub_u32_e32 v4, v5, v4
	v_ashrrev_i32_e32 v5, 31, v4
	v_lshrrev_b32_e32 v5, 26, v5
	v_add_u32_e32 v5, v4, v5
	v_sub_u32_e32 v0, v17, v14
	v_ashrrev_i32_e32 v6, 6, v5
	v_and_b32_e32 v5, 0xffffffc0, v5
	v_sub_u32_e32 v15, v4, v5
	v_ashrrev_i32_e32 v5, 31, v0
	v_lshrrev_b32_e32 v5, 22, v5
	v_add_u32_e32 v5, v0, v5
	v_and_b32_e32 v19, 0xfffffc00, v5
	v_lshlrev_b32_e32 v4, 4, v15
	v_sub_u32_e32 v30, v0, v19
	v_lshl_add_u32 v10, v6, 10, v4
	v_ashrrev_i32_e32 v7, 10, v5
	v_cmp_lt_i32_e32 vcc, 15, v30
	v_sub_u32_e32 v4, v0, v10
	s_nop 0
	v_addc_co_u32_e64 v0, s[24:25], 0, v7, vcc
	v_sub_u32_e32 v25, v0, v6
	v_cmp_lt_i32_e64 s[24:25], 15, v4
	s_and_saveexec_b64 s[28:29], s[24:25]
	s_cbranch_execz .LBB8_908
; %bb.905:                              ;   in Loop: Header=BB8_728 Depth=2
	s_trap 2
	ds_read_b64 v[8:9], v0
	v_add_u32_e32 v10, v10, v14
	v_ashrrev_i32_e32 v11, 31, v10
	s_mov_b64 s[56:57], 0
.LBB8_906:                              ;   Parent Loop BB8_47 Depth=1
                                        ;     Parent Loop BB8_728 Depth=2
                                        ; =>    This Inner Loop Header: Depth=3
	s_waitcnt lgkmcnt(0)
	v_lshl_add_u64 v[36:37], v[8:9], 0, v[10:11]
	global_load_dwordx4 v[26:29], v[36:37], off nt
	v_sub_u32_e32 v4, v4, v53
	v_cmp_gt_i32_e64 s[24:25], 16, v4
	v_sub_u32_e32 v25, v25, v34
	v_lshl_add_u64 v[10:11], v[10:11], 0, v[40:41]
	s_or_b64 s[56:57], s[24:25], s[56:57]
	s_waitcnt vmcnt(0)
	global_store_dwordx4 v[36:37], v[26:29], off nt
	s_andn2_b64 exec, exec, s[56:57]
	s_cbranch_execnz .LBB8_906
; %bb.907:                              ;   in Loop: Header=BB8_728 Depth=2
	s_or_b64 exec, exec, s[56:57]
	v_accvgpr_read_b32 v37, a29
	v_accvgpr_read_b32 v28, a34
	;; [unrolled: 1-line block ×6, first 2 shown]
.LBB8_908:                              ;   in Loop: Header=BB8_728 Depth=2
	s_or_b64 exec, exec, s[28:29]
	v_and_b32_e32 v8, 14, v17
	v_cndmask_b32_e32 v17, v30, v8, vcc
	s_mov_b64 s[28:29], 0
	v_mov_b32_e32 v18, 0
	v_cmp_ne_u32_e64 s[24:25], 0, v17
                                        ; implicit-def: $vgpr4
                                        ; implicit-def: $vgpr10
	s_mov_b64 s[56:57], exec
	v_accvgpr_read_b32 v6, a32
	s_and_b64 s[24:25], s[56:57], s[24:25]
	v_accvgpr_read_b32 v7, a33
	s_mov_b64 exec, s[24:25]
	s_cbranch_execz .LBB8_910
; %bb.909:                              ;   in Loop: Header=BB8_728 Depth=2
	v_sub_u32_e32 v0, v30, v8
	v_cndmask_b32_e32 v0, 0, v0, vcc
	v_cmp_lt_i32_e32 vcc, 0, v25
	v_add3_u32 v18, v19, v14, v0
	s_mov_b64 s[28:29], exec
	v_cndmask_b32_e32 v0, 0, v34, vcc
	v_sub_u32_e32 v0, v0, v25
	v_lshl_add_u32 v4, v0, 6, v15
	v_ashrrev_i32_e32 v0, 31, v4
	v_lshrrev_b32_e32 v0, 26, v0
	v_add_u32_e32 v0, v4, v0
	v_ashrrev_i32_e32 v10, 6, v0
.LBB8_910:                              ;   in Loop: Header=BB8_728 Depth=2
	s_or_b64 exec, exec, s[56:57]
	s_and_b64 s[28:29], s[28:29], exec
.LBB8_911:                              ;   in Loop: Header=BB8_728 Depth=2
	s_or_b64 exec, exec, s[26:27]
	s_and_saveexec_b64 s[24:25], s[28:29]
	s_cbranch_execz .LBB8_920
.LBB8_912:                              ;   in Loop: Header=BB8_728 Depth=2
	v_ashrrev_i32_e32 v0, 31, v17
	v_lshrrev_b32_e32 v0, 22, v0
	v_add_u32_e32 v0, v17, v0
	v_ashrrev_i32_e32 v25, 10, v0
	v_sub_u32_e32 v19, v25, v10
	v_cmp_lt_i32_e32 vcc, 0, v19
	s_and_saveexec_b64 s[26:27], vcc
	s_cbranch_execz .LBB8_916
; %bb.913:                              ;   in Loop: Header=BB8_728 Depth=2
	s_trap 2
	ds_read_b64 v[8:9], v0
	v_ashrrev_i32_e32 v0, 31, v4
	v_lshrrev_b32_e32 v0, 26, v0
	v_add_u32_e32 v0, v4, v0
	v_and_b32_e32 v0, 0x7fffffc0, v0
	v_sub_u32_e32 v0, v4, v0
	v_lshlrev_b32_e32 v0, 1, v0
	v_lshlrev_b32_e32 v5, 10, v10
	v_add3_u32 v10, v0, v18, v5
	v_ashrrev_i32_e32 v11, 31, v10
	s_mov_b64 s[28:29], 0
	s_waitcnt lgkmcnt(0)
	v_mov_b64_e32 v[14:15], v[8:9]
.LBB8_914:                              ;   Parent Loop BB8_47 Depth=1
                                        ;     Parent Loop BB8_728 Depth=2
                                        ; =>    This Inner Loop Header: Depth=3
	v_lshl_add_u64 v[26:27], v[10:11], 0, v[14:15]
	flat_load_ushort v0, v[26:27] nt
	flat_load_ushort v5, v[26:27] offset:128 nt
	flat_load_ushort v6, v[26:27] offset:256 nt
	;; [unrolled: 1-line block ×7, first 2 shown]
	v_sub_u32_e32 v19, v19, v34
	v_cmp_gt_i32_e32 vcc, 1, v19
	v_lshl_add_u64 v[26:27], v[10:11], 0, v[8:9]
	v_lshl_add_u64 v[14:15], v[14:15], 0, v[40:41]
	;; [unrolled: 1-line block ×3, first 2 shown]
	s_or_b64 s[28:29], vcc, s[28:29]
	s_waitcnt vmcnt(0) lgkmcnt(0)
	flat_store_short v[26:27], v0 nt
	flat_store_short v[26:27], v5 offset:128 nt
	flat_store_short v[26:27], v6 offset:256 nt
	flat_store_short v[26:27], v7 offset:384 nt
	flat_store_short v[26:27], v24 offset:512 nt
	flat_store_short v[26:27], v28 offset:640 nt
	flat_store_short v[26:27], v29 offset:768 nt
	flat_store_short v[26:27], v30 offset:896 nt
	s_andn2_b64 exec, exec, s[28:29]
	s_cbranch_execnz .LBB8_914
; %bb.915:                              ;   in Loop: Header=BB8_728 Depth=2
	s_or_b64 exec, exec, s[28:29]
	v_accvgpr_read_b32 v6, a32
	v_accvgpr_read_b32 v28, a34
	;; [unrolled: 1-line block ×6, first 2 shown]
.LBB8_916:                              ;   in Loop: Header=BB8_728 Depth=2
	s_or_b64 exec, exec, s[26:27]
	v_lshlrev_b32_e32 v8, 10, v25
	v_cmp_ne_u32_e32 vcc, v17, v8
	s_and_b64 exec, exec, vcc
	s_cbranch_execz .LBB8_920
; %bb.917:                              ;   in Loop: Header=BB8_728 Depth=2
	v_ashrrev_i32_e32 v0, 31, v4
	v_lshrrev_b32_e32 v0, 26, v0
	v_add_u32_e32 v0, v4, v0
	v_and_b32_e32 v0, 0xffffffc0, v0
	v_sub_u32_e32 v0, v4, v0
	v_lshlrev_b32_e32 v4, 6, v19
	v_sub_u32_e32 v0, v0, v4
	v_ashrrev_i32_e32 v4, 31, v0
	v_lshrrev_b32_e32 v4, 26, v4
	v_add_u32_e32 v4, v0, v4
	v_and_b32_e32 v5, 0x7fffffc0, v4
	v_sub_u32_e32 v0, v0, v5
	v_lshlrev_b32_e32 v4, 1, v4
	v_and_b32_e32 v4, 0xffffff80, v4
	v_lshlrev_b32_e32 v0, 1, v0
	v_add3_u32 v10, v4, v0, v8
	v_sub_u32_e32 v4, v17, v10
	v_cmp_lt_i32_e32 vcc, 1, v4
	s_and_b64 exec, exec, vcc
	s_cbranch_execz .LBB8_920
; %bb.918:                              ;   in Loop: Header=BB8_728 Depth=2
	s_trap 2
	ds_read_b64 v[8:9], v0
	v_add_u32_e32 v10, v10, v18
	v_ashrrev_i32_e32 v11, 31, v10
	s_mov_b64 s[26:27], 0
.LBB8_919:                              ;   Parent Loop BB8_47 Depth=1
                                        ;     Parent Loop BB8_728 Depth=2
                                        ; =>    This Inner Loop Header: Depth=3
	s_waitcnt lgkmcnt(0)
	v_lshl_add_u64 v[14:15], v[8:9], 0, v[10:11]
	flat_load_ushort v0, v[14:15] nt
	v_sub_u32_e32 v4, v4, v59
	v_cmp_gt_i32_e32 vcc, 2, v4
	v_lshl_add_u64 v[10:11], v[10:11], 0, v[28:29]
	s_or_b64 s[26:27], vcc, s[26:27]
	s_waitcnt vmcnt(0) lgkmcnt(0)
	flat_store_short v[14:15], v0 nt
	s_andn2_b64 exec, exec, s[26:27]
	s_cbranch_execnz .LBB8_919
.LBB8_920:                              ;   in Loop: Header=BB8_728 Depth=2
	s_or_b64 exec, exec, s[24:25]
.LBB8_921:                              ;   in Loop: Header=BB8_728 Depth=2
	v_cmp_lt_i32_e64 s[24:25], 0, v2
	s_and_saveexec_b64 s[26:27], s[6:7]
	s_cbranch_execz .LBB8_862
.LBB8_922:                              ;   in Loop: Header=BB8_728 Depth=2
	s_and_saveexec_b64 s[28:29], s[40:41]
	s_xor_b64 s[28:29], exec, s[28:29]
	s_cbranch_execz .LBB8_949
; %bb.923:                              ;   in Loop: Header=BB8_728 Depth=2
	s_and_saveexec_b64 s[56:57], s[14:15]
	s_cbranch_execz .LBB8_948
; %bb.924:                              ;   in Loop: Header=BB8_728 Depth=2
	s_mov_b64 s[60:61], exec
	v_mbcnt_lo_u32_b32 v0, s60, 0
	v_mbcnt_hi_u32_b32 v0, s61, v0
	v_cmp_eq_u32_e32 vcc, 0, v0
	s_waitcnt lgkmcnt(0)
	s_and_saveexec_b64 s[58:59], vcc
	s_cbranch_execz .LBB8_926
; %bb.925:                              ;   in Loop: Header=BB8_728 Depth=2
	s_bcnt1_i32_b64 vcc_lo, s[60:61]
	v_mov_b32_e32 v2, vcc_lo
	ds_add_u64 v0, v[2:3]
	s_trap 2
.LBB8_926:                              ;   in Loop: Header=BB8_728 Depth=2
	s_or_b64 exec, exec, s[58:59]
	s_trap 2
	ds_read_b64 v[8:9], v0
	v_lshl_add_u64 v[12:13], v[12:13], 0, v[34:35]
	s_waitcnt lgkmcnt(0)
	v_cmp_lt_u64_e32 vcc, v[8:9], v[12:13]
	s_and_saveexec_b64 s[58:59], vcc
	s_cbranch_execz .LBB8_947
; %bb.927:                              ;   in Loop: Header=BB8_728 Depth=2
	s_mov_b32 s71, 0
	s_mov_b64 s[60:61], 0
                                        ; implicit-def: $sgpr62_sgpr63
                                        ; implicit-def: $sgpr64_sgpr65
	s_branch .LBB8_929
.LBB8_928:                              ;   in Loop: Header=BB8_929 Depth=3
	s_or_b64 exec, exec, s[68:69]
	s_and_b64 vcc, exec, vcc
	s_or_b64 s[60:61], vcc, s[60:61]
	s_andn2_b64 vcc, s[62:63], exec
	s_and_b64 s[62:63], s[64:65], exec
	s_or_b64 s[62:63], vcc, s[62:63]
	s_andn2_b64 exec, exec, s[60:61]
	s_cbranch_execz .LBB8_945
.LBB8_929:                              ;   Parent Loop BB8_47 Depth=1
                                        ;     Parent Loop BB8_728 Depth=2
                                        ; =>    This Inner Loop Header: Depth=3
	s_add_i32 s71, s71, 1
	s_cmpk_lg_i32 s71, 0x2710
	s_cselect_b64 s[66:67], -1, 0
	s_and_b64 vcc, exec, s[66:67]
                                        ; implicit-def: $sgpr68_sgpr69
	s_cbranch_vccnz .LBB8_931
; %bb.930:                              ;   in Loop: Header=BB8_929 Depth=3
	s_trap 2
	ds_read_b64 v[8:9], v0
	s_andn2_b64 s[66:67], s[66:67], exec
	s_mov_b32 s71, 0
	s_mov_b64 s[68:69], -1
	s_waitcnt vmcnt(0) lgkmcnt(0)
	flat_load_dword v0, v[8:9] sc0 sc1
	s_waitcnt vmcnt(0) lgkmcnt(0)
	buffer_inv sc0 sc1
	v_cmp_eq_u32_e32 vcc, 0, v0
	s_and_b64 vcc, vcc, exec
	s_or_b64 s[66:67], s[66:67], vcc
.LBB8_931:                              ;   in Loop: Header=BB8_929 Depth=3
	s_andn2_b64 s[64:65], s[64:65], exec
	s_and_b64 s[68:69], s[68:69], exec
	s_mov_b64 vcc, -1
	s_or_b64 s[64:65], s[64:65], s[68:69]
	s_and_saveexec_b64 s[68:69], s[66:67]
	s_cbranch_execz .LBB8_928
; %bb.932:                              ;   in Loop: Header=BB8_929 Depth=3
	s_sleep 1
	s_trap 2
	ds_read_b64 v[8:9], v0
	s_andn2_b64 s[64:65], s[64:65], exec
	s_waitcnt lgkmcnt(0)
	v_cmp_ge_u64_e32 vcc, v[8:9], v[12:13]
	s_orn2_b64 vcc, vcc, exec
	s_branch .LBB8_928
.LBB8_933:                              ;   in Loop: Header=BB8_728 Depth=2
	s_or_b64 exec, exec, s[56:57]
	s_and_saveexec_b64 vcc, s[58:59]
	s_xor_b64 vcc, exec, vcc
	s_cbranch_execz .LBB8_935
; %bb.934:                              ;   in Loop: Header=BB8_728 Depth=2
	ds_write_b32 v0, v42
	s_trap 2
.LBB8_935:                              ;   in Loop: Header=BB8_728 Depth=2
	s_or_b64 exec, exec, s[54:55]
	;;#ASMSTART
	s_wakeup
	;;#ASMEND
.LBB8_936:                              ;   in Loop: Header=BB8_728 Depth=2
	s_or_b64 exec, exec, s[30:31]
.LBB8_937:                              ;   in Loop: Header=BB8_728 Depth=2
	s_andn2_saveexec_b64 s[28:29], s[28:29]
	s_cbranch_execz .LBB8_939
; %bb.938:                              ;   in Loop: Header=BB8_728 Depth=2
	;;#ASMSTART
	s_waitcnt lgkmcnt(0) vmcnt(0)
	;;#ASMEND
	s_barrier
.LBB8_939:                              ;   in Loop: Header=BB8_728 Depth=2
	s_or_b64 exec, exec, s[28:29]
	v_and_b32_e32 v1, 16, v62
.LBB8_940:                              ;   in Loop: Header=BB8_728 Depth=2
	s_or_b64 exec, exec, s[24:25]
	v_cmp_ne_u32_e32 vcc, 0, v1
	s_xor_b64 s[24:25], s[10:11], -1
	s_and_b64 s[28:29], vcc, s[24:25]
	s_and_saveexec_b64 s[24:25], s[28:29]
	s_cbranch_execz .LBB8_942
; %bb.941:                              ;   in Loop: Header=BB8_728 Depth=2
	flat_store_dword v[50:51], v42 sc0 sc1
.LBB8_942:                              ;   in Loop: Header=BB8_728 Depth=2
	s_or_b64 exec, exec, s[24:25]
	v_and_b32_e32 v0, 48, v62
	v_cmp_ne_u32_e32 vcc, 0, v0
	s_and_saveexec_b64 s[24:25], vcc
	s_cbranch_execz .LBB8_944
; %bb.943:                              ;   in Loop: Header=BB8_728 Depth=2
	v_lshl_add_u64 v[20:21], v[20:21], 0, 4
	flat_store_dwordx2 v[22:23], v[20:21] sc0 sc1
.LBB8_944:                              ;   in Loop: Header=BB8_728 Depth=2
	s_or_b64 exec, exec, s[24:25]
	s_or_b64 exec, exec, s[26:27]
	s_add_i32 s24, s70, 1
	s_cmp_eq_u32 s70, s80
	s_cbranch_scc0 .LBB8_977
	s_branch .LBB8_978
.LBB8_945:                              ;   in Loop: Header=BB8_728 Depth=2
	s_or_b64 exec, exec, s[60:61]
	s_and_saveexec_b64 vcc, s[62:63]
	s_xor_b64 vcc, exec, vcc
	s_cbranch_execz .LBB8_947
; %bb.946:                              ;   in Loop: Header=BB8_728 Depth=2
	ds_write_b32 v0, v42
	s_trap 2
.LBB8_947:                              ;   in Loop: Header=BB8_728 Depth=2
	s_or_b64 exec, exec, s[58:59]
	;;#ASMSTART
	s_wakeup
	;;#ASMEND
.LBB8_948:                              ;   in Loop: Header=BB8_728 Depth=2
	s_or_b64 exec, exec, s[56:57]
.LBB8_949:                              ;   in Loop: Header=BB8_728 Depth=2
	s_andn2_saveexec_b64 s[28:29], s[28:29]
	s_cbranch_execz .LBB8_951
; %bb.950:                              ;   in Loop: Header=BB8_728 Depth=2
	s_waitcnt lgkmcnt(0)
	s_barrier
.LBB8_951:                              ;   in Loop: Header=BB8_728 Depth=2
	s_or_b64 exec, exec, s[28:29]
	s_or_b64 exec, exec, s[26:27]
                                        ; implicit-def: $vgpr2
	s_and_saveexec_b64 s[26:27], s[22:23]
	s_xor_b64 s[26:27], exec, s[26:27]
	s_cbranch_execnz .LBB8_863
.LBB8_952:                              ;   in Loop: Header=BB8_728 Depth=2
	s_andn2_saveexec_b64 s[24:25], s[26:27]
	s_cbranch_execz .LBB8_971
.LBB8_953:                              ;   in Loop: Header=BB8_728 Depth=2
	s_and_saveexec_b64 s[26:27], s[40:41]
	s_xor_b64 s[26:27], exec, s[26:27]
	s_cbranch_execz .LBB8_968
; %bb.954:                              ;   in Loop: Header=BB8_728 Depth=2
	s_and_saveexec_b64 s[28:29], s[14:15]
	s_cbranch_execz .LBB8_967
; %bb.955:                              ;   in Loop: Header=BB8_728 Depth=2
	s_mov_b64 s[58:59], exec
	v_mbcnt_lo_u32_b32 v0, s58, 0
	v_mbcnt_hi_u32_b32 v0, s59, v0
	v_cmp_eq_u32_e32 vcc, 0, v0
	;;#ASMSTART
	s_waitcnt lgkmcnt(0) vmcnt(0)
	;;#ASMEND
	s_and_saveexec_b64 s[56:57], vcc
	s_cbranch_execz .LBB8_957
; %bb.956:                              ;   in Loop: Header=BB8_728 Depth=2
	s_bcnt1_i32_b64 vcc_lo, s[58:59]
	v_mov_b32_e32 v2, vcc_lo
	ds_add_u64 v0, v[2:3]
	s_trap 2
.LBB8_957:                              ;   in Loop: Header=BB8_728 Depth=2
	s_or_b64 exec, exec, s[56:57]
	s_trap 2
	ds_read_b64 v[8:9], v0
	v_lshl_add_u64 v[12:13], v[12:13], 0, v[34:35]
	s_waitcnt lgkmcnt(0)
	v_cmp_lt_u64_e32 vcc, v[8:9], v[12:13]
	s_and_saveexec_b64 s[56:57], vcc
	s_cbranch_execz .LBB8_966
; %bb.958:                              ;   in Loop: Header=BB8_728 Depth=2
	s_mov_b32 s68, 0
	s_mov_b64 s[58:59], 0
                                        ; implicit-def: $sgpr60_sgpr61
                                        ; implicit-def: $sgpr62_sgpr63
	s_branch .LBB8_960
.LBB8_959:                              ;   in Loop: Header=BB8_960 Depth=3
	s_or_b64 exec, exec, s[66:67]
	s_and_b64 vcc, exec, vcc
	s_or_b64 s[58:59], vcc, s[58:59]
	s_andn2_b64 vcc, s[60:61], exec
	s_and_b64 s[60:61], s[62:63], exec
	s_or_b64 s[60:61], vcc, s[60:61]
	s_andn2_b64 exec, exec, s[58:59]
	s_cbranch_execz .LBB8_964
.LBB8_960:                              ;   Parent Loop BB8_47 Depth=1
                                        ;     Parent Loop BB8_728 Depth=2
                                        ; =>    This Inner Loop Header: Depth=3
	s_add_i32 s68, s68, 1
	s_cmpk_lg_i32 s68, 0x2710
	s_cselect_b64 s[64:65], -1, 0
	s_and_b64 vcc, exec, s[64:65]
                                        ; implicit-def: $sgpr66_sgpr67
	s_cbranch_vccnz .LBB8_962
; %bb.961:                              ;   in Loop: Header=BB8_960 Depth=3
	s_trap 2
	ds_read_b64 v[8:9], v0
	s_andn2_b64 s[64:65], s[64:65], exec
	s_mov_b32 s68, 0
	s_mov_b64 s[66:67], -1
	s_waitcnt vmcnt(0) lgkmcnt(0)
	flat_load_dword v0, v[8:9] sc0 sc1
	s_waitcnt vmcnt(0) lgkmcnt(0)
	buffer_inv sc0 sc1
	v_cmp_eq_u32_e32 vcc, 0, v0
	s_and_b64 vcc, vcc, exec
	s_or_b64 s[64:65], s[64:65], vcc
.LBB8_962:                              ;   in Loop: Header=BB8_960 Depth=3
	s_andn2_b64 s[62:63], s[62:63], exec
	s_and_b64 s[66:67], s[66:67], exec
	s_mov_b64 vcc, -1
	s_or_b64 s[62:63], s[62:63], s[66:67]
	s_and_saveexec_b64 s[66:67], s[64:65]
	s_cbranch_execz .LBB8_959
; %bb.963:                              ;   in Loop: Header=BB8_960 Depth=3
	s_sleep 1
	s_trap 2
	ds_read_b64 v[8:9], v0
	s_andn2_b64 s[62:63], s[62:63], exec
	s_waitcnt lgkmcnt(0)
	v_cmp_ge_u64_e32 vcc, v[8:9], v[12:13]
	s_orn2_b64 vcc, vcc, exec
	s_branch .LBB8_959
.LBB8_964:                              ;   in Loop: Header=BB8_728 Depth=2
	s_or_b64 exec, exec, s[58:59]
	s_and_saveexec_b64 vcc, s[60:61]
	s_xor_b64 vcc, exec, vcc
	s_cbranch_execz .LBB8_966
; %bb.965:                              ;   in Loop: Header=BB8_728 Depth=2
	ds_write_b32 v0, v42
	s_trap 2
.LBB8_966:                              ;   in Loop: Header=BB8_728 Depth=2
	s_or_b64 exec, exec, s[56:57]
	;;#ASMSTART
	s_wakeup
	;;#ASMEND
.LBB8_967:                              ;   in Loop: Header=BB8_728 Depth=2
	s_or_b64 exec, exec, s[28:29]
.LBB8_968:                              ;   in Loop: Header=BB8_728 Depth=2
	s_andn2_saveexec_b64 s[26:27], s[26:27]
	s_cbranch_execz .LBB8_970
; %bb.969:                              ;   in Loop: Header=BB8_728 Depth=2
	;;#ASMSTART
	s_waitcnt lgkmcnt(0) vmcnt(0)
	;;#ASMEND
	s_barrier
.LBB8_970:                              ;   in Loop: Header=BB8_728 Depth=2
	s_or_b64 exec, exec, s[26:27]
	v_and_b32_e32 v2, 16, v62
.LBB8_971:                              ;   in Loop: Header=BB8_728 Depth=2
	s_or_b64 exec, exec, s[24:25]
	v_cmp_ne_u32_e32 vcc, 0, v2
	s_xor_b64 s[24:25], s[10:11], -1
	s_and_b64 s[26:27], vcc, s[24:25]
	s_and_saveexec_b64 s[24:25], s[26:27]
	s_cbranch_execz .LBB8_973
; %bb.972:                              ;   in Loop: Header=BB8_728 Depth=2
	flat_store_dword v[50:51], v42 sc0 sc1
.LBB8_973:                              ;   in Loop: Header=BB8_728 Depth=2
	s_or_b64 exec, exec, s[24:25]
	v_and_b32_e32 v0, 48, v62
	v_cmp_ne_u32_e32 vcc, 0, v0
	s_and_saveexec_b64 s[24:25], vcc
	s_cbranch_execz .LBB8_975
; %bb.974:                              ;   in Loop: Header=BB8_728 Depth=2
	v_lshl_add_u64 v[20:21], v[20:21], 0, 4
	flat_store_dwordx2 v[22:23], v[20:21] sc0 sc1
.LBB8_975:                              ;   in Loop: Header=BB8_728 Depth=2
	s_or_b64 exec, exec, s[24:25]
	v_mov_b32_e32 v10, v16
	s_or_b64 exec, exec, s[54:55]
	s_and_saveexec_b64 s[26:27], s[30:31]
	s_cbranch_execnz .LBB8_735
.LBB8_976:                              ;   in Loop: Header=BB8_728 Depth=2
	s_or_b64 exec, exec, s[26:27]
	s_add_i32 s24, s70, 1
	s_cmp_eq_u32 s70, s80
	s_cbranch_scc1 .LBB8_978
.LBB8_977:                              ;   in Loop: Header=BB8_728 Depth=2
	s_mov_b32 s70, s24
	s_branch .LBB8_728
.LBB8_978:                              ;   in Loop: Header=BB8_47 Depth=1
	v_mul_lo_u32 v0, v57, s81
	v_mul_lo_u32 v1, v56, s82
	v_mad_u64_u32 v[8:9], s[24:25], v56, s81, 0
	v_add3_u32 v9, v9, v1, v0
	v_sub_co_u32_e32 v10, vcc, v26, v8
	v_mov_b32_e32 v14, 0
	s_nop 0
	v_subb_co_u32_e32 v11, vcc, v27, v9, vcc
	v_cmp_lt_i64_e32 vcc, v[56:57], v[10:11]
	s_nop 1
	v_cndmask_b32_e32 v0, v10, v56, vcc
	v_max_i32_e32 v1, 0, v0
	v_add_u32_e32 v2, 15, v1
	v_ashrrev_i32_e32 v4, 31, v2
	v_lshrrev_b32_e32 v4, 28, v4
	v_add_u32_e32 v2, v2, v4
	v_cmp_gt_i32_e32 vcc, 1, v0
	v_and_b32_e32 v2, -16, v2
	s_or_b64 s[26:27], s[2:3], vcc
	v_max_i32_e32 v16, s79, v2
	s_xor_b64 s[24:25], s[26:27], -1
	s_and_saveexec_b64 s[28:29], s[24:25]
	s_cbranch_execz .LBB8_1115
; %bb.979:                              ;   in Loop: Header=BB8_47 Depth=1
	s_and_saveexec_b64 s[24:25], s[0:1]
	s_cbranch_execz .LBB8_981
; %bb.980:                              ;   in Loop: Header=BB8_47 Depth=1
	s_trap 2
	ds_read_b128 v[24:27], v0
	v_accvgpr_read_b32 v4, a44
	v_accvgpr_read_b32 v5, a45
	v_lshl_add_u64 v[8:9], v[8:9], 0, v[4:5]
	v_lshlrev_b64 v[8:9], 1, v[8:9]
	s_waitcnt lgkmcnt(0)
	v_lshl_add_u64 v[10:11], v[24:25], 0, v[8:9]
	v_lshl_add_u64 v[8:9], v[26:27], 0, v[8:9]
	v_cmp_ne_u64_e32 vcc, 0, v[26:27]
	ds_write_b64 v0, v[10:11]
	s_nop 0
	v_cndmask_b32_e32 v9, 0, v9, vcc
	v_cndmask_b32_e32 v8, 0, v8, vcc
	ds_write_b64 v0, v[8:9]
.LBB8_981:                              ;   in Loop: Header=BB8_47 Depth=1
	s_or_b64 exec, exec, s[24:25]
	v_and_b32_e32 v0, 4, v62
	v_cmp_ne_u32_e32 vcc, 0, v0
	s_mov_b64 s[30:31], -1
	s_and_saveexec_b64 s[24:25], vcc
	s_cbranch_execz .LBB8_991
; %bb.982:                              ;   in Loop: Header=BB8_47 Depth=1
	v_lshl_add_u64 v[8:9], v[20:21], 0, 4
	v_cmp_lt_u64_e32 vcc, v[32:33], v[8:9]
	v_mov_b32_e32 v2, 1
	s_and_saveexec_b64 s[30:31], vcc
	s_cbranch_execz .LBB8_1002
; %bb.983:                              ;   in Loop: Header=BB8_47 Depth=1
	s_mov_b64 s[54:55], 0
	v_mov_b32_e32 v2, 0
                                        ; implicit-def: $sgpr56_sgpr57
	s_branch .LBB8_987
.LBB8_984:                              ;   in Loop: Header=BB8_987 Depth=2
	s_or_b64 exec, exec, s[64:65]
	v_mov_b32_e32 v4, 0
	s_orn2_b64 s[62:63], s[62:63], exec
.LBB8_985:                              ;   in Loop: Header=BB8_987 Depth=2
	s_or_b64 exec, exec, s[60:61]
	s_andn2_b64 vcc, s[56:57], exec
	s_and_b64 s[56:57], s[62:63], exec
	s_or_b64 s[56:57], vcc, s[56:57]
	v_mov_b32_e32 v2, v4
.LBB8_986:                              ;   in Loop: Header=BB8_987 Depth=2
	s_or_b64 exec, exec, s[58:59]
	s_waitcnt vmcnt(0) lgkmcnt(0)
	v_cmp_ge_u64_e32 vcc, v[32:33], v[8:9]
	s_xor_b64 s[58:59], s[56:57], -1
	s_or_b64 vcc, s[58:59], vcc
	s_and_b64 vcc, exec, vcc
	s_or_b64 s[54:55], vcc, s[54:55]
	s_andn2_b64 exec, exec, s[54:55]
	s_cbranch_execz .LBB8_1001
.LBB8_987:                              ;   Parent Loop BB8_47 Depth=1
                                        ; =>  This Inner Loop Header: Depth=2
	s_sleep 1
	flat_load_dwordx2 v[32:33], v[22:23] sc0 sc1
	v_and_b32_e32 v0, 64, v62
	v_cmp_eq_u32_e32 vcc, 0, v0
	s_andn2_b64 s[56:57], s[56:57], exec
	s_and_saveexec_b64 s[58:59], vcc
	s_cbranch_execz .LBB8_986
; %bb.988:                              ;   in Loop: Header=BB8_987 Depth=2
	v_add_u32_e32 v4, 1, v2
	v_cmp_lt_i32_e32 vcc, s75, v2
	s_mov_b64 s[62:63], -1
	s_and_saveexec_b64 s[60:61], vcc
	s_cbranch_execz .LBB8_985
; %bb.989:                              ;   in Loop: Header=BB8_987 Depth=2
	s_trap 2
	ds_read_b64 v[10:11], v0
	s_waitcnt vmcnt(0) lgkmcnt(0)
	flat_load_dword v2, v[10:11] sc0 sc1
	s_waitcnt vmcnt(0) lgkmcnt(0)
	buffer_inv sc0 sc1
	v_cmp_ne_u32_e32 vcc, 0, v2
	s_and_saveexec_b64 s[64:65], vcc
	s_cbranch_execz .LBB8_984
; %bb.990:                              ;   in Loop: Header=BB8_987 Depth=2
	v_or_b32_e32 v62, 64, v62
	s_xor_b64 s[62:63], exec, -1
	ds_write_b32 v0, v2
	s_trap 2
	s_branch .LBB8_984
.LBB8_991:                              ;   in Loop: Header=BB8_47 Depth=1
	s_or_b64 exec, exec, s[24:25]
	s_xor_b64 s[24:25], s[30:31], -1
	s_and_saveexec_b64 s[30:31], s[24:25]
	s_cbranch_execz .LBB8_1003
.LBB8_992:                              ;   in Loop: Header=BB8_47 Depth=1
	v_and_b32_e32 v0, 0x100, v62
	v_cmp_ne_u32_e32 vcc, 0, v0
	v_and_b32_e32 v2, 7, v20
	s_mov_b64 s[24:25], -1
                                        ; implicit-def: $vgpr8_vgpr9
	s_and_saveexec_b64 s[54:55], vcc
	s_cbranch_execz .LBB8_996
; %bb.993:                              ;   in Loop: Header=BB8_47 Depth=1
	v_mad_u64_u32 v[10:11], s[24:25], v2, 24, v[44:45]
	flat_load_dword v0, v[10:11]
                                        ; implicit-def: $vgpr8_vgpr9
	s_waitcnt vmcnt(0) lgkmcnt(0)
	v_cmp_ne_u32_e32 vcc, 1, v0
	v_cmp_eq_u32_e64 s[24:25], 1, v0
	s_and_saveexec_b64 s[56:57], s[24:25]
	s_cbranch_execz .LBB8_995
; %bb.994:                              ;   in Loop: Header=BB8_47 Depth=1
	flat_load_dword v8, v[10:11] offset:4 sc0 sc1
	s_waitcnt vmcnt(0) lgkmcnt(0)
	v_ashrrev_i32_e32 v9, 31, v8
	v_lshrrev_b64 v[8:9], 1, v[8:9]
.LBB8_995:                              ;   in Loop: Header=BB8_47 Depth=1
	s_or_b64 exec, exec, s[56:57]
	s_orn2_b64 s[24:25], vcc, exec
.LBB8_996:                              ;   in Loop: Header=BB8_47 Depth=1
	s_or_b64 exec, exec, s[54:55]
	s_and_saveexec_b64 vcc, s[24:25]
; %bb.997:                              ;   in Loop: Header=BB8_47 Depth=1
	v_mad_i64_i32 v[8:9], s[24:25], v2, v58, 0
; %bb.998:                              ;   in Loop: Header=BB8_47 Depth=1
	s_or_b64 exec, exec, vcc
	v_lshl_add_u64 v[8:9], v[8:9], 1, v[60:61]
	ds_write_b64 v0, v[8:9] offset:720
	v_and_b32_e32 v0, 0x2000, v62
	v_cmp_ne_u32_e32 vcc, 0, v0
	s_and_saveexec_b64 s[24:25], vcc
	s_cbranch_execz .LBB8_1000
; %bb.999:                              ;   in Loop: Header=BB8_47 Depth=1
	ds_read_b64 v[8:9], v0 offset:584
	s_waitcnt lgkmcnt(0)
	v_lshl_add_u64 v[8:9], v[8:9], 0, 1
	ds_write_b64 v0, v[8:9] offset:584
.LBB8_1000:                             ;   in Loop: Header=BB8_47 Depth=1
	s_or_b64 exec, exec, s[24:25]
	v_lshl_add_u64 v[20:21], v[20:21], 0, 4
	s_or_b64 exec, exec, s[30:31]
	s_and_saveexec_b64 s[24:25], s[6:7]
	s_cbranch_execz .LBB8_1022
	s_branch .LBB8_1004
.LBB8_1001:                             ;   in Loop: Header=BB8_47 Depth=1
	s_or_b64 exec, exec, s[54:55]
	v_and_b32_e32 v2, 4, v62
.LBB8_1002:                             ;   in Loop: Header=BB8_47 Depth=1
	s_or_b64 exec, exec, s[30:31]
	v_cmp_eq_u32_e32 vcc, 0, v2
	s_orn2_b64 s[30:31], vcc, exec
	;;#ASMSTART
	s_wakeup
	;;#ASMEND
	s_or_b64 exec, exec, s[24:25]
	s_xor_b64 s[24:25], s[30:31], -1
	s_and_saveexec_b64 s[30:31], s[24:25]
	s_cbranch_execnz .LBB8_992
.LBB8_1003:                             ;   in Loop: Header=BB8_47 Depth=1
	s_or_b64 exec, exec, s[30:31]
	s_and_saveexec_b64 s[24:25], s[6:7]
	s_cbranch_execz .LBB8_1022
.LBB8_1004:                             ;   in Loop: Header=BB8_47 Depth=1
	s_and_saveexec_b64 vcc, s[40:41]
	s_xor_b64 s[30:31], exec, vcc
	s_cbranch_execz .LBB8_1019
; %bb.1005:                             ;   in Loop: Header=BB8_47 Depth=1
	s_and_saveexec_b64 s[54:55], s[14:15]
	s_cbranch_execz .LBB8_1018
; %bb.1006:                             ;   in Loop: Header=BB8_47 Depth=1
	s_mov_b64 s[58:59], exec
	v_mbcnt_lo_u32_b32 v0, s58, 0
	v_mbcnt_hi_u32_b32 v0, s59, v0
	v_cmp_eq_u32_e32 vcc, 0, v0
	s_waitcnt lgkmcnt(0)
	s_and_saveexec_b64 s[56:57], vcc
	s_cbranch_execz .LBB8_1008
; %bb.1007:                             ;   in Loop: Header=BB8_47 Depth=1
	s_bcnt1_i32_b64 vcc_lo, s[58:59]
	v_mov_b32_e32 v2, vcc_lo
	ds_add_u64 v0, v[2:3]
	s_trap 2
.LBB8_1008:                             ;   in Loop: Header=BB8_47 Depth=1
	s_or_b64 exec, exec, s[56:57]
	s_trap 2
	ds_read_b64 v[8:9], v0
	v_lshl_add_u64 v[12:13], v[12:13], 0, v[34:35]
	s_waitcnt lgkmcnt(0)
	v_cmp_lt_u64_e32 vcc, v[8:9], v[12:13]
	s_and_saveexec_b64 s[56:57], vcc
	s_cbranch_execz .LBB8_1017
; %bb.1009:                             ;   in Loop: Header=BB8_47 Depth=1
	s_mov_b32 s68, 0
	s_mov_b64 s[58:59], 0
                                        ; implicit-def: $sgpr60_sgpr61
                                        ; implicit-def: $sgpr62_sgpr63
	s_branch .LBB8_1011
.LBB8_1010:                             ;   in Loop: Header=BB8_1011 Depth=2
	s_or_b64 exec, exec, s[66:67]
	s_and_b64 vcc, exec, vcc
	s_or_b64 s[58:59], vcc, s[58:59]
	s_andn2_b64 vcc, s[60:61], exec
	s_and_b64 s[60:61], s[62:63], exec
	s_or_b64 s[60:61], vcc, s[60:61]
	s_andn2_b64 exec, exec, s[58:59]
	s_cbranch_execz .LBB8_1015
.LBB8_1011:                             ;   Parent Loop BB8_47 Depth=1
                                        ; =>  This Inner Loop Header: Depth=2
	s_add_i32 s68, s68, 1
	s_cmpk_lg_i32 s68, 0x2710
	s_cselect_b64 s[64:65], -1, 0
	s_and_b64 vcc, exec, s[64:65]
                                        ; implicit-def: $sgpr66_sgpr67
	s_cbranch_vccnz .LBB8_1013
; %bb.1012:                             ;   in Loop: Header=BB8_1011 Depth=2
	s_trap 2
	ds_read_b64 v[8:9], v0
	s_andn2_b64 s[64:65], s[64:65], exec
	s_mov_b32 s68, 0
	s_mov_b64 s[66:67], -1
	s_waitcnt vmcnt(0) lgkmcnt(0)
	flat_load_dword v0, v[8:9] sc0 sc1
	s_waitcnt vmcnt(0) lgkmcnt(0)
	buffer_inv sc0 sc1
	v_cmp_eq_u32_e32 vcc, 0, v0
	s_and_b64 vcc, vcc, exec
	s_or_b64 s[64:65], s[64:65], vcc
.LBB8_1013:                             ;   in Loop: Header=BB8_1011 Depth=2
	s_andn2_b64 s[62:63], s[62:63], exec
	s_and_b64 s[66:67], s[66:67], exec
	s_mov_b64 vcc, -1
	s_or_b64 s[62:63], s[62:63], s[66:67]
	s_and_saveexec_b64 s[66:67], s[64:65]
	s_cbranch_execz .LBB8_1010
; %bb.1014:                             ;   in Loop: Header=BB8_1011 Depth=2
	s_sleep 1
	s_trap 2
	ds_read_b64 v[8:9], v0
	s_andn2_b64 s[62:63], s[62:63], exec
	s_waitcnt lgkmcnt(0)
	v_cmp_ge_u64_e32 vcc, v[8:9], v[12:13]
	s_orn2_b64 vcc, vcc, exec
	s_branch .LBB8_1010
.LBB8_1015:                             ;   in Loop: Header=BB8_47 Depth=1
	s_or_b64 exec, exec, s[58:59]
	s_and_saveexec_b64 vcc, s[60:61]
	s_xor_b64 vcc, exec, vcc
	s_cbranch_execz .LBB8_1017
; %bb.1016:                             ;   in Loop: Header=BB8_47 Depth=1
	ds_write_b32 v0, v42
	s_trap 2
.LBB8_1017:                             ;   in Loop: Header=BB8_47 Depth=1
	s_or_b64 exec, exec, s[56:57]
	;;#ASMSTART
	s_wakeup
	;;#ASMEND
.LBB8_1018:                             ;   in Loop: Header=BB8_47 Depth=1
	s_or_b64 exec, exec, s[54:55]
.LBB8_1019:                             ;   in Loop: Header=BB8_47 Depth=1
	s_andn2_saveexec_b64 vcc, s[30:31]
	s_cbranch_execz .LBB8_1021
; %bb.1020:                             ;   in Loop: Header=BB8_47 Depth=1
	s_waitcnt lgkmcnt(0)
	s_barrier
.LBB8_1021:                             ;   in Loop: Header=BB8_47 Depth=1
	s_or_b64 exec, exec, vcc
.LBB8_1022:                             ;   in Loop: Header=BB8_47 Depth=1
	s_or_b64 exec, exec, s[24:25]
	s_trap 2
	ds_read_b32 v8, v0
	v_and_b32_e32 v0, 0x4000, v62
	v_cmp_ne_u32_e32 vcc, 0, v0
	s_xor_b64 s[24:25], s[4:5], -1
	s_and_b64 vcc, s[24:25], vcc
	s_and_saveexec_b64 s[24:25], vcc
	s_cbranch_execz .LBB8_1041
; %bb.1023:                             ;   in Loop: Header=BB8_47 Depth=1
	s_and_saveexec_b64 vcc, s[40:41]
	s_xor_b64 s[30:31], exec, vcc
	s_cbranch_execz .LBB8_1038
; %bb.1024:                             ;   in Loop: Header=BB8_47 Depth=1
	s_and_saveexec_b64 s[54:55], s[14:15]
	s_cbranch_execz .LBB8_1037
; %bb.1025:                             ;   in Loop: Header=BB8_47 Depth=1
	s_mov_b64 s[58:59], exec
	v_mbcnt_lo_u32_b32 v0, s58, 0
	v_mbcnt_hi_u32_b32 v0, s59, v0
	v_cmp_eq_u32_e32 vcc, 0, v0
	s_waitcnt lgkmcnt(0)
	s_and_saveexec_b64 s[56:57], vcc
	s_cbranch_execz .LBB8_1027
; %bb.1026:                             ;   in Loop: Header=BB8_47 Depth=1
	s_bcnt1_i32_b64 vcc_lo, s[58:59]
	v_mov_b32_e32 v2, vcc_lo
	ds_add_u64 v0, v[2:3]
	s_trap 2
.LBB8_1027:                             ;   in Loop: Header=BB8_47 Depth=1
	s_or_b64 exec, exec, s[56:57]
	s_trap 2
	ds_read_b64 v[10:11], v0
	v_lshl_add_u64 v[12:13], v[12:13], 0, v[34:35]
	s_waitcnt lgkmcnt(0)
	v_cmp_lt_u64_e32 vcc, v[10:11], v[12:13]
	s_and_saveexec_b64 s[56:57], vcc
	s_cbranch_execz .LBB8_1036
; %bb.1028:                             ;   in Loop: Header=BB8_47 Depth=1
	s_mov_b32 s68, 0
	s_mov_b64 s[58:59], 0
                                        ; implicit-def: $sgpr60_sgpr61
                                        ; implicit-def: $sgpr62_sgpr63
	s_branch .LBB8_1030
.LBB8_1029:                             ;   in Loop: Header=BB8_1030 Depth=2
	s_or_b64 exec, exec, s[66:67]
	s_and_b64 vcc, exec, vcc
	s_or_b64 s[58:59], vcc, s[58:59]
	s_andn2_b64 vcc, s[60:61], exec
	s_and_b64 s[60:61], s[62:63], exec
	s_or_b64 s[60:61], vcc, s[60:61]
	s_andn2_b64 exec, exec, s[58:59]
	s_cbranch_execz .LBB8_1034
.LBB8_1030:                             ;   Parent Loop BB8_47 Depth=1
                                        ; =>  This Inner Loop Header: Depth=2
	s_add_i32 s68, s68, 1
	s_cmpk_lg_i32 s68, 0x2710
	s_cselect_b64 s[64:65], -1, 0
	s_and_b64 vcc, exec, s[64:65]
                                        ; implicit-def: $sgpr66_sgpr67
	s_cbranch_vccnz .LBB8_1032
; %bb.1031:                             ;   in Loop: Header=BB8_1030 Depth=2
	s_trap 2
	ds_read_b64 v[10:11], v0
	s_andn2_b64 s[64:65], s[64:65], exec
	s_mov_b32 s68, 0
	s_mov_b64 s[66:67], -1
	s_waitcnt vmcnt(0) lgkmcnt(0)
	flat_load_dword v0, v[10:11] sc0 sc1
	s_waitcnt vmcnt(0) lgkmcnt(0)
	buffer_inv sc0 sc1
	v_cmp_eq_u32_e32 vcc, 0, v0
	s_and_b64 vcc, vcc, exec
	s_or_b64 s[64:65], s[64:65], vcc
.LBB8_1032:                             ;   in Loop: Header=BB8_1030 Depth=2
	s_andn2_b64 s[62:63], s[62:63], exec
	s_and_b64 s[66:67], s[66:67], exec
	s_mov_b64 vcc, -1
	s_or_b64 s[62:63], s[62:63], s[66:67]
	s_and_saveexec_b64 s[66:67], s[64:65]
	s_cbranch_execz .LBB8_1029
; %bb.1033:                             ;   in Loop: Header=BB8_1030 Depth=2
	s_sleep 1
	s_trap 2
	ds_read_b64 v[10:11], v0
	s_andn2_b64 s[62:63], s[62:63], exec
	s_waitcnt lgkmcnt(0)
	v_cmp_ge_u64_e32 vcc, v[10:11], v[12:13]
	s_orn2_b64 vcc, vcc, exec
	s_branch .LBB8_1029
.LBB8_1034:                             ;   in Loop: Header=BB8_47 Depth=1
	s_or_b64 exec, exec, s[58:59]
	s_and_saveexec_b64 vcc, s[60:61]
	s_xor_b64 vcc, exec, vcc
	s_cbranch_execz .LBB8_1036
; %bb.1035:                             ;   in Loop: Header=BB8_47 Depth=1
	ds_write_b32 v0, v42
	s_trap 2
.LBB8_1036:                             ;   in Loop: Header=BB8_47 Depth=1
	s_or_b64 exec, exec, s[56:57]
	;;#ASMSTART
	s_wakeup
	;;#ASMEND
.LBB8_1037:                             ;   in Loop: Header=BB8_47 Depth=1
	s_or_b64 exec, exec, s[54:55]
.LBB8_1038:                             ;   in Loop: Header=BB8_47 Depth=1
	s_andn2_saveexec_b64 vcc, s[30:31]
	s_cbranch_execz .LBB8_1040
; %bb.1039:                             ;   in Loop: Header=BB8_47 Depth=1
	s_waitcnt lgkmcnt(0)
	s_barrier
.LBB8_1040:                             ;   in Loop: Header=BB8_47 Depth=1
	s_or_b64 exec, exec, vcc
.LBB8_1041:                             ;   in Loop: Header=BB8_47 Depth=1
	s_or_b64 exec, exec, s[24:25]
	s_trap 2
	ds_read_b64 v[10:11], v0
	v_min_i32_e32 v16, v16, v1
	s_waitcnt lgkmcnt(0)
	v_readfirstlane_b32 s24, v10
	v_readfirstlane_b32 s25, v11
	s_cmp_eq_u64 s[24:25], 0
	s_cselect_b64 s[24:25], -1, 0
	s_or_b64 vcc, s[24:25], s[24:25]
	s_mov_b64 s[24:25], 0
	s_and_b64 vcc, exec, vcc
	s_cbranch_vccnz .LBB8_1048
; %bb.1042:                             ;   in Loop: Header=BB8_47 Depth=1
	s_mov_b64 s[24:25], -1
	s_and_saveexec_b64 s[30:31], s[18:19]
	s_cbranch_execz .LBB8_1044
; %bb.1043:                             ;   in Loop: Header=BB8_47 Depth=1
	ds_read_b32 v0, v0 offset:720
	s_waitcnt lgkmcnt(0)
	v_and_b32_e32 v0, 15, v0
	v_cmp_eq_u32_e32 vcc, 0, v0
	s_orn2_b64 s[24:25], vcc, exec
.LBB8_1044:                             ;   in Loop: Header=BB8_47 Depth=1
	s_or_b64 exec, exec, s[30:31]
	s_and_saveexec_b64 s[30:31], s[16:17]
	s_cbranch_execz .LBB8_1046
; %bb.1045:                             ;   in Loop: Header=BB8_47 Depth=1
	ds_read_b32 v0, v0 offset:784
	s_waitcnt lgkmcnt(0)
	v_and_b32_e32 v0, 15, v0
	v_cmp_eq_u32_e32 vcc, 0, v0
	s_and_b64 vcc, s[24:25], vcc
	s_andn2_b64 s[24:25], s[24:25], exec
	s_and_b64 vcc, vcc, exec
	s_or_b64 s[24:25], s[24:25], vcc
.LBB8_1046:                             ;   in Loop: Header=BB8_47 Depth=1
	s_or_b64 exec, exec, s[30:31]
	v_cmp_eq_u32_e32 vcc, 0, v8
	s_xor_b64 s[24:25], s[24:25], -1
	v_cndmask_b32_e64 v0, 0, 1, s[24:25]
	v_cndmask_b32_e32 v2, 0, v16, vcc
	v_mov_b32_e32 v18, 0
	v_lshlrev_b32_e32 v17, 1, v2
	s_mov_b64 s[54:55], -1
	;;#ASMSTART
	;;#ASMEND
	s_nop 0
	v_cmp_ne_u32_e32 vcc, 0, v0
	s_cbranch_vccz .LBB8_1060
; %bb.1047:                             ;   in Loop: Header=BB8_47 Depth=1
	v_mov_b32_e32 v4, v52
	v_mov_b32_e32 v10, v47
	s_and_saveexec_b64 s[24:25], s[54:55]
	s_cbranch_execnz .LBB8_1073
	s_branch .LBB8_1081
.LBB8_1048:                             ;   in Loop: Header=BB8_47 Depth=1
	s_and_saveexec_b64 s[30:31], s[6:7]
	s_cbranch_execz .LBB8_1082
.LBB8_1049:                             ;   in Loop: Header=BB8_47 Depth=1
	s_and_saveexec_b64 vcc, s[40:41]
	s_xor_b64 s[54:55], exec, vcc
	s_cbranch_execz .LBB8_1090
; %bb.1050:                             ;   in Loop: Header=BB8_47 Depth=1
	s_and_saveexec_b64 s[56:57], s[14:15]
	s_cbranch_execz .LBB8_1089
; %bb.1051:                             ;   in Loop: Header=BB8_47 Depth=1
	s_mov_b64 s[60:61], exec
	v_mbcnt_lo_u32_b32 v0, s60, 0
	v_mbcnt_hi_u32_b32 v0, s61, v0
	v_cmp_eq_u32_e32 vcc, 0, v0
	s_waitcnt lgkmcnt(0)
	s_and_saveexec_b64 s[58:59], vcc
	s_cbranch_execz .LBB8_1053
; %bb.1052:                             ;   in Loop: Header=BB8_47 Depth=1
	s_bcnt1_i32_b64 vcc_lo, s[60:61]
	v_mov_b32_e32 v2, vcc_lo
	ds_add_u64 v0, v[2:3]
	s_trap 2
.LBB8_1053:                             ;   in Loop: Header=BB8_47 Depth=1
	s_or_b64 exec, exec, s[58:59]
	s_trap 2
	ds_read_b64 v[8:9], v0
	v_lshl_add_u64 v[12:13], v[12:13], 0, v[34:35]
	s_waitcnt lgkmcnt(0)
	v_cmp_lt_u64_e32 vcc, v[8:9], v[12:13]
	s_and_saveexec_b64 s[58:59], vcc
	s_cbranch_execz .LBB8_1088
; %bb.1054:                             ;   in Loop: Header=BB8_47 Depth=1
	s_mov_b32 s70, 0
	s_mov_b64 s[60:61], 0
                                        ; implicit-def: $sgpr62_sgpr63
                                        ; implicit-def: $sgpr64_sgpr65
	s_branch .LBB8_1056
.LBB8_1055:                             ;   in Loop: Header=BB8_1056 Depth=2
	s_or_b64 exec, exec, s[68:69]
	s_and_b64 vcc, exec, vcc
	s_or_b64 s[60:61], vcc, s[60:61]
	s_andn2_b64 vcc, s[62:63], exec
	s_and_b64 s[62:63], s[64:65], exec
	s_or_b64 s[62:63], vcc, s[62:63]
	s_andn2_b64 exec, exec, s[60:61]
	s_cbranch_execz .LBB8_1086
.LBB8_1056:                             ;   Parent Loop BB8_47 Depth=1
                                        ; =>  This Inner Loop Header: Depth=2
	s_add_i32 s70, s70, 1
	s_cmpk_lg_i32 s70, 0x2710
	s_cselect_b64 s[66:67], -1, 0
	s_and_b64 vcc, exec, s[66:67]
                                        ; implicit-def: $sgpr68_sgpr69
	s_cbranch_vccnz .LBB8_1058
; %bb.1057:                             ;   in Loop: Header=BB8_1056 Depth=2
	s_trap 2
	ds_read_b64 v[8:9], v0
	s_andn2_b64 s[66:67], s[66:67], exec
	s_mov_b32 s70, 0
	s_mov_b64 s[68:69], -1
	s_waitcnt vmcnt(0) lgkmcnt(0)
	flat_load_dword v0, v[8:9] sc0 sc1
	s_waitcnt vmcnt(0) lgkmcnt(0)
	buffer_inv sc0 sc1
	v_cmp_eq_u32_e32 vcc, 0, v0
	s_and_b64 vcc, vcc, exec
	s_or_b64 s[66:67], s[66:67], vcc
.LBB8_1058:                             ;   in Loop: Header=BB8_1056 Depth=2
	s_andn2_b64 s[64:65], s[64:65], exec
	s_and_b64 s[68:69], s[68:69], exec
	s_mov_b64 vcc, -1
	s_or_b64 s[64:65], s[64:65], s[68:69]
	s_and_saveexec_b64 s[68:69], s[66:67]
	s_cbranch_execz .LBB8_1055
; %bb.1059:                             ;   in Loop: Header=BB8_1056 Depth=2
	s_sleep 1
	s_trap 2
	ds_read_b64 v[8:9], v0
	s_andn2_b64 s[64:65], s[64:65], exec
	s_waitcnt lgkmcnt(0)
	v_cmp_ge_u64_e32 vcc, v[8:9], v[12:13]
	s_orn2_b64 vcc, vcc, exec
	s_branch .LBB8_1055
.LBB8_1060:                             ;   in Loop: Header=BB8_47 Depth=1
	v_ashrrev_i32_e32 v0, 31, v17
	v_lshrrev_b32_e32 v0, 20, v0
	v_add_u32_e32 v0, v17, v0
	v_ashrrev_i32_e32 v4, 12, v0
	v_sub_u32_e32 v15, v4, v47
	v_cmp_lt_i32_e32 vcc, 0, v15
	s_and_saveexec_b64 s[24:25], vcc
	s_cbranch_execz .LBB8_1064
; %bb.1061:                             ;   in Loop: Header=BB8_47 Depth=1
	s_trap 2
	ds_read_b64 v[8:9], v0
	v_accvgpr_read_b32 v43, a37
	s_mov_b64 s[30:31], 0
	v_accvgpr_read_b32 v42, a36
	s_waitcnt lgkmcnt(0)
	v_mov_b64_e32 v[10:11], v[8:9]
.LBB8_1062:                             ;   Parent Loop BB8_47 Depth=1
                                        ; =>  This Inner Loop Header: Depth=2
	v_lshl_add_u64 v[18:19], v[42:43], 0, v[10:11]
	global_load_dwordx4 v[24:27], v[18:19], off nt
	global_load_dwordx4 v[28:31], v[18:19], off offset:1024 nt
	global_load_dwordx4 v[36:39], v[18:19], off offset:2048 nt
	global_load_dwordx4 v[48:51], v[18:19], off offset:3072 nt
	v_sub_u32_e32 v15, v15, v34
	v_cmp_gt_i32_e32 vcc, 1, v15
	v_lshl_add_u64 v[18:19], v[42:43], 0, v[8:9]
	v_lshl_add_u64 v[10:11], v[10:11], 0, v[6:7]
	;; [unrolled: 1-line block ×3, first 2 shown]
	s_or_b64 s[30:31], vcc, s[30:31]
	s_waitcnt vmcnt(0)
	global_store_dwordx4 v[18:19], v[24:27], off nt
	global_store_dwordx4 v[18:19], v[28:31], off offset:1024 nt
	global_store_dwordx4 v[18:19], v[36:39], off offset:2048 nt
	;; [unrolled: 1-line block ×3, first 2 shown]
	s_andn2_b64 exec, exec, s[30:31]
	s_cbranch_execnz .LBB8_1062
; %bb.1063:                             ;   in Loop: Header=BB8_47 Depth=1
	s_or_b64 exec, exec, s[30:31]
	v_accvgpr_read_b32 v51, a19
	v_accvgpr_read_b32 v49, a23
	;; [unrolled: 1-line block ×9, first 2 shown]
	v_mov_b32_e32 v42, 1
.LBB8_1064:                             ;   in Loop: Header=BB8_47 Depth=1
	s_or_b64 exec, exec, s[24:25]
	v_lshlrev_b32_e32 v14, 12, v4
	v_cmp_ne_u32_e32 vcc, v17, v14
	s_mov_b64 s[54:55], 0
	v_mov_b32_e32 v18, 0
                                        ; implicit-def: $vgpr4
                                        ; implicit-def: $vgpr10
	s_and_saveexec_b64 s[30:31], vcc
	s_cbranch_execz .LBB8_1072
; %bb.1065:                             ;   in Loop: Header=BB8_47 Depth=1
	v_lshlrev_b32_e32 v4, 6, v15
	v_accvgpr_read_b32 v5, a31
	v_sub_u32_e32 v4, v5, v4
	v_ashrrev_i32_e32 v5, 31, v4
	v_lshrrev_b32_e32 v5, 26, v5
	v_add_u32_e32 v5, v4, v5
	v_sub_u32_e32 v0, v17, v14
	v_ashrrev_i32_e32 v6, 6, v5
	v_and_b32_e32 v5, 0xffffffc0, v5
	v_sub_u32_e32 v15, v4, v5
	v_ashrrev_i32_e32 v5, 31, v0
	v_lshrrev_b32_e32 v5, 22, v5
	v_add_u32_e32 v5, v0, v5
	v_and_b32_e32 v19, 0xfffffc00, v5
	v_lshlrev_b32_e32 v4, 4, v15
	v_sub_u32_e32 v30, v0, v19
	v_lshl_add_u32 v10, v6, 10, v4
	v_ashrrev_i32_e32 v7, 10, v5
	v_cmp_lt_i32_e32 vcc, 15, v30
	v_sub_u32_e32 v4, v0, v10
	s_nop 0
	v_addc_co_u32_e64 v0, s[24:25], 0, v7, vcc
	v_sub_u32_e32 v25, v0, v6
	v_cmp_lt_i32_e64 s[24:25], 15, v4
	s_and_saveexec_b64 s[54:55], s[24:25]
	s_cbranch_execz .LBB8_1069
; %bb.1066:                             ;   in Loop: Header=BB8_47 Depth=1
	s_trap 2
	ds_read_b64 v[8:9], v0
	v_add_u32_e32 v10, v10, v14
	v_ashrrev_i32_e32 v11, 31, v10
	s_mov_b64 s[56:57], 0
.LBB8_1067:                             ;   Parent Loop BB8_47 Depth=1
                                        ; =>  This Inner Loop Header: Depth=2
	s_waitcnt lgkmcnt(0)
	v_lshl_add_u64 v[36:37], v[8:9], 0, v[10:11]
	global_load_dwordx4 v[26:29], v[36:37], off nt
	v_sub_u32_e32 v4, v4, v53
	v_cmp_gt_i32_e64 s[24:25], 16, v4
	v_sub_u32_e32 v25, v25, v34
	v_lshl_add_u64 v[10:11], v[10:11], 0, v[40:41]
	s_or_b64 s[56:57], s[24:25], s[56:57]
	s_waitcnt vmcnt(0)
	global_store_dwordx4 v[36:37], v[26:29], off nt
	s_andn2_b64 exec, exec, s[56:57]
	s_cbranch_execnz .LBB8_1067
; %bb.1068:                             ;   in Loop: Header=BB8_47 Depth=1
	s_or_b64 exec, exec, s[56:57]
	v_accvgpr_read_b32 v37, a29
	v_accvgpr_read_b32 v28, a34
	;; [unrolled: 1-line block ×4, first 2 shown]
.LBB8_1069:                             ;   in Loop: Header=BB8_47 Depth=1
	s_or_b64 exec, exec, s[54:55]
	v_and_b32_e32 v8, 14, v17
	v_cndmask_b32_e32 v17, v30, v8, vcc
	s_mov_b64 s[54:55], 0
	v_mov_b32_e32 v18, 0
	v_cmp_ne_u32_e64 s[24:25], 0, v17
                                        ; implicit-def: $vgpr4
                                        ; implicit-def: $vgpr10
	s_mov_b64 s[56:57], exec
	v_accvgpr_read_b32 v6, a32
	s_and_b64 s[24:25], s[56:57], s[24:25]
	v_accvgpr_read_b32 v7, a33
	s_mov_b64 exec, s[24:25]
	s_cbranch_execz .LBB8_1071
; %bb.1070:                             ;   in Loop: Header=BB8_47 Depth=1
	v_sub_u32_e32 v0, v30, v8
	v_cndmask_b32_e32 v0, 0, v0, vcc
	v_cmp_lt_i32_e32 vcc, 0, v25
	v_add3_u32 v18, v19, v14, v0
	s_mov_b64 s[54:55], exec
	v_cndmask_b32_e32 v0, 0, v34, vcc
	v_sub_u32_e32 v0, v0, v25
	v_lshl_add_u32 v4, v0, 6, v15
	v_ashrrev_i32_e32 v0, 31, v4
	v_lshrrev_b32_e32 v0, 26, v0
	v_add_u32_e32 v0, v4, v0
	v_ashrrev_i32_e32 v10, 6, v0
.LBB8_1071:                             ;   in Loop: Header=BB8_47 Depth=1
	s_or_b64 exec, exec, s[56:57]
	s_and_b64 s[54:55], s[54:55], exec
.LBB8_1072:                             ;   in Loop: Header=BB8_47 Depth=1
	s_or_b64 exec, exec, s[30:31]
	s_and_saveexec_b64 s[24:25], s[54:55]
	s_cbranch_execz .LBB8_1081
.LBB8_1073:                             ;   in Loop: Header=BB8_47 Depth=1
	v_ashrrev_i32_e32 v0, 31, v17
	v_lshrrev_b32_e32 v0, 22, v0
	v_add_u32_e32 v0, v17, v0
	v_ashrrev_i32_e32 v30, 10, v0
	v_sub_u32_e32 v19, v30, v10
	v_ashrrev_i32_e32 v0, 31, v4
	v_cmp_lt_i32_e32 vcc, 0, v19
	v_lshrrev_b32_e32 v25, 26, v0
	s_and_saveexec_b64 s[30:31], vcc
	s_cbranch_execz .LBB8_1077
; %bb.1074:                             ;   in Loop: Header=BB8_47 Depth=1
	s_trap 2
	ds_read_b64 v[8:9], v0
	v_add_u32_e32 v0, v4, v25
	v_and_b32_e32 v0, 0x7fffffc0, v0
	v_sub_u32_e32 v0, v4, v0
	v_lshlrev_b32_e32 v0, 1, v0
	v_lshlrev_b32_e32 v5, 10, v10
	v_add3_u32 v10, v0, v18, v5
	v_ashrrev_i32_e32 v11, 31, v10
	s_mov_b64 s[54:55], 0
	s_waitcnt lgkmcnt(0)
	v_mov_b64_e32 v[14:15], v[8:9]
.LBB8_1075:                             ;   Parent Loop BB8_47 Depth=1
                                        ; =>  This Inner Loop Header: Depth=2
	v_lshl_add_u64 v[26:27], v[10:11], 0, v[14:15]
	flat_load_ushort v0, v[26:27] nt
	flat_load_ushort v5, v[26:27] offset:128 nt
	flat_load_ushort v6, v[26:27] offset:256 nt
	;; [unrolled: 1-line block ×7, first 2 shown]
	v_sub_u32_e32 v19, v19, v34
	v_cmp_gt_i32_e32 vcc, 1, v19
	v_lshl_add_u64 v[26:27], v[10:11], 0, v[8:9]
	v_lshl_add_u64 v[14:15], v[14:15], 0, v[40:41]
	;; [unrolled: 1-line block ×3, first 2 shown]
	s_or_b64 s[54:55], vcc, s[54:55]
	s_waitcnt vmcnt(0) lgkmcnt(0)
	flat_store_short v[26:27], v0 nt
	flat_store_short v[26:27], v5 offset:128 nt
	flat_store_short v[26:27], v6 offset:256 nt
	;; [unrolled: 1-line block ×7, first 2 shown]
	s_andn2_b64 exec, exec, s[54:55]
	s_cbranch_execnz .LBB8_1075
; %bb.1076:                             ;   in Loop: Header=BB8_47 Depth=1
	s_or_b64 exec, exec, s[54:55]
	v_accvgpr_read_b32 v6, a32
	v_accvgpr_read_b32 v28, a34
	;; [unrolled: 1-line block ×4, first 2 shown]
.LBB8_1077:                             ;   in Loop: Header=BB8_47 Depth=1
	s_or_b64 exec, exec, s[30:31]
	v_lshlrev_b32_e32 v8, 10, v30
	v_cmp_ne_u32_e32 vcc, v17, v8
	s_and_b64 exec, exec, vcc
	s_cbranch_execz .LBB8_1081
; %bb.1078:                             ;   in Loop: Header=BB8_47 Depth=1
	v_add_u32_e32 v0, v4, v25
	v_and_b32_e32 v0, 0xffffffc0, v0
	v_sub_u32_e32 v0, v4, v0
	v_lshlrev_b32_e32 v4, 6, v19
	v_sub_u32_e32 v0, v0, v4
	v_ashrrev_i32_e32 v4, 31, v0
	v_lshrrev_b32_e32 v4, 26, v4
	v_add_u32_e32 v4, v0, v4
	v_and_b32_e32 v5, 0x7fffffc0, v4
	v_sub_u32_e32 v0, v0, v5
	v_lshlrev_b32_e32 v4, 1, v4
	v_and_b32_e32 v4, 0xffffff80, v4
	v_lshlrev_b32_e32 v0, 1, v0
	v_add3_u32 v10, v4, v0, v8
	v_sub_u32_e32 v4, v17, v10
	v_cmp_lt_i32_e32 vcc, 1, v4
	s_and_b64 exec, exec, vcc
	s_cbranch_execz .LBB8_1081
; %bb.1079:                             ;   in Loop: Header=BB8_47 Depth=1
	s_trap 2
	ds_read_b64 v[8:9], v0
	v_add_u32_e32 v10, v10, v18
	v_ashrrev_i32_e32 v11, 31, v10
	s_mov_b64 s[30:31], 0
.LBB8_1080:                             ;   Parent Loop BB8_47 Depth=1
                                        ; =>  This Inner Loop Header: Depth=2
	s_waitcnt lgkmcnt(0)
	v_lshl_add_u64 v[14:15], v[8:9], 0, v[10:11]
	flat_load_ushort v0, v[14:15] nt
	v_sub_u32_e32 v4, v4, v59
	v_cmp_gt_i32_e32 vcc, 2, v4
	v_lshl_add_u64 v[10:11], v[10:11], 0, v[28:29]
	s_or_b64 s[30:31], vcc, s[30:31]
	s_waitcnt vmcnt(0) lgkmcnt(0)
	flat_store_short v[14:15], v0 nt
	s_andn2_b64 exec, exec, s[30:31]
	s_cbranch_execnz .LBB8_1080
.LBB8_1081:                             ;   in Loop: Header=BB8_47 Depth=1
	s_or_b64 exec, exec, s[24:25]
	v_cmp_lt_i32_e64 s[24:25], 0, v2
	s_and_saveexec_b64 s[30:31], s[6:7]
	s_cbranch_execnz .LBB8_1049
.LBB8_1082:                             ;   in Loop: Header=BB8_47 Depth=1
	s_or_b64 exec, exec, s[30:31]
	s_and_saveexec_b64 vcc, s[22:23]
	s_xor_b64 s[30:31], exec, vcc
	s_cbranch_execz .LBB8_1093
.LBB8_1083:                             ;   in Loop: Header=BB8_47 Depth=1
	v_and_b32_e32 v0, 16, v62
	v_cmp_ne_u32_e32 vcc, 0, v0
	s_and_b64 vcc, vcc, s[24:25]
	s_and_saveexec_b64 s[24:25], vcc
	s_cbranch_execz .LBB8_1085
; %bb.1084:                             ;   in Loop: Header=BB8_47 Depth=1
	buffer_wbl2 sc1
	s_waitcnt vmcnt(0) lgkmcnt(0)
	buffer_inv sc1
.LBB8_1085:                             ;   in Loop: Header=BB8_47 Depth=1
	s_or_b64 exec, exec, s[24:25]
	s_andn2_saveexec_b64 s[24:25], s[30:31]
	s_cbranch_execz .LBB8_1112
	s_branch .LBB8_1094
.LBB8_1086:                             ;   in Loop: Header=BB8_47 Depth=1
	s_or_b64 exec, exec, s[60:61]
	s_and_saveexec_b64 vcc, s[62:63]
	s_xor_b64 vcc, exec, vcc
	s_cbranch_execz .LBB8_1088
; %bb.1087:                             ;   in Loop: Header=BB8_47 Depth=1
	ds_write_b32 v0, v42
	s_trap 2
.LBB8_1088:                             ;   in Loop: Header=BB8_47 Depth=1
	s_or_b64 exec, exec, s[58:59]
	;;#ASMSTART
	s_wakeup
	;;#ASMEND
.LBB8_1089:                             ;   in Loop: Header=BB8_47 Depth=1
	s_or_b64 exec, exec, s[56:57]
.LBB8_1090:                             ;   in Loop: Header=BB8_47 Depth=1
	s_andn2_saveexec_b64 vcc, s[54:55]
	s_cbranch_execz .LBB8_1092
; %bb.1091:                             ;   in Loop: Header=BB8_47 Depth=1
	s_waitcnt lgkmcnt(0)
	s_barrier
.LBB8_1092:                             ;   in Loop: Header=BB8_47 Depth=1
	s_or_b64 exec, exec, vcc
	s_or_b64 exec, exec, s[30:31]
	s_and_saveexec_b64 vcc, s[22:23]
	s_xor_b64 s[30:31], exec, vcc
	s_cbranch_execnz .LBB8_1083
.LBB8_1093:                             ;   in Loop: Header=BB8_47 Depth=1
	s_andn2_saveexec_b64 s[24:25], s[30:31]
	s_cbranch_execz .LBB8_1112
.LBB8_1094:                             ;   in Loop: Header=BB8_47 Depth=1
	s_and_saveexec_b64 vcc, s[40:41]
	s_xor_b64 s[30:31], exec, vcc
	s_cbranch_execz .LBB8_1109
; %bb.1095:                             ;   in Loop: Header=BB8_47 Depth=1
	s_and_saveexec_b64 s[54:55], s[14:15]
	s_cbranch_execz .LBB8_1108
; %bb.1096:                             ;   in Loop: Header=BB8_47 Depth=1
	s_mov_b64 s[58:59], exec
	v_mbcnt_lo_u32_b32 v0, s58, 0
	v_mbcnt_hi_u32_b32 v0, s59, v0
	v_cmp_eq_u32_e32 vcc, 0, v0
	;;#ASMSTART
	s_waitcnt lgkmcnt(0) vmcnt(0)
	;;#ASMEND
	s_and_saveexec_b64 s[56:57], vcc
	s_cbranch_execz .LBB8_1098
; %bb.1097:                             ;   in Loop: Header=BB8_47 Depth=1
	s_bcnt1_i32_b64 vcc_lo, s[58:59]
	v_mov_b32_e32 v2, vcc_lo
	ds_add_u64 v0, v[2:3]
	s_trap 2
.LBB8_1098:                             ;   in Loop: Header=BB8_47 Depth=1
	s_or_b64 exec, exec, s[56:57]
	s_trap 2
	ds_read_b64 v[8:9], v0
	v_lshl_add_u64 v[12:13], v[12:13], 0, v[34:35]
	s_waitcnt lgkmcnt(0)
	v_cmp_lt_u64_e32 vcc, v[8:9], v[12:13]
	s_and_saveexec_b64 s[56:57], vcc
	s_cbranch_execz .LBB8_1107
; %bb.1099:                             ;   in Loop: Header=BB8_47 Depth=1
	s_mov_b32 s68, 0
	s_mov_b64 s[58:59], 0
                                        ; implicit-def: $sgpr60_sgpr61
                                        ; implicit-def: $sgpr62_sgpr63
	s_branch .LBB8_1101
.LBB8_1100:                             ;   in Loop: Header=BB8_1101 Depth=2
	s_or_b64 exec, exec, s[66:67]
	s_and_b64 vcc, exec, vcc
	s_or_b64 s[58:59], vcc, s[58:59]
	s_andn2_b64 vcc, s[60:61], exec
	s_and_b64 s[60:61], s[62:63], exec
	s_or_b64 s[60:61], vcc, s[60:61]
	s_andn2_b64 exec, exec, s[58:59]
	s_cbranch_execz .LBB8_1105
.LBB8_1101:                             ;   Parent Loop BB8_47 Depth=1
                                        ; =>  This Inner Loop Header: Depth=2
	s_add_i32 s68, s68, 1
	s_cmpk_lg_i32 s68, 0x2710
	s_cselect_b64 s[64:65], -1, 0
	s_and_b64 vcc, exec, s[64:65]
                                        ; implicit-def: $sgpr66_sgpr67
	s_cbranch_vccnz .LBB8_1103
; %bb.1102:                             ;   in Loop: Header=BB8_1101 Depth=2
	s_trap 2
	ds_read_b64 v[8:9], v0
	s_andn2_b64 s[64:65], s[64:65], exec
	s_mov_b32 s68, 0
	s_mov_b64 s[66:67], -1
	s_waitcnt vmcnt(0) lgkmcnt(0)
	flat_load_dword v0, v[8:9] sc0 sc1
	s_waitcnt vmcnt(0) lgkmcnt(0)
	buffer_inv sc0 sc1
	v_cmp_eq_u32_e32 vcc, 0, v0
	s_and_b64 vcc, vcc, exec
	s_or_b64 s[64:65], s[64:65], vcc
.LBB8_1103:                             ;   in Loop: Header=BB8_1101 Depth=2
	s_andn2_b64 s[62:63], s[62:63], exec
	s_and_b64 s[66:67], s[66:67], exec
	s_mov_b64 vcc, -1
	s_or_b64 s[62:63], s[62:63], s[66:67]
	s_and_saveexec_b64 s[66:67], s[64:65]
	s_cbranch_execz .LBB8_1100
; %bb.1104:                             ;   in Loop: Header=BB8_1101 Depth=2
	s_sleep 1
	s_trap 2
	ds_read_b64 v[8:9], v0
	s_andn2_b64 s[62:63], s[62:63], exec
	s_waitcnt lgkmcnt(0)
	v_cmp_ge_u64_e32 vcc, v[8:9], v[12:13]
	s_orn2_b64 vcc, vcc, exec
	s_branch .LBB8_1100
.LBB8_1105:                             ;   in Loop: Header=BB8_47 Depth=1
	s_or_b64 exec, exec, s[58:59]
	s_and_saveexec_b64 vcc, s[60:61]
	s_xor_b64 vcc, exec, vcc
	s_cbranch_execz .LBB8_1107
; %bb.1106:                             ;   in Loop: Header=BB8_47 Depth=1
	ds_write_b32 v0, v42
	s_trap 2
.LBB8_1107:                             ;   in Loop: Header=BB8_47 Depth=1
	s_or_b64 exec, exec, s[56:57]
	;;#ASMSTART
	s_wakeup
	;;#ASMEND
.LBB8_1108:                             ;   in Loop: Header=BB8_47 Depth=1
	s_or_b64 exec, exec, s[54:55]
.LBB8_1109:                             ;   in Loop: Header=BB8_47 Depth=1
	s_andn2_saveexec_b64 vcc, s[30:31]
	s_cbranch_execz .LBB8_1111
; %bb.1110:                             ;   in Loop: Header=BB8_47 Depth=1
	;;#ASMSTART
	s_waitcnt lgkmcnt(0) vmcnt(0)
	;;#ASMEND
	s_barrier
.LBB8_1111:                             ;   in Loop: Header=BB8_47 Depth=1
	s_or_b64 exec, exec, vcc
.LBB8_1112:                             ;   in Loop: Header=BB8_47 Depth=1
	s_or_b64 exec, exec, s[24:25]
	v_and_b32_e32 v0, 32, v62
	v_cmp_ne_u32_e32 vcc, 0, v0
	s_and_saveexec_b64 s[24:25], vcc
	s_cbranch_execz .LBB8_1114
; %bb.1113:                             ;   in Loop: Header=BB8_47 Depth=1
	v_lshl_add_u64 v[20:21], v[20:21], 0, 4
	flat_store_dwordx2 v[22:23], v[20:21] sc0 sc1
.LBB8_1114:                             ;   in Loop: Header=BB8_47 Depth=1
	s_or_b64 exec, exec, s[24:25]
	v_mov_b32_e32 v14, v16
.LBB8_1115:                             ;   in Loop: Header=BB8_47 Depth=1
	s_or_b64 exec, exec, s[28:29]
	s_and_saveexec_b64 s[28:29], s[26:27]
	s_cbranch_execz .LBB8_46
; %bb.1116:                             ;   in Loop: Header=BB8_47 Depth=1
	v_and_b32_e32 v0, 4, v62
	v_cmp_ne_u32_e32 vcc, 0, v0
	s_mov_b64 s[26:27], -1
	s_and_saveexec_b64 s[24:25], vcc
	s_cbranch_execz .LBB8_1126
; %bb.1117:                             ;   in Loop: Header=BB8_47 Depth=1
	v_lshl_add_u64 v[8:9], v[20:21], 0, 4
	v_cmp_lt_u64_e32 vcc, v[32:33], v[8:9]
	v_mov_b32_e32 v2, 1
	s_and_saveexec_b64 s[26:27], vcc
	s_cbranch_execz .LBB8_1141
; %bb.1118:                             ;   in Loop: Header=BB8_47 Depth=1
	s_mov_b64 s[30:31], 0
	v_mov_b32_e32 v2, 0
                                        ; implicit-def: $sgpr54_sgpr55
	s_branch .LBB8_1122
.LBB8_1119:                             ;   in Loop: Header=BB8_1122 Depth=2
	s_or_b64 exec, exec, s[62:63]
	v_mov_b32_e32 v4, 0
	s_orn2_b64 s[60:61], s[60:61], exec
.LBB8_1120:                             ;   in Loop: Header=BB8_1122 Depth=2
	s_or_b64 exec, exec, s[58:59]
	s_andn2_b64 vcc, s[54:55], exec
	s_and_b64 s[54:55], s[60:61], exec
	s_or_b64 s[54:55], vcc, s[54:55]
	v_mov_b32_e32 v2, v4
.LBB8_1121:                             ;   in Loop: Header=BB8_1122 Depth=2
	s_or_b64 exec, exec, s[56:57]
	s_waitcnt vmcnt(0) lgkmcnt(0)
	v_cmp_ge_u64_e32 vcc, v[32:33], v[8:9]
	s_xor_b64 s[56:57], s[54:55], -1
	s_or_b64 vcc, s[56:57], vcc
	s_and_b64 vcc, exec, vcc
	s_or_b64 s[30:31], vcc, s[30:31]
	s_andn2_b64 exec, exec, s[30:31]
	s_cbranch_execz .LBB8_1140
.LBB8_1122:                             ;   Parent Loop BB8_47 Depth=1
                                        ; =>  This Inner Loop Header: Depth=2
	s_sleep 1
	flat_load_dwordx2 v[32:33], v[22:23] sc0 sc1
	v_and_b32_e32 v0, 64, v62
	v_cmp_eq_u32_e32 vcc, 0, v0
	s_andn2_b64 s[54:55], s[54:55], exec
	s_and_saveexec_b64 s[56:57], vcc
	s_cbranch_execz .LBB8_1121
; %bb.1123:                             ;   in Loop: Header=BB8_1122 Depth=2
	v_add_u32_e32 v4, 1, v2
	v_cmp_lt_i32_e32 vcc, s75, v2
	s_mov_b64 s[60:61], -1
	s_and_saveexec_b64 s[58:59], vcc
	s_cbranch_execz .LBB8_1120
; %bb.1124:                             ;   in Loop: Header=BB8_1122 Depth=2
	s_trap 2
	ds_read_b64 v[10:11], v0
	s_waitcnt vmcnt(0) lgkmcnt(0)
	flat_load_dword v2, v[10:11] sc0 sc1
	s_waitcnt vmcnt(0) lgkmcnt(0)
	buffer_inv sc0 sc1
	v_cmp_ne_u32_e32 vcc, 0, v2
	s_and_saveexec_b64 s[62:63], vcc
	s_cbranch_execz .LBB8_1119
; %bb.1125:                             ;   in Loop: Header=BB8_1122 Depth=2
	v_or_b32_e32 v62, 64, v62
	s_xor_b64 s[60:61], exec, -1
	ds_write_b32 v0, v2
	s_trap 2
	s_branch .LBB8_1119
.LBB8_1126:                             ;   in Loop: Header=BB8_47 Depth=1
	s_or_b64 exec, exec, s[24:25]
	s_xor_b64 s[24:25], s[26:27], -1
	s_and_saveexec_b64 s[26:27], s[24:25]
	s_cbranch_execz .LBB8_1142
.LBB8_1127:                             ;   in Loop: Header=BB8_47 Depth=1
	v_and_b32_e32 v0, 0x100, v62
	v_cmp_ne_u32_e32 vcc, 0, v0
	v_and_b32_e32 v2, 7, v20
	s_mov_b64 s[24:25], -1
                                        ; implicit-def: $vgpr8_vgpr9
	s_and_saveexec_b64 s[30:31], vcc
	s_cbranch_execz .LBB8_1131
; %bb.1128:                             ;   in Loop: Header=BB8_47 Depth=1
	v_mad_u64_u32 v[10:11], s[24:25], v2, 24, v[44:45]
	flat_load_dword v0, v[10:11]
                                        ; implicit-def: $vgpr8_vgpr9
	s_waitcnt vmcnt(0) lgkmcnt(0)
	v_cmp_ne_u32_e32 vcc, 1, v0
	v_cmp_eq_u32_e64 s[24:25], 1, v0
	s_and_saveexec_b64 s[54:55], s[24:25]
	s_cbranch_execz .LBB8_1130
; %bb.1129:                             ;   in Loop: Header=BB8_47 Depth=1
	flat_load_dword v8, v[10:11] offset:4 sc0 sc1
	s_waitcnt vmcnt(0) lgkmcnt(0)
	v_ashrrev_i32_e32 v9, 31, v8
	v_lshrrev_b64 v[8:9], 1, v[8:9]
.LBB8_1130:                             ;   in Loop: Header=BB8_47 Depth=1
	s_or_b64 exec, exec, s[54:55]
	s_orn2_b64 s[24:25], vcc, exec
.LBB8_1131:                             ;   in Loop: Header=BB8_47 Depth=1
	s_or_b64 exec, exec, s[30:31]
	s_and_saveexec_b64 vcc, s[24:25]
; %bb.1132:                             ;   in Loop: Header=BB8_47 Depth=1
	v_mad_i64_i32 v[8:9], s[24:25], v2, v58, 0
; %bb.1133:                             ;   in Loop: Header=BB8_47 Depth=1
	s_or_b64 exec, exec, vcc
	v_lshl_add_u64 v[8:9], v[8:9], 1, v[60:61]
	ds_write_b64 v0, v[8:9] offset:720
	v_and_b32_e32 v0, 0x2000, v62
	v_cmp_ne_u32_e32 vcc, 0, v0
	s_and_saveexec_b64 s[24:25], vcc
	s_cbranch_execz .LBB8_1135
; %bb.1134:                             ;   in Loop: Header=BB8_47 Depth=1
	ds_read_b64 v[8:9], v0 offset:584
	s_waitcnt lgkmcnt(0)
	v_lshl_add_u64 v[8:9], v[8:9], 0, 1
	ds_write_b64 v0, v[8:9] offset:584
.LBB8_1135:                             ;   in Loop: Header=BB8_47 Depth=1
	s_or_b64 exec, exec, s[24:25]
	v_lshl_add_u64 v[20:21], v[20:21], 0, 4
	s_or_b64 exec, exec, s[26:27]
	s_and_saveexec_b64 s[24:25], s[6:7]
	s_cbranch_execnz .LBB8_1143
.LBB8_1136:                             ;   in Loop: Header=BB8_47 Depth=1
	s_or_b64 exec, exec, s[24:25]
	s_and_saveexec_b64 s[24:25], s[22:23]
	s_xor_b64 s[24:25], exec, s[24:25]
	s_cbranch_execz .LBB8_1161
.LBB8_1137:                             ;   in Loop: Header=BB8_47 Depth=1
	s_trap 2
	ds_read_b32 v0, v0
	v_sub_u32_e32 v1, v1, v14
	v_min_i32_e32 v1, v16, v1
	v_cmp_lt_i32_e32 vcc, 0, v1
	s_waitcnt lgkmcnt(0)
	v_readfirstlane_b32 s26, v0
	s_cmp_eq_u32 s26, 0
	s_cselect_b64 s[26:27], -1, 0
	v_and_b32_e32 v0, 16, v62
	s_and_b64 s[26:27], vcc, s[26:27]
	v_cmp_ne_u32_e32 vcc, 0, v0
	s_and_b64 vcc, vcc, s[26:27]
	s_and_saveexec_b64 s[26:27], vcc
	s_cbranch_execz .LBB8_1139
; %bb.1138:                             ;   in Loop: Header=BB8_47 Depth=1
	buffer_wbl2 sc1
	s_waitcnt vmcnt(0)
	buffer_inv sc1
.LBB8_1139:                             ;   in Loop: Header=BB8_47 Depth=1
	s_or_b64 exec, exec, s[26:27]
	s_andn2_saveexec_b64 s[24:25], s[24:25]
	s_cbranch_execz .LBB8_1180
	s_branch .LBB8_1162
.LBB8_1140:                             ;   in Loop: Header=BB8_47 Depth=1
	s_or_b64 exec, exec, s[30:31]
	v_and_b32_e32 v2, 4, v62
.LBB8_1141:                             ;   in Loop: Header=BB8_47 Depth=1
	s_or_b64 exec, exec, s[26:27]
	v_cmp_eq_u32_e32 vcc, 0, v2
	s_orn2_b64 s[26:27], vcc, exec
	;;#ASMSTART
	s_wakeup
	;;#ASMEND
	s_or_b64 exec, exec, s[24:25]
	s_xor_b64 s[24:25], s[26:27], -1
	s_and_saveexec_b64 s[26:27], s[24:25]
	s_cbranch_execnz .LBB8_1127
.LBB8_1142:                             ;   in Loop: Header=BB8_47 Depth=1
	s_or_b64 exec, exec, s[26:27]
	s_and_saveexec_b64 s[24:25], s[6:7]
	s_cbranch_execz .LBB8_1136
.LBB8_1143:                             ;   in Loop: Header=BB8_47 Depth=1
	s_and_saveexec_b64 s[26:27], s[40:41]
	s_xor_b64 s[26:27], exec, s[26:27]
	s_cbranch_execz .LBB8_1158
; %bb.1144:                             ;   in Loop: Header=BB8_47 Depth=1
	s_and_saveexec_b64 s[30:31], s[14:15]
	s_cbranch_execz .LBB8_1157
; %bb.1145:                             ;   in Loop: Header=BB8_47 Depth=1
	s_mov_b64 s[56:57], exec
	v_mbcnt_lo_u32_b32 v0, s56, 0
	v_mbcnt_hi_u32_b32 v0, s57, v0
	v_cmp_eq_u32_e32 vcc, 0, v0
	s_waitcnt lgkmcnt(0)
	s_and_saveexec_b64 s[54:55], vcc
	s_cbranch_execz .LBB8_1147
; %bb.1146:                             ;   in Loop: Header=BB8_47 Depth=1
	s_bcnt1_i32_b64 vcc_lo, s[56:57]
	v_mov_b32_e32 v2, vcc_lo
	ds_add_u64 v0, v[2:3]
	s_trap 2
.LBB8_1147:                             ;   in Loop: Header=BB8_47 Depth=1
	s_or_b64 exec, exec, s[54:55]
	s_trap 2
	ds_read_b64 v[8:9], v0
	v_lshl_add_u64 v[12:13], v[12:13], 0, v[34:35]
	s_waitcnt lgkmcnt(0)
	v_cmp_lt_u64_e32 vcc, v[8:9], v[12:13]
	s_and_saveexec_b64 s[54:55], vcc
	s_cbranch_execz .LBB8_1156
; %bb.1148:                             ;   in Loop: Header=BB8_47 Depth=1
	s_mov_b32 s66, 0
	s_mov_b64 s[56:57], 0
                                        ; implicit-def: $sgpr58_sgpr59
                                        ; implicit-def: $sgpr60_sgpr61
	s_branch .LBB8_1150
.LBB8_1149:                             ;   in Loop: Header=BB8_1150 Depth=2
	s_or_b64 exec, exec, s[64:65]
	s_and_b64 vcc, exec, vcc
	s_or_b64 s[56:57], vcc, s[56:57]
	s_andn2_b64 vcc, s[58:59], exec
	s_and_b64 s[58:59], s[60:61], exec
	s_or_b64 s[58:59], vcc, s[58:59]
	s_andn2_b64 exec, exec, s[56:57]
	s_cbranch_execz .LBB8_1154
.LBB8_1150:                             ;   Parent Loop BB8_47 Depth=1
                                        ; =>  This Inner Loop Header: Depth=2
	s_add_i32 s66, s66, 1
	s_cmpk_lg_i32 s66, 0x2710
	s_cselect_b64 s[62:63], -1, 0
	s_and_b64 vcc, exec, s[62:63]
                                        ; implicit-def: $sgpr64_sgpr65
	s_cbranch_vccnz .LBB8_1152
; %bb.1151:                             ;   in Loop: Header=BB8_1150 Depth=2
	s_trap 2
	ds_read_b64 v[8:9], v0
	s_andn2_b64 s[62:63], s[62:63], exec
	s_mov_b32 s66, 0
	s_mov_b64 s[64:65], -1
	s_waitcnt vmcnt(0) lgkmcnt(0)
	flat_load_dword v0, v[8:9] sc0 sc1
	s_waitcnt vmcnt(0) lgkmcnt(0)
	buffer_inv sc0 sc1
	v_cmp_eq_u32_e32 vcc, 0, v0
	s_and_b64 vcc, vcc, exec
	s_or_b64 s[62:63], s[62:63], vcc
.LBB8_1152:                             ;   in Loop: Header=BB8_1150 Depth=2
	s_andn2_b64 s[60:61], s[60:61], exec
	s_and_b64 s[64:65], s[64:65], exec
	s_mov_b64 vcc, -1
	s_or_b64 s[60:61], s[60:61], s[64:65]
	s_and_saveexec_b64 s[64:65], s[62:63]
	s_cbranch_execz .LBB8_1149
; %bb.1153:                             ;   in Loop: Header=BB8_1150 Depth=2
	s_sleep 1
	s_trap 2
	ds_read_b64 v[8:9], v0
	s_andn2_b64 s[60:61], s[60:61], exec
	s_waitcnt lgkmcnt(0)
	v_cmp_ge_u64_e32 vcc, v[8:9], v[12:13]
	s_orn2_b64 vcc, vcc, exec
	s_branch .LBB8_1149
.LBB8_1154:                             ;   in Loop: Header=BB8_47 Depth=1
	s_or_b64 exec, exec, s[56:57]
	s_and_saveexec_b64 vcc, s[58:59]
	s_xor_b64 vcc, exec, vcc
	s_cbranch_execz .LBB8_1156
; %bb.1155:                             ;   in Loop: Header=BB8_47 Depth=1
	ds_write_b32 v0, v42
	s_trap 2
.LBB8_1156:                             ;   in Loop: Header=BB8_47 Depth=1
	s_or_b64 exec, exec, s[54:55]
	;;#ASMSTART
	s_wakeup
	;;#ASMEND
.LBB8_1157:                             ;   in Loop: Header=BB8_47 Depth=1
	s_or_b64 exec, exec, s[30:31]
.LBB8_1158:                             ;   in Loop: Header=BB8_47 Depth=1
	s_andn2_saveexec_b64 s[26:27], s[26:27]
	s_cbranch_execz .LBB8_1160
; %bb.1159:                             ;   in Loop: Header=BB8_47 Depth=1
	s_waitcnt lgkmcnt(0)
	s_barrier
.LBB8_1160:                             ;   in Loop: Header=BB8_47 Depth=1
	s_or_b64 exec, exec, s[26:27]
	s_or_b64 exec, exec, s[24:25]
	s_and_saveexec_b64 s[24:25], s[22:23]
	s_xor_b64 s[24:25], exec, s[24:25]
	s_cbranch_execnz .LBB8_1137
.LBB8_1161:                             ;   in Loop: Header=BB8_47 Depth=1
	s_andn2_saveexec_b64 s[24:25], s[24:25]
	s_cbranch_execz .LBB8_1180
.LBB8_1162:                             ;   in Loop: Header=BB8_47 Depth=1
	s_and_saveexec_b64 s[26:27], s[40:41]
	s_xor_b64 s[26:27], exec, s[26:27]
	s_cbranch_execz .LBB8_1177
; %bb.1163:                             ;   in Loop: Header=BB8_47 Depth=1
	s_and_saveexec_b64 s[30:31], s[14:15]
	s_cbranch_execz .LBB8_1176
; %bb.1164:                             ;   in Loop: Header=BB8_47 Depth=1
	s_mov_b64 s[56:57], exec
	v_mbcnt_lo_u32_b32 v0, s56, 0
	v_mbcnt_hi_u32_b32 v0, s57, v0
	v_cmp_eq_u32_e32 vcc, 0, v0
	;;#ASMSTART
	s_waitcnt lgkmcnt(0) vmcnt(0)
	;;#ASMEND
	s_and_saveexec_b64 s[54:55], vcc
	s_cbranch_execz .LBB8_1166
; %bb.1165:                             ;   in Loop: Header=BB8_47 Depth=1
	s_bcnt1_i32_b64 vcc_lo, s[56:57]
	v_mov_b32_e32 v2, vcc_lo
	ds_add_u64 v0, v[2:3]
	s_trap 2
.LBB8_1166:                             ;   in Loop: Header=BB8_47 Depth=1
	s_or_b64 exec, exec, s[54:55]
	s_trap 2
	ds_read_b64 v[8:9], v0
	v_lshl_add_u64 v[12:13], v[12:13], 0, v[34:35]
	s_waitcnt lgkmcnt(0)
	v_cmp_lt_u64_e32 vcc, v[8:9], v[12:13]
	s_and_saveexec_b64 s[54:55], vcc
	s_cbranch_execz .LBB8_1175
; %bb.1167:                             ;   in Loop: Header=BB8_47 Depth=1
	s_mov_b32 s66, 0
	s_mov_b64 s[56:57], 0
                                        ; implicit-def: $sgpr58_sgpr59
                                        ; implicit-def: $sgpr60_sgpr61
	s_branch .LBB8_1169
.LBB8_1168:                             ;   in Loop: Header=BB8_1169 Depth=2
	s_or_b64 exec, exec, s[64:65]
	s_and_b64 vcc, exec, vcc
	s_or_b64 s[56:57], vcc, s[56:57]
	s_andn2_b64 vcc, s[58:59], exec
	s_and_b64 s[58:59], s[60:61], exec
	s_or_b64 s[58:59], vcc, s[58:59]
	s_andn2_b64 exec, exec, s[56:57]
	s_cbranch_execz .LBB8_1173
.LBB8_1169:                             ;   Parent Loop BB8_47 Depth=1
                                        ; =>  This Inner Loop Header: Depth=2
	s_add_i32 s66, s66, 1
	s_cmpk_lg_i32 s66, 0x2710
	s_cselect_b64 s[62:63], -1, 0
	s_and_b64 vcc, exec, s[62:63]
                                        ; implicit-def: $sgpr64_sgpr65
	s_cbranch_vccnz .LBB8_1171
; %bb.1170:                             ;   in Loop: Header=BB8_1169 Depth=2
	s_trap 2
	ds_read_b64 v[8:9], v0
	s_andn2_b64 s[62:63], s[62:63], exec
	s_mov_b32 s66, 0
	s_mov_b64 s[64:65], -1
	s_waitcnt vmcnt(0) lgkmcnt(0)
	flat_load_dword v0, v[8:9] sc0 sc1
	s_waitcnt vmcnt(0) lgkmcnt(0)
	buffer_inv sc0 sc1
	v_cmp_eq_u32_e32 vcc, 0, v0
	s_and_b64 vcc, vcc, exec
	s_or_b64 s[62:63], s[62:63], vcc
.LBB8_1171:                             ;   in Loop: Header=BB8_1169 Depth=2
	s_andn2_b64 s[60:61], s[60:61], exec
	s_and_b64 s[64:65], s[64:65], exec
	s_mov_b64 vcc, -1
	s_or_b64 s[60:61], s[60:61], s[64:65]
	s_and_saveexec_b64 s[64:65], s[62:63]
	s_cbranch_execz .LBB8_1168
; %bb.1172:                             ;   in Loop: Header=BB8_1169 Depth=2
	s_sleep 1
	s_trap 2
	ds_read_b64 v[8:9], v0
	s_andn2_b64 s[60:61], s[60:61], exec
	s_waitcnt lgkmcnt(0)
	v_cmp_ge_u64_e32 vcc, v[8:9], v[12:13]
	s_orn2_b64 vcc, vcc, exec
	s_branch .LBB8_1168
.LBB8_1173:                             ;   in Loop: Header=BB8_47 Depth=1
	s_or_b64 exec, exec, s[56:57]
	s_and_saveexec_b64 vcc, s[58:59]
	s_xor_b64 vcc, exec, vcc
	s_cbranch_execz .LBB8_1175
; %bb.1174:                             ;   in Loop: Header=BB8_47 Depth=1
	ds_write_b32 v0, v42
	s_trap 2
.LBB8_1175:                             ;   in Loop: Header=BB8_47 Depth=1
	s_or_b64 exec, exec, s[54:55]
	;;#ASMSTART
	s_wakeup
	;;#ASMEND
.LBB8_1176:                             ;   in Loop: Header=BB8_47 Depth=1
	s_or_b64 exec, exec, s[30:31]
.LBB8_1177:                             ;   in Loop: Header=BB8_47 Depth=1
	s_andn2_saveexec_b64 s[26:27], s[26:27]
	s_cbranch_execz .LBB8_1179
; %bb.1178:                             ;   in Loop: Header=BB8_47 Depth=1
	;;#ASMSTART
	s_waitcnt lgkmcnt(0) vmcnt(0)
	;;#ASMEND
	s_barrier
.LBB8_1179:                             ;   in Loop: Header=BB8_47 Depth=1
	s_or_b64 exec, exec, s[26:27]
.LBB8_1180:                             ;   in Loop: Header=BB8_47 Depth=1
	s_or_b64 exec, exec, s[24:25]
	v_and_b32_e32 v0, 32, v62
	v_cmp_ne_u32_e32 vcc, 0, v0
	s_and_saveexec_b64 s[24:25], vcc
	s_cbranch_execz .LBB8_45
; %bb.1181:                             ;   in Loop: Header=BB8_47 Depth=1
	v_lshl_add_u64 v[20:21], v[20:21], 0, 4
	flat_store_dwordx2 v[22:23], v[20:21] sc0 sc1
	s_branch .LBB8_45
.LBB8_1182:
	s_or_b64 exec, exec, s[38:39]
	v_accvgpr_read_b32 v25, a11
	v_accvgpr_read_b32 v14, a0
	;; [unrolled: 1-line block ×5, first 2 shown]
.LBB8_1183:
	s_or_b64 exec, exec, s[36:37]
	v_and_b32_e32 v0, 0x800, v62
	v_cmp_eq_u32_e32 vcc, 0, v0
	s_and_saveexec_b64 s[0:1], vcc
	s_cbranch_execz .LBB8_1218
; %bb.1184:
	v_and_b32_e32 v0, 48, v62
	v_cmp_ne_u32_e32 vcc, 0, v0
	s_and_saveexec_b64 s[2:3], vcc
	s_cbranch_execz .LBB8_1186
; %bb.1185:
	flat_store_dwordx2 v[24:25], v[20:21] offset:104
.LBB8_1186:
	s_or_b64 exec, exec, s[2:3]
	s_movk_i32 s2, 0x88
	v_and_b32_e32 v0, 0x88, v62
	v_cmp_eq_u32_e32 vcc, s2, v0
	s_and_saveexec_b64 s[2:3], vcc
	s_cbranch_execz .LBB8_1198
; %bb.1187:
	v_and_b32_e32 v0, 7, v20
	v_xor_b32_e32 v0, 4, v0
	v_mad_u64_u32 v[0:1], s[4:5], v0, 24, v[44:45]
	v_lshl_add_u64 v[2:3], v[0:1], 0, 8
	s_mov_b64 s[4:5], 0
	v_mov_b32_e32 v0, 0
	s_movk_i32 s20, 0x270e
                                        ; implicit-def: $sgpr6_sgpr7
	s_branch .LBB8_1192
.LBB8_1188:                             ;   in Loop: Header=BB8_1192 Depth=1
	s_or_b64 exec, exec, s[18:19]
	v_mov_b32_e32 v1, 0
	s_orn2_b64 s[16:17], s[16:17], exec
.LBB8_1189:                             ;   in Loop: Header=BB8_1192 Depth=1
	s_or_b64 exec, exec, s[14:15]
	s_and_b64 s[14:15], s[16:17], exec
	v_mov_b32_e32 v0, v1
.LBB8_1190:                             ;   in Loop: Header=BB8_1192 Depth=1
	s_or_b64 exec, exec, s[12:13]
	s_xor_b64 s[12:13], s[14:15], -1
	s_andn2_b64 s[6:7], s[6:7], exec
	s_and_b64 s[12:13], s[12:13], exec
	s_or_b64 s[6:7], s[6:7], s[12:13]
.LBB8_1191:                             ;   in Loop: Header=BB8_1192 Depth=1
	s_or_b64 exec, exec, s[10:11]
	s_and_b64 s[10:11], exec, s[6:7]
	s_or_b64 s[4:5], s[10:11], s[4:5]
	s_andn2_b64 exec, exec, s[4:5]
	s_cbranch_execz .LBB8_1197
.LBB8_1192:                             ; =>This Inner Loop Header: Depth=1
	flat_load_dwordx2 v[4:5], v[2:3] sc0 sc1
	s_waitcnt vmcnt(0)
	s_or_b64 s[6:7], s[6:7], exec
	s_waitcnt lgkmcnt(0)
	v_cmp_ne_u64_e32 vcc, -1, v[4:5]
	s_and_saveexec_b64 s[10:11], vcc
	s_cbranch_execz .LBB8_1191
; %bb.1193:                             ;   in Loop: Header=BB8_1192 Depth=1
	v_and_b32_e32 v1, 64, v62
	v_cmp_eq_u32_e32 vcc, 0, v1
	s_mov_b64 s[14:15], 0
	s_and_saveexec_b64 s[12:13], vcc
	s_cbranch_execz .LBB8_1190
; %bb.1194:                             ;   in Loop: Header=BB8_1192 Depth=1
	v_add_u32_e32 v1, 1, v0
	v_cmp_lt_i32_e32 vcc, s20, v0
	s_mov_b64 s[16:17], -1
	s_and_saveexec_b64 s[14:15], vcc
	s_cbranch_execz .LBB8_1189
; %bb.1195:                             ;   in Loop: Header=BB8_1192 Depth=1
	s_trap 2
	ds_read_b64 v[0:1], v0
	s_waitcnt lgkmcnt(0)
	flat_load_dword v0, v[0:1] sc0 sc1
	s_waitcnt vmcnt(0) lgkmcnt(0)
	buffer_inv sc0 sc1
	v_cmp_ne_u32_e32 vcc, 0, v0
	s_and_saveexec_b64 s[18:19], vcc
	s_cbranch_execz .LBB8_1188
; %bb.1196:                             ;   in Loop: Header=BB8_1192 Depth=1
	v_or_b32_e32 v62, 64, v62
	s_xor_b64 s[16:17], exec, -1
	ds_write_b32 v0, v0
	s_trap 2
	s_branch .LBB8_1188
.LBB8_1197:
	s_or_b64 exec, exec, s[4:5]
.LBB8_1198:
	s_or_b64 exec, exec, s[2:3]
	v_and_b32_e32 v0, 0x2000, v62
	v_cmp_ne_u32_e32 vcc, 0, v0
	s_and_saveexec_b64 s[2:3], vcc
	s_cbranch_execz .LBB8_1200
; %bb.1199:
	s_trap 2
	ds_read_b64 v[0:1], v0
	v_accvgpr_read_b32 v2, a8
	v_accvgpr_read_b32 v3, a9
	s_waitcnt lgkmcnt(0)
	flat_store_dwordx2 v[2:3], v[0:1] offset:16
.LBB8_1200:
	s_or_b64 exec, exec, s[2:3]
	v_cmp_ne_u32_e32 vcc, 64, v14
	s_and_b64 exec, exec, vcc
	s_cbranch_execz .LBB8_1218
; %bb.1201:
	v_cmp_ne_u32_sdwa s[2:3], v15, v14 src0_sel:WORD_0 src1_sel:DWORD
	s_and_saveexec_b64 s[4:5], s[2:3]
	s_xor_b64 s[2:3], exec, s[4:5]
	s_cbranch_execz .LBB8_1216
; %bb.1202:
	v_and_b32_e32 v0, 63, v31
	v_cmp_eq_u32_e32 vcc, 0, v0
	s_and_saveexec_b64 s[4:5], vcc
	s_cbranch_execz .LBB8_1215
; %bb.1203:
	s_mov_b64 s[10:11], exec
	v_mbcnt_lo_u32_b32 v0, s10, 0
	v_mbcnt_hi_u32_b32 v0, s11, v0
	v_cmp_eq_u32_e32 vcc, 0, v0
	s_waitcnt lgkmcnt(0)
	s_and_saveexec_b64 s[6:7], vcc
	s_cbranch_execz .LBB8_1205
; %bb.1204:
	s_bcnt1_i32_b64 s10, s[10:11]
	v_mov_b32_e32 v0, s10
	v_mov_b32_e32 v1, 0
	ds_add_u64 v0, v[0:1]
	s_trap 2
.LBB8_1205:
	s_or_b64 exec, exec, s[6:7]
	v_ashrrev_i32_e32 v0, 31, v14
	v_lshrrev_b32_e32 v0, 26, v0
	s_trap 2
	ds_read_b64 v[2:3], v0
	v_add_u32_e32 v0, v14, v0
	v_ashrrev_i32_e32 v0, 6, v0
	v_ashrrev_i32_e32 v1, 31, v0
	v_lshl_add_u64 v[0:1], v[12:13], 0, v[0:1]
	s_waitcnt lgkmcnt(0)
	v_cmp_lt_u64_e32 vcc, v[2:3], v[0:1]
	s_and_saveexec_b64 s[6:7], vcc
	s_cbranch_execz .LBB8_1214
; %bb.1206:
	s_mov_b32 s22, 0
	s_mov_b64 s[10:11], 0
                                        ; implicit-def: $sgpr12_sgpr13
                                        ; implicit-def: $sgpr14_sgpr15
	s_branch .LBB8_1208
.LBB8_1207:                             ;   in Loop: Header=BB8_1208 Depth=1
	s_or_b64 exec, exec, s[20:21]
	s_and_b64 s[16:17], exec, s[18:19]
	s_or_b64 s[10:11], s[16:17], s[10:11]
	s_andn2_b64 s[12:13], s[12:13], exec
	s_and_b64 s[16:17], s[14:15], exec
	s_or_b64 s[12:13], s[12:13], s[16:17]
	s_andn2_b64 exec, exec, s[10:11]
	s_cbranch_execz .LBB8_1212
.LBB8_1208:                             ; =>This Inner Loop Header: Depth=1
	s_add_i32 s22, s22, 1
	s_cmpk_lg_i32 s22, 0x2710
	s_cselect_b64 s[16:17], -1, 0
	s_and_b64 vcc, exec, s[16:17]
                                        ; implicit-def: $sgpr20_sgpr21
	s_cbranch_vccnz .LBB8_1210
; %bb.1209:                             ;   in Loop: Header=BB8_1208 Depth=1
	s_trap 2
	ds_read_b64 v[2:3], v0
	s_andn2_b64 s[16:17], s[16:17], exec
	s_mov_b32 s22, 0
	s_mov_b64 s[20:21], -1
	s_waitcnt vmcnt(0) lgkmcnt(0)
	flat_load_dword v2, v[2:3] sc0 sc1
	s_waitcnt vmcnt(0) lgkmcnt(0)
	buffer_inv sc0 sc1
	v_cmp_eq_u32_e32 vcc, 0, v2
	s_and_b64 s[18:19], vcc, exec
	s_or_b64 s[16:17], s[16:17], s[18:19]
.LBB8_1210:                             ;   in Loop: Header=BB8_1208 Depth=1
	s_andn2_b64 s[14:15], s[14:15], exec
	s_and_b64 s[20:21], s[20:21], exec
	s_mov_b64 s[18:19], -1
	s_or_b64 s[14:15], s[14:15], s[20:21]
	s_and_saveexec_b64 s[20:21], s[16:17]
	s_cbranch_execz .LBB8_1207
; %bb.1211:                             ;   in Loop: Header=BB8_1208 Depth=1
	s_sleep 1
	s_trap 2
	ds_read_b64 v[2:3], v0
	s_andn2_b64 s[14:15], s[14:15], exec
	s_waitcnt lgkmcnt(0)
	v_cmp_ge_u64_e32 vcc, v[2:3], v[0:1]
	s_orn2_b64 s[18:19], vcc, exec
	s_branch .LBB8_1207
.LBB8_1212:
	s_or_b64 exec, exec, s[10:11]
	s_and_saveexec_b64 s[10:11], s[12:13]
	s_xor_b64 s[10:11], exec, s[10:11]
	s_cbranch_execz .LBB8_1214
; %bb.1213:
	v_mov_b32_e32 v0, 1
	ds_write_b32 v0, v0
	s_trap 2
.LBB8_1214:
	s_or_b64 exec, exec, s[6:7]
	;;#ASMSTART
	s_wakeup
	;;#ASMEND
.LBB8_1215:
	s_or_b64 exec, exec, s[4:5]
.LBB8_1216:
	s_andn2_saveexec_b64 s[2:3], s[2:3]
	s_cbranch_execz .LBB8_1218
; %bb.1217:
	s_waitcnt lgkmcnt(0)
	s_barrier
.LBB8_1218:
	s_or_b64 exec, exec, s[0:1]
.LBB8_1219:
	s_andn2_saveexec_b64 s[22:23], s[34:35]
	s_cbranch_execz .LBB8_1221
; %bb.1220:
	s_getpc_b64 s[0:1]
	s_add_u32 s0, s0, __PRETTY_FUNCTION__._ZN10PrimitivesI6__half8FuncProdIS0_E12FanSymmetricILi1EELi0E11ProtoSimpleILi1ELi4ELi0ELi2ELi0ELi0EELi0ELb0ELi0ELi0ELi0EEC2EiiPKiS9_PKvPvmhhhP15ncclDevWorkCollP14ncclDevWorkP2pii@rel32@lo+4
	s_addc_u32 s1, s1, __PRETTY_FUNCTION__._ZN10PrimitivesI6__half8FuncProdIS0_E12FanSymmetricILi1EELi0E11ProtoSimpleILi1ELi4ELi0ELi2ELi0ELi0EELi0ELb0ELi0ELi0ELi0EEC2EiiPKiS9_PKvPvmhhhP15ncclDevWorkCollP14ncclDevWorkP2pii@rel32@hi+12
	v_mov_b32_e32 v0, s0
	v_mov_b32_e32 v1, s1
	s_getpc_b64 s[2:3]
	s_add_u32 s2, s2, __assert_fail@rel32@lo+4
	s_addc_u32 s3, s3, __assert_fail@rel32@hi+12
	s_swappc_b64 s[30:31], s[2:3]
	; divergent unreachable
.LBB8_1221:
	s_or_b64 exec, exec, s[22:23]
	scratch_load_dword a45, off, s33        ; 4-byte Folded Reload
	scratch_load_dword a44, off, s33 offset:4 ; 4-byte Folded Reload
	scratch_load_dword a43, off, s33 offset:8 ; 4-byte Folded Reload
	;; [unrolled: 1-line block ×14, first 2 shown]
	s_waitcnt lgkmcnt(0)
	scratch_load_dword v61, off, s33 offset:60 ; 4-byte Folded Reload
	scratch_load_dword v60, off, s33 offset:64 ; 4-byte Folded Reload
	scratch_load_dword v59, off, s33 offset:68 ; 4-byte Folded Reload
	scratch_load_dword v58, off, s33 offset:72 ; 4-byte Folded Reload
	scratch_load_dword v57, off, s33 offset:76 ; 4-byte Folded Reload
	scratch_load_dword v56, off, s33 offset:80 ; 4-byte Folded Reload
	scratch_load_dword v47, off, s33 offset:84 ; 4-byte Folded Reload
	scratch_load_dword v46, off, s33 offset:88 ; 4-byte Folded Reload
	scratch_load_dword v45, off, s33 offset:92 ; 4-byte Folded Reload
	scratch_load_dword v44, off, s33 offset:96 ; 4-byte Folded Reload
	scratch_load_dword v43, off, s33 offset:100 ; 4-byte Folded Reload
	scratch_load_dword v42, off, s33 offset:104 ; 4-byte Folded Reload
	scratch_load_dword v41, off, s33 offset:108 ; 4-byte Folded Reload
	scratch_load_dword v40, off, s33 offset:112 ; 4-byte Folded Reload
	v_readlane_b32 s30, v63, 55
	v_readlane_b32 s31, v63, 56
	v_readlane_b32 s88, v63, 54
	v_readlane_b32 s87, v63, 53
	v_readlane_b32 s86, v63, 52
	v_readlane_b32 s85, v63, 51
	v_readlane_b32 s84, v63, 50
	v_readlane_b32 s83, v63, 49
	v_readlane_b32 s82, v63, 48
	v_readlane_b32 s81, v63, 47
	v_readlane_b32 s80, v63, 46
	v_readlane_b32 s79, v63, 45
	v_readlane_b32 s78, v63, 44
	v_readlane_b32 s77, v63, 43
	v_readlane_b32 s76, v63, 42
	v_readlane_b32 s75, v63, 41
	v_readlane_b32 s74, v63, 40
	v_readlane_b32 s73, v63, 39
	v_readlane_b32 s72, v63, 38
	v_readlane_b32 s71, v63, 37
	v_readlane_b32 s70, v63, 36
	v_readlane_b32 s69, v63, 35
	v_readlane_b32 s68, v63, 34
	v_readlane_b32 s67, v63, 33
	v_readlane_b32 s66, v63, 32
	v_readlane_b32 s65, v63, 31
	v_readlane_b32 s64, v63, 30
	v_readlane_b32 s63, v63, 29
	v_readlane_b32 s62, v63, 28
	v_readlane_b32 s61, v63, 27
	v_readlane_b32 s60, v63, 26
	v_readlane_b32 s59, v63, 25
	v_readlane_b32 s58, v63, 24
	v_readlane_b32 s57, v63, 23
	v_readlane_b32 s56, v63, 22
	v_readlane_b32 s55, v63, 21
	v_readlane_b32 s54, v63, 20
	v_readlane_b32 s53, v63, 19
	v_readlane_b32 s52, v63, 18
	v_readlane_b32 s51, v63, 17
	v_readlane_b32 s50, v63, 16
	v_readlane_b32 s49, v63, 15
	v_readlane_b32 s48, v63, 14
	v_readlane_b32 s47, v63, 13
	v_readlane_b32 s46, v63, 12
	v_readlane_b32 s45, v63, 11
	v_readlane_b32 s44, v63, 10
	v_readlane_b32 s43, v63, 9
	v_readlane_b32 s42, v63, 8
	v_readlane_b32 s41, v63, 7
	v_readlane_b32 s40, v63, 6
	v_readlane_b32 s39, v63, 5
	v_readlane_b32 s38, v63, 4
	v_readlane_b32 s37, v63, 3
	v_readlane_b32 s36, v63, 2
	v_readlane_b32 s35, v63, 1
	v_readlane_b32 s34, v63, 0
	v_readlane_b32 s0, v63, 57
	s_or_saveexec_b64 s[2:3], -1
	scratch_load_dword v63, off, s33 offset:116 ; 4-byte Folded Reload
	s_mov_b64 exec, s[2:3]
	s_addk_i32 s32, 0xff80
	s_mov_b32 s33, s0
	s_waitcnt vmcnt(0)
	s_setpc_b64 s[30:31]
.Lfunc_end8:
	.size	_ZN12_GLOBAL__N_17runRingI6__half8FuncProdIS1_E11ProtoSimpleILi1ELi4ELi0ELi2ELi0ELi0EELi0ELi0ELi2ELi0EEEviiP15ncclDevWorkColl, .Lfunc_end8-_ZN12_GLOBAL__N_17runRingI6__half8FuncProdIS1_E11ProtoSimpleILi1ELi4ELi0ELi2ELi0ELi0EELi0ELi0ELi2ELi0EEEviiP15ncclDevWorkColl
                                        ; -- End function
	.section	.AMDGPU.csdata,"",@progbits
; Function info:
; codeLenInByte = 39232
; NumSgprs: 95
; NumVgprs: 64
; NumAgprs: 46
; TotalNumVgprs: 110
; ScratchSize: 192
; MemoryBound: 1
	.text
	.p2align	2                               ; -- Begin function _ZN12_GLOBAL__N_17runRingI6__half8FuncProdIS1_E11ProtoSimpleILi2ELi2ELi0ELi2ELi0ELi0EELi0ELi0ELi2ELi0EEEviiP15ncclDevWorkColl
	.type	_ZN12_GLOBAL__N_17runRingI6__half8FuncProdIS1_E11ProtoSimpleILi2ELi2ELi0ELi2ELi0ELi0EELi0ELi0ELi2ELi0EEEviiP15ncclDevWorkColl,@function
_ZN12_GLOBAL__N_17runRingI6__half8FuncProdIS1_E11ProtoSimpleILi2ELi2ELi0ELi2ELi0ELi0EELi0ELi0ELi2ELi0EEEviiP15ncclDevWorkColl: ; @_ZN12_GLOBAL__N_17runRingI6__half8FuncProdIS1_E11ProtoSimpleILi2ELi2ELi0ELi2ELi0ELi0EELi0ELi0ELi2ELi0EEEviiP15ncclDevWorkColl
; %bb.0:
	s_waitcnt vmcnt(0) expcnt(0) lgkmcnt(0)
	s_mov_b32 s0, s33
	s_mov_b32 s33, s32
	s_or_saveexec_b64 s[2:3], -1
	scratch_store_dword off, v63, s33 offset:132 ; 4-byte Folded Spill
	s_mov_b64 exec, s[2:3]
	v_writelane_b32 v63, s0, 58
	s_addk_i32 s32, 0x90
	scratch_store_dword off, v40, s33 offset:128 ; 4-byte Folded Spill
	scratch_store_dword off, v41, s33 offset:124 ; 4-byte Folded Spill
	;; [unrolled: 1-line block ×32, first 2 shown]
	scratch_store_dword off, a49, s33       ; 4-byte Folded Spill
	v_writelane_b32 v63, s34, 0
	v_writelane_b32 v63, s35, 1
	;; [unrolled: 1-line block ×57, first 2 shown]
	s_nop 1
	v_writelane_b32 v63, s31, 57
	s_trap 2
	flat_load_dword v4, v[2:3]
	ds_read_b32 v5, v0
	v_mov_b32_e32 v24, v1
	v_mov_b32_e32 v52, v0
                                        ; implicit-def: $vgpr16_vgpr17
                                        ; implicit-def: $agpr4_agpr5
                                        ; implicit-def: $agpr6_agpr7
	s_waitcnt lgkmcnt(0)
	v_readfirstlane_b32 s72, v5
	s_waitcnt vmcnt(0)
	v_cmp_ne_u32_sdwa s[0:1], v4, v5 src0_sel:BYTE_0 src1_sel:DWORD
	s_and_saveexec_b64 s[2:3], s[0:1]
	s_xor_b64 s[0:1], exec, s[2:3]
	s_cbranch_execz .LBB9_6
; %bb.1:
	v_not_b32_sdwa v1, v4 dst_sel:DWORD dst_unused:UNUSED_PAD src0_sel:BYTE_0
	v_cmp_ne_u32_sdwa s[2:3], v4, v5 src0_sel:BYTE_1 src1_sel:DWORD
                                        ; implicit-def: $vgpr16_vgpr17
                                        ; implicit-def: $agpr4_agpr5
                                        ; implicit-def: $agpr6_agpr7
	s_and_saveexec_b64 s[4:5], s[2:3]
	s_xor_b64 s[2:3], exec, s[4:5]
	s_cbranch_execz .LBB9_3
; %bb.2:
	flat_load_dwordx4 v[6:9], v[2:3] offset:72
	flat_load_dwordx2 v[10:11], v[2:3] offset:96
	v_add_u32_e32 v1, v5, v1
	v_ashrrev_i32_e32 v4, 31, v1
	s_waitcnt vmcnt(0) lgkmcnt(0)
	v_mul_lo_u32 v4, v8, v4
	v_mad_u64_u32 v[6:7], s[4:5], v8, v1, v[6:7]
	v_mul_lo_u32 v1, v9, v1
	v_add3_u32 v7, v1, v7, v4
	v_accvgpr_write_b32 a4, v6
	v_accvgpr_write_b32 a6, v8
	v_lshrrev_b64 v[16:17], 13, v[10:11]
	v_accvgpr_write_b32 a5, v7
	v_accvgpr_write_b32 a7, v9
                                        ; implicit-def: $vgpr4
                                        ; implicit-def: $vgpr1
.LBB9_3:
	s_andn2_saveexec_b64 s[2:3], s[2:3]
	s_cbranch_execz .LBB9_5
; %bb.4:
	flat_load_dwordx4 v[6:9], v[2:3] offset:72
	flat_load_dwordx4 v[10:13], v[2:3] offset:88
	v_add_u32_sdwa v1, v4, v1 dst_sel:DWORD dst_unused:UNUSED_PAD src0_sel:BYTE_1 src1_sel:DWORD
	v_ashrrev_i32_e32 v4, 31, v1
	s_waitcnt vmcnt(0) lgkmcnt(0)
	v_mul_lo_u32 v4, v8, v4
	v_mad_u64_u32 v[6:7], s[4:5], v8, v1, v[6:7]
	v_mul_lo_u32 v1, v9, v1
	v_add3_u32 v7, v1, v7, v4
	v_accvgpr_write_b32 a4, v6
	v_accvgpr_write_b32 a6, v10
	;; [unrolled: 1-line block ×4, first 2 shown]
	v_lshrrev_b32_e32 v16, 2, v13
.LBB9_5:
	s_or_b64 exec, exec, s[2:3]
.LBB9_6:
	s_andn2_saveexec_b64 s[0:1], s[0:1]
	s_cbranch_execz .LBB9_8
; %bb.7:
	flat_load_dwordx2 v[4:5], v[2:3] offset:96
	flat_load_dwordx2 a[6:7], v[2:3] offset:72
	v_mov_b64_e32 v[0:1], 0
	v_accvgpr_write_b32 a5, v1
	v_accvgpr_write_b32 a4, v0
	s_waitcnt vmcnt(0) lgkmcnt(0)
	v_lshlrev_b64 v[16:17], 8, v[4:5]
.LBB9_8:
	s_or_b64 exec, exec, s[0:1]
	s_trap 2
	ds_read_b64 v[4:5], v0
	s_waitcnt lgkmcnt(0)
	v_cmp_ne_u32_e32 vcc, -1, v4
	s_nop 1
	v_cndmask_b32_e64 v1, 0, 1, vcc
	v_cmp_ne_u32_e32 vcc, -1, v5
	s_nop 1
	v_addc_co_u32_e64 v6, s[0:1], 0, v1, vcc
	v_lshlrev_b32_e32 v4, 1, v6
	v_cmp_le_i32_e64 s[0:1], v4, v24
	s_and_saveexec_b64 s[2:3], s[0:1]
	s_xor_b64 s[30:31], exec, s[2:3]
	s_cbranch_execz .LBB9_1244
; %bb.9:
	flat_load_dwordx2 v[18:19], v[2:3] offset:104
	flat_load_dwordx4 v[10:13], v[2:3] offset:16
	flat_load_ushort v5, v[2:3] offset:8
	flat_load_dword v4, v[2:3] offset:4
	s_trap 2
	s_load_dword s0, s[8:9], 0x0
	v_mov_b32_e32 v7, 0
	v_mov_b32_e32 v62, 4
	s_waitcnt lgkmcnt(0)
	s_cmp_lt_u32 s12, s0
	s_cselect_b32 s0, 12, 18
	s_add_u32 s0, s8, s0
	s_addc_u32 s1, s9, 0
	global_load_ushort v17, v7, s[0:1]
	ds_read_b32 v7, v0
	v_cmp_ge_i32_e64 s[0:1], v52, v1
	s_waitcnt lgkmcnt(0)
	v_readfirstlane_b32 s14, v7
	s_and_saveexec_b64 s[2:3], s[0:1]
	s_cbranch_execz .LBB9_19
; %bb.10:
	v_cmp_le_u32_e64 s[0:1], v6, v52
                                        ; implicit-def: $vgpr62
	s_and_saveexec_b64 s[4:5], s[0:1]
	s_xor_b64 s[0:1], exec, s[4:5]
	s_cbranch_execz .LBB9_16
; %bb.11:
	v_cndmask_b32_e64 v7, 0, 1, vcc
	v_sub_u32_e32 v7, v24, v7
	v_cmp_ge_u32_e32 vcc, v52, v7
                                        ; implicit-def: $sgpr6
	s_and_saveexec_b64 s[4:5], vcc
	s_xor_b64 s[4:5], exec, s[4:5]
; %bb.12:
	s_mov_b32 s6, 16
                                        ; implicit-def: $vgpr6
; %bb.13:
	s_or_saveexec_b64 s[4:5], s[4:5]
	v_mov_b32_e32 v62, s6
	s_xor_b64 exec, exec, s[4:5]
; %bb.14:
	v_sub_u32_e32 v6, v24, v6
	v_cmp_ge_i32_e32 vcc, v52, v6
	s_nop 1
	v_cndmask_b32_e64 v6, 0, 1, vcc
	v_lshlrev_b32_e32 v62, 5, v6
; %bb.15:
	s_or_b64 exec, exec, s[4:5]
.LBB9_16:
	s_andn2_saveexec_b64 s[0:1], s[0:1]
; %bb.17:
	v_mov_b32_e32 v62, 8
; %bb.18:
	s_or_b64 exec, exec, s[0:1]
.LBB9_19:
	s_or_b64 exec, exec, s[2:3]
	v_and_b32_e32 v6, 36, v62
	v_cmp_ne_u32_e32 vcc, 0, v6
	v_mov_b32_e32 v8, -1
	s_and_saveexec_b64 s[0:1], vcc
	s_cbranch_execz .LBB9_21
; %bb.20:
	s_trap 2
	ds_read_b32 v8, v0
.LBB9_21:
	s_or_b64 exec, exec, s[0:1]
	v_and_b32_e32 v6, 24, v62
	v_cmp_ne_u32_e64 s[0:1], 0, v6
	s_and_saveexec_b64 s[2:3], s[0:1]
	s_cbranch_execz .LBB9_23
; %bb.22:
	s_trap 2
	s_waitcnt lgkmcnt(0)
	ds_read_b32 v8, v0
.LBB9_23:
	s_or_b64 exec, exec, s[2:3]
	s_waitcnt vmcnt(0)
	v_lshrrev_b64 v[4:5], 31, v[4:5]
	v_mov_b64_e32 v[26:27], 0
	v_and_b32_e32 v4, 3, v4
	v_mov_b64_e32 v[44:45], v[26:27]
                                        ; implicit-def: $agpr8_agpr9
                                        ; implicit-def: $vgpr60
                                        ; implicit-def: $vgpr20_vgpr21
                                        ; implicit-def: $vgpr56_vgpr57
                                        ; implicit-def: $vgpr32_vgpr33
                                        ; implicit-def: $vgpr22_vgpr23
	s_and_saveexec_b64 s[0:1], vcc
	s_cbranch_execz .LBB9_33
; %bb.24:
	s_trap 2
	ds_read_b64 v[6:7], v0
	s_waitcnt lgkmcnt(1)
	v_ashrrev_i32_e32 v9, 31, v8
	v_and_b32_e32 v5, 0xffff, v4
	s_movk_i32 s2, 0xa8
                                        ; implicit-def: $agpr8_agpr9
	s_waitcnt lgkmcnt(0)
	v_lshl_add_u64 v[6:7], v[8:9], 3, v[6:7]
	flat_load_dwordx2 v[6:7], v[6:7]
	s_waitcnt vmcnt(0) lgkmcnt(0)
	v_mad_u64_u32 v[6:7], s[2:3], v5, s2, v[6:7]
	flat_load_dword v5, v[6:7] offset:640
	s_mov_b64 s[2:3], 0x1f8
	v_lshl_add_u64 v[26:27], v[6:7], 0, s[2:3]
	s_waitcnt vmcnt(0) lgkmcnt(0)
	v_cmp_eq_u32_e32 vcc, 1, v5
	s_and_saveexec_b64 s[2:3], vcc
	s_cbranch_execz .LBB9_26
; %bb.25:
	flat_load_dwordx2 v[14:15], v[26:27] offset:144
	v_or_b32_e32 v62, 0x2000, v62
	s_waitcnt vmcnt(0) lgkmcnt(0)
	flat_load_dwordx2 v[6:7], v[14:15]
	s_trap 2
	v_accvgpr_write_b32 a8, v14
	v_accvgpr_write_b32 a9, v15
	s_waitcnt vmcnt(0) lgkmcnt(0)
	ds_write_b64 v0, v[6:7]
	flat_load_dwordx2 v[6:7], v[14:15] offset:8
	s_waitcnt vmcnt(0) lgkmcnt(0)
	ds_write_b64 v0, v[6:7]
	flat_load_dwordx2 v[6:7], v[14:15] offset:16
	s_waitcnt vmcnt(0) lgkmcnt(0)
	ds_write_b64 v0, v[6:7]
.LBB9_26:
	s_or_b64 exec, exec, s[2:3]
	flat_load_dwordx2 v[6:7], v[26:27] offset:104
	v_and_b32_e32 v5, 32, v62
	v_cmp_ne_u32_e32 vcc, 0, v5
                                        ; implicit-def: $vgpr22_vgpr23
	s_waitcnt vmcnt(0) lgkmcnt(0)
	v_lshl_add_u64 v[20:21], v[6:7], 0, 3
	v_and_b32_e32 v20, -4, v20
	s_and_saveexec_b64 s[2:3], vcc
	s_cbranch_execz .LBB9_28
; %bb.27:
	flat_load_dwordx2 v[22:23], v[26:27] offset:56
	s_waitcnt vmcnt(0) lgkmcnt(0)
	flat_store_dwordx2 v[22:23], v[20:21] sc0 sc1
.LBB9_28:
	s_or_b64 exec, exec, s[2:3]
	v_and_b32_e32 v5, 4, v62
	v_cmp_ne_u32_e32 vcc, 0, v5
	v_mov_b64_e32 v[44:45], 0
                                        ; implicit-def: $vgpr60
                                        ; implicit-def: $vgpr56_vgpr57
                                        ; implicit-def: $vgpr32_vgpr33
	s_and_saveexec_b64 s[2:3], vcc
	s_cbranch_execz .LBB9_32
; %bb.29:
	v_and_b32_e32 v5, 0x800, v62
	v_cmp_eq_u32_e32 vcc, 0, v5
	s_and_saveexec_b64 s[4:5], vcc
	s_cbranch_execz .LBB9_31
; %bb.30:
	s_trap 2
	ds_write_b64 v0, v[26:27]
.LBB9_31:
	s_or_b64 exec, exec, s[4:5]
	flat_load_dwordx2 v[22:23], v[26:27] offset:48
	v_or_b32_e32 v9, 0x100, v62
	s_waitcnt vmcnt(0) lgkmcnt(0)
	flat_load_dwordx2 v[32:33], v[22:23] sc0 sc1
	flat_load_dword v5, v[26:27] offset:72
	flat_load_dwordx2 v[44:45], v[26:27] offset:96
	flat_load_dwordx2 v[56:57], v[26:27] offset:16
	s_waitcnt vmcnt(0) lgkmcnt(0)
	v_ashrrev_i32_e32 v60, 1, v5
	v_cmp_eq_u64_e32 vcc, 0, v[44:45]
	s_nop 1
	v_cndmask_b32_e32 v62, v9, v62, vcc
.LBB9_32:
	s_or_b64 exec, exec, s[2:3]
.LBB9_33:
	s_or_b64 exec, exec, s[0:1]
	v_and_b32_e32 v5, 24, v62
	v_cmp_ne_u32_e32 vcc, 0, v5
                                        ; implicit-def: $vgpr58_vgpr59
	s_and_saveexec_b64 s[0:1], vcc
	s_cbranch_execz .LBB9_41
; %bb.34:
	s_trap 2
	ds_read_b64 v[14:15], v0
	s_waitcnt lgkmcnt(0)
	v_ashrrev_i32_e32 v9, 31, v8
	v_and_b32_e32 v4, 0xffff, v4
	s_movk_i32 s2, 0xa8
                                        ; implicit-def: $vgpr58_vgpr59
	v_lshl_add_u64 v[8:9], v[8:9], 3, v[14:15]
	flat_load_dwordx2 v[8:9], v[8:9]
	s_waitcnt vmcnt(0) lgkmcnt(0)
	v_mad_u64_u32 v[26:27], s[2:3], v4, s2, v[8:9]
	flat_load_dwordx4 v[44:47], v[26:27] offset:96
	v_or_b32_e32 v4, 0x100, v62
	s_waitcnt vmcnt(0) lgkmcnt(0)
	v_cmp_eq_u64_e32 vcc, 0, v[44:45]
	s_nop 1
	v_cndmask_b32_e32 v62, v4, v62, vcc
	v_and_b32_e32 v4, 16, v62
	v_cmp_ne_u32_e32 vcc, 0, v4
	s_and_saveexec_b64 s[2:3], vcc
	s_cbranch_execz .LBB9_36
; %bb.35:
	flat_load_dwordx2 v[58:59], v[26:27] offset:120
	flat_load_dwordx2 v[22:23], v[26:27] offset:48
	;; [unrolled: 1-line block ×3, first 2 shown]
.LBB9_36:
	s_or_b64 exec, exec, s[2:3]
	v_lshl_add_u64 v[20:21], v[46:47], 0, 3
	v_and_b32_e32 v4, 8, v62
	v_and_b32_e32 v20, -4, v20
	v_cmp_ne_u32_e32 vcc, 0, v4
	s_and_saveexec_b64 s[2:3], vcc
	s_cbranch_execz .LBB9_40
; %bb.37:
	v_and_b32_e32 v4, 0x800, v62
	v_cmp_eq_u32_e32 vcc, 0, v4
	s_and_saveexec_b64 s[4:5], vcc
	s_cbranch_execz .LBB9_39
; %bb.38:
	s_trap 2
	ds_write_b64 v0, v[26:27]
.LBB9_39:
	s_or_b64 exec, exec, s[4:5]
	s_waitcnt vmcnt(0) lgkmcnt(0)
	flat_load_dwordx2 v[22:23], v[26:27] offset:56
	s_waitcnt vmcnt(0) lgkmcnt(0)
	flat_load_dwordx2 v[32:33], v[22:23] sc0 sc1
	flat_load_dword v4, v[26:27] offset:72
	flat_load_dwordx2 v[56:57], v[26:27] offset:16
	s_waitcnt vmcnt(0) lgkmcnt(0)
	v_ashrrev_i32_e32 v60, 1, v4
.LBB9_40:
	s_or_b64 exec, exec, s[2:3]
.LBB9_41:
	s_or_b64 exec, exec, s[0:1]
	v_cmp_eq_u32_e64 s[0:1], 0, v52
	s_and_saveexec_b64 s[2:3], s[0:1]
	s_cbranch_execz .LBB9_43
; %bb.42:
	flat_load_dwordx2 v[4:5], v[2:3] offset:32
	s_waitcnt lgkmcnt(0)
	v_mov_b32_e32 v8, v12
	v_mov_b32_e32 v9, v13
	ds_write2_b64 v0, v[8:9], v[10:11] offset1:1
	s_trap 2
	s_waitcnt vmcnt(0)
	ds_write_b64 v0, v[4:5]
	ds_write_b64 v0, v[18:19]
.LBB9_43:
	s_or_b64 exec, exec, s[2:3]
	v_accvgpr_read_b32 v4, a6
	v_accvgpr_read_b32 v5, a7
	s_mov_b64 s[36:37], 0
	v_cmp_lt_i64_e32 vcc, 0, v[4:5]
	v_mov_b64_e32 v[12:13], 0
	s_and_saveexec_b64 s[34:35], vcc
	s_cbranch_execz .LBB9_1208
; %bb.44:
	flat_load_dword v4, v[2:3] offset:4
	v_and_b32_e32 v2, 0x1fffff00, v16
	s_ashr_i32 s15, s14, 31
	v_and_b32_e32 v5, 63, v31
	s_waitcnt lgkmcnt(0)
	v_ashrrev_i32_e32 v8, 31, v52
	v_mad_i64_i32 v[14:15], s[12:13], v2, s72, 0
	s_lshr_b32 s15, s15, 29
	v_cmp_eq_u32_e64 s[12:13], 0, v5
	v_lshrrev_b32_e32 v5, 26, v8
	s_add_i32 s20, s14, s15
	s_ashr_i32 s73, s72, 31
	v_lshrrev_b32_e32 v34, 6, v24
	v_mov_b32_e32 v9, 0xfffff000
	v_mov_b32_e32 v10, 0xfffff800
	v_add_u32_e32 v5, v52, v5
	s_ashr_i32 s21, s20, 4
	v_lshl_add_u32 v8, v34, 12, v9
	v_lshl_add_u32 v10, v34, 11, v10
	v_ashrrev_i32_e32 v46, 6, v5
	v_and_b32_e32 v5, 0xffffffc0, v5
	s_add_u32 s44, s72, -1
	s_mov_b64 s[16:17], 0x1000
	s_mov_b64 s[18:19], 0x800
	v_ashrrev_i32_e32 v9, 31, v8
	v_ashrrev_i32_e32 v11, 31, v10
	v_sub_u32_e32 v0, v52, v5
	v_lshlrev_b32_e32 v5, 12, v46
	s_addc_u32 s45, s73, -1
	s_add_i32 s75, s72, s72
	s_not_b32 s22, s72
	v_lshl_add_u64 v[28:29], v[8:9], 0, s[16:17]
	v_lshl_add_u64 v[54:55], v[10:11], 0, s[18:19]
	v_lshlrev_b32_e32 v8, 11, v46
	v_lshl_add_u32 v10, v0, 4, v5
	s_cmp_gt_i32 s72, 0
	v_cmp_gt_i32_e64 s[14:15], 1, v0
	v_cmp_lt_i32_e64 s[16:17], v0, v1
	v_accvgpr_write_b32 a31, v0
	v_cmp_le_i32_e64 s[18:19], v0, v1
	v_sub_u32_e32 v0, v10, v8
	s_cselect_b32 s22, s22, -1
	s_ashr_i32 s20, s20, 31
	v_ashrrev_i32_e32 v1, 31, v0
	s_lshr_b32 s20, s20, 28
	v_accvgpr_write_b32 a37, v1
	s_add_i32 s76, s22, s75
	s_add_i32 s21, s21, s20
	v_accvgpr_write_b32 a36, v0
	s_ashr_i32 s77, s76, 31
	s_ashr_i32 s78, s21, 4
	s_cmp_gt_i32 s72, 2
	v_lshlrev_b32_e32 v47, 10, v34
	s_cselect_b64 s[46:47], -1, 0
	s_add_i32 s22, s72, 1
	v_lshlrev_b32_e32 v61, 7, v34
	v_add_u32_e32 v12, 0xfffffc00, v47
	v_mov_b32_e32 v3, 0
	v_add_u32_e32 v50, 0xffffff80, v61
	v_ashrrev_i32_e32 v13, 31, v12
	v_ashrrev_i32_e32 v11, 31, v10
	v_accvgpr_write_b32 a10, v26
	v_cmp_ge_i32_e32 vcc, v52, v24
	v_ashrrev_i32_e32 v53, 31, v60
	s_mov_b64 s[40:41], 0x400
	s_mov_b64 s[42:43], 0x80
	v_mov_b64_e32 v[6:7], 0
	v_ashrrev_i32_e32 v51, 31, v50
	v_accvgpr_write_b32 a27, v13
	v_accvgpr_write_b32 a35, v11
	v_accvgpr_write_b32 a39, v3
	v_accvgpr_write_b32 a12, v44
	s_waitcnt vmcnt(0)
	v_accvgpr_write_b32 a16, v56
	v_accvgpr_write_b32 a18, v58
	;; [unrolled: 1-line block ×7, first 2 shown]
	v_cmp_eq_u32_e64 s[2:3], 64, v24
	v_and_b32_e32 v1, 1, v4
	v_cmp_eq_u32_e64 s[20:21], 1, v1
	s_xor_b64 s[48:49], s[20:21], -1
	s_cmp_le_i32 s72, s22
	s_cselect_b32 s23, s72, 0
	s_sub_i32 s80, s22, s23
	v_accvgpr_read_b32 v0, a6
	v_cmp_ne_u32_e64 s[4:5], 64, v24
	v_accvgpr_write_b32 a2, v17
	v_cmp_ne_u32_sdwa s[38:39], v17, v24 src0_sel:WORD_0 src1_sel:DWORD
	v_accvgpr_write_b32 a0, v24
	s_movk_i32 s74, 0xff80
	v_cmp_eq_u64_e64 s[6:7], 0, v[58:59]
	v_cmp_ne_u64_e64 s[10:11], 0, v[58:59]
	v_mov_b32_e32 v35, v3
	v_accvgpr_write_b32 a26, v12
	v_lshl_add_u64 v[40:41], v[12:13], 0, s[40:41]
	v_lshl_add_u64 v[42:43], v[50:51], 0, s[42:43]
	v_accvgpr_write_b32 a34, v10
	s_add_i32 s79, s72, -2
	s_xor_b64 s[50:51], vcc, -1
	s_ashr_i32 s81, s80, 31
	s_movk_i32 s82, 0x270e
	v_mov_b32_e32 v48, 1
	s_movk_i32 s83, 0x108
	s_mov_b64 s[52:53], 0x380
	s_movk_i32 s84, 0xfc80
	s_movk_i32 s85, 0xfd00
	;; [unrolled: 1-line block ×3, first 2 shown]
	v_accvgpr_write_b32 a38, v2
	v_mov_b64_e32 v[12:13], v[6:7]
	v_accvgpr_read_b32 v1, a7
	v_accvgpr_write_b32 a13, v45
	v_accvgpr_write_b32 a14, v60
	;; [unrolled: 1-line block ×10, first 2 shown]
	s_trap 2
	s_branch .LBB9_47
.LBB9_45:                               ;   in Loop: Header=BB9_47 Depth=1
	s_or_b64 exec, exec, s[26:27]
.LBB9_46:                               ;   in Loop: Header=BB9_47 Depth=1
	s_or_b64 exec, exec, s[24:25]
	v_accvgpr_read_b32 v6, a20
	v_accvgpr_read_b32 v14, a22
	;; [unrolled: 1-line block ×5, first 2 shown]
	v_lshl_add_u64 v[6:7], v[6:7], 0, v[14:15]
	v_accvgpr_read_b32 v1, a7
	v_cmp_ge_i64_e32 vcc, v[6:7], v[0:1]
	s_or_b64 s[36:37], vcc, s[36:37]
	s_andn2_b64 exec, exec, s[36:37]
	s_cbranch_execz .LBB9_1207
.LBB9_47:                               ; =>This Loop Header: Depth=1
                                        ;     Child Loop BB9_57 Depth 2
                                        ;       Child Loop BB9_65 Depth 3
                                        ;       Child Loop BB9_89 Depth 3
	;; [unrolled: 1-line block ×9, first 2 shown]
                                        ;     Child Loop BB9_199 Depth 2
                                        ;       Child Loop BB9_205 Depth 3
                                        ;       Child Loop BB9_234 Depth 3
	;; [unrolled: 1-line block ×3, first 2 shown]
                                        ;     Child Loop BB9_271 Depth 2
                                        ;       Child Loop BB9_274 Depth 3
                                        ;         Child Loop BB9_282 Depth 4
                                        ;         Child Loop BB9_308 Depth 4
	;; [unrolled: 1-line block ×9, first 2 shown]
                                        ;       Child Loop BB9_418 Depth 3
                                        ;         Child Loop BB9_424 Depth 4
                                        ;         Child Loop BB9_462 Depth 4
	;; [unrolled: 1-line block ×3, first 2 shown]
                                        ;     Child Loop BB9_491 Depth 2
                                        ;       Child Loop BB9_499 Depth 3
                                        ;       Child Loop BB9_525 Depth 3
	;; [unrolled: 1-line block ×9, first 2 shown]
                                        ;         Child Loop BB9_585 Depth 4
                                        ;       Child Loop BB9_594 Depth 3
                                        ;       Child Loop BB9_599 Depth 3
                                        ;         Child Loop BB9_600 Depth 4
                                        ;       Child Loop BB9_572 Depth 3
                                        ;       Child Loop BB9_651 Depth 3
                                        ;     Child Loop BB9_669 Depth 2
                                        ;       Child Loop BB9_675 Depth 3
                                        ;       Child Loop BB9_705 Depth 3
	;; [unrolled: 1-line block ×3, first 2 shown]
                                        ;     Child Loop BB9_743 Depth 2
                                        ;       Child Loop BB9_746 Depth 3
                                        ;         Child Loop BB9_754 Depth 4
                                        ;         Child Loop BB9_780 Depth 4
	;; [unrolled: 1-line block ×9, first 2 shown]
                                        ;           Child Loop BB9_840 Depth 5
                                        ;         Child Loop BB9_849 Depth 4
                                        ;         Child Loop BB9_854 Depth 4
                                        ;           Child Loop BB9_855 Depth 5
                                        ;         Child Loop BB9_827 Depth 4
                                        ;         Child Loop BB9_906 Depth 4
                                        ;       Child Loop BB9_924 Depth 3
                                        ;         Child Loop BB9_930 Depth 4
                                        ;         Child Loop BB9_960 Depth 4
	;; [unrolled: 1-line block ×3, first 2 shown]
                                        ;     Child Loop BB9_1001 Depth 2
                                        ;       Child Loop BB9_1009 Depth 3
                                        ;       Child Loop BB9_1033 Depth 3
	;; [unrolled: 1-line block ×9, first 2 shown]
                                        ;     Child Loop BB9_1141 Depth 2
                                        ;       Child Loop BB9_1147 Depth 3
                                        ;       Child Loop BB9_1171 Depth 3
	;; [unrolled: 1-line block ×3, first 2 shown]
	v_sub_co_u32_e32 v0, vcc, v0, v6
	s_nop 1
	v_subb_co_u32_e32 v1, vcc, v1, v7, vcc
	v_accvgpr_write_b32 a41, v1
	v_accvgpr_write_b32 a40, v0
	v_cmp_lt_i64_e32 vcc, v[0:1], v[14:15]
	s_mov_b64 s[24:25], exec
	v_accvgpr_write_b32 a21, v7
	v_accvgpr_write_b32 a20, v6
	v_accvgpr_read_b32 v6, a26
	s_and_b64 s[22:23], s[24:25], vcc
	v_accvgpr_read_b32 v7, a27
	s_mov_b64 exec, s[22:23]
	s_cbranch_execz .LBB9_53
; %bb.48:                               ;   in Loop: Header=BB9_47 Depth=1
	v_accvgpr_read_b32 v0, a40
	v_accvgpr_read_b32 v1, a41
	v_lshl_add_u64 v[8:9], s[44:45], 0, v[0:1]
	v_or_b32_e32 v5, s73, v9
	v_mov_b32_e32 v4, v3
	v_cmp_ne_u64_e32 vcc, 0, v[4:5]
                                        ; implicit-def: $vgpr4_vgpr5
	s_and_saveexec_b64 s[22:23], vcc
	s_xor_b64 s[26:27], exec, s[22:23]
	s_cbranch_execz .LBB9_50
; %bb.49:                               ;   in Loop: Header=BB9_47 Depth=1
	s_add_u32 s22, s72, s73
	s_mov_b32 s28, s73
	s_mov_b32 s29, s73
	s_addc_u32 s23, s73, s73
	s_xor_b64 s[54:55], s[22:23], s[28:29]
	v_cvt_f32_u32_e32 v1, s54
	v_cvt_f32_u32_e32 v2, s55
	s_sub_u32 s22, 0, s54
	s_subb_u32 s23, 0, s55
	v_fmac_f32_e32 v1, 0x4f800000, v2
	v_rcp_f32_e32 v1, v1
	s_nop 0
	v_mul_f32_e32 v1, 0x5f7ffffc, v1
	v_mul_f32_e32 v2, 0x2f800000, v1
	v_trunc_f32_e32 v2, v2
	v_fmac_f32_e32 v1, 0xcf800000, v2
	v_cvt_u32_f32_e32 v10, v2
	v_cvt_u32_f32_e32 v1, v1
	v_mul_lo_u32 v2, s22, v10
	v_mul_hi_u32 v5, s22, v1
	v_mul_lo_u32 v4, s23, v1
	v_add_u32_e32 v2, v5, v2
	v_mul_lo_u32 v11, s22, v1
	v_add_u32_e32 v14, v2, v4
	v_mul_hi_u32 v5, v1, v14
	v_mul_lo_u32 v4, v1, v14
	v_mul_hi_u32 v2, v1, v11
	v_lshl_add_u64 v[4:5], v[2:3], 0, v[4:5]
	v_mul_hi_u32 v2, v10, v11
	v_mul_lo_u32 v11, v10, v11
	v_add_co_u32_e32 v4, vcc, v4, v11
	v_mul_hi_u32 v15, v10, v14
	s_nop 0
	v_addc_co_u32_e32 v2, vcc, v5, v2, vcc
	v_mul_lo_u32 v4, v10, v14
	s_nop 0
	v_addc_co_u32_e32 v5, vcc, 0, v15, vcc
	v_lshl_add_u64 v[4:5], v[2:3], 0, v[4:5]
	v_add_co_u32_e32 v1, vcc, v1, v4
	v_mul_hi_u32 v4, s22, v1
	s_nop 0
	v_addc_co_u32_e32 v10, vcc, v10, v5, vcc
	v_mul_lo_u32 v2, s22, v10
	v_add_u32_e32 v2, v4, v2
	v_mul_lo_u32 v4, s23, v1
	v_add_u32_e32 v11, v2, v4
	v_mul_lo_u32 v2, s22, v1
	v_mul_hi_u32 v15, v10, v2
	v_mul_lo_u32 v16, v10, v2
	v_mul_hi_u32 v5, v1, v11
	;; [unrolled: 2-line block ×3, first 2 shown]
	v_lshl_add_u64 v[4:5], v[2:3], 0, v[4:5]
	v_add_co_u32_e32 v2, vcc, v4, v16
	v_mul_hi_u32 v14, v10, v11
	s_nop 0
	v_addc_co_u32_e32 v2, vcc, v5, v15, vcc
	v_mul_lo_u32 v4, v10, v11
	s_nop 0
	v_addc_co_u32_e32 v5, vcc, 0, v14, vcc
	v_lshl_add_u64 v[4:5], v[2:3], 0, v[4:5]
	v_add_co_u32_e32 v1, vcc, v1, v4
	v_ashrrev_i32_e32 v4, 31, v9
	s_nop 0
	v_addc_co_u32_e32 v10, vcc, v10, v5, vcc
	v_mov_b32_e32 v5, v4
	v_lshl_add_u64 v[8:9], v[8:9], 0, v[4:5]
	v_xor_b32_e32 v16, v8, v4
	v_xor_b32_e32 v5, v9, v4
	v_mad_u64_u32 v[8:9], s[22:23], v16, v10, 0
	v_mul_hi_u32 v2, v16, v1
	v_lshl_add_u64 v[8:9], v[2:3], 0, v[8:9]
	v_mad_u64_u32 v[14:15], s[22:23], v5, v1, 0
	v_add_co_u32_e32 v1, vcc, v8, v14
	v_mad_u64_u32 v[10:11], s[22:23], v5, v10, 0
	s_nop 0
	v_addc_co_u32_e32 v2, vcc, v9, v15, vcc
	s_nop 1
	v_addc_co_u32_e32 v11, vcc, 0, v11, vcc
	v_lshl_add_u64 v[8:9], v[2:3], 0, v[10:11]
	v_mul_lo_u32 v1, s55, v8
	v_mul_lo_u32 v2, s54, v9
	v_mad_u64_u32 v[10:11], s[22:23], s54, v8, 0
	v_add3_u32 v1, v11, v2, v1
	v_sub_u32_e32 v2, v5, v1
	v_mov_b32_e32 v11, s55
	v_sub_co_u32_e32 v16, vcc, v16, v10
	v_lshl_add_u64 v[14:15], v[8:9], 0, 1
	s_nop 0
	v_subb_co_u32_e64 v2, s[22:23], v2, v11, vcc
	v_subrev_co_u32_e64 v10, s[22:23], s54, v16
	v_subb_co_u32_e32 v1, vcc, v5, v1, vcc
	s_nop 0
	v_subbrev_co_u32_e64 v2, s[22:23], 0, v2, s[22:23]
	v_cmp_le_u32_e64 s[22:23], s55, v2
	v_cmp_le_u32_e32 vcc, s55, v1
	s_nop 0
	v_cndmask_b32_e64 v11, 0, -1, s[22:23]
	v_cmp_le_u32_e64 s[22:23], s54, v10
	v_cndmask_b32_e64 v5, 0, -1, vcc
	v_cmp_le_u32_e32 vcc, s54, v16
	v_cndmask_b32_e64 v10, 0, -1, s[22:23]
	v_cmp_eq_u32_e64 s[22:23], s55, v2
	s_nop 1
	v_cndmask_b32_e64 v2, v11, v10, s[22:23]
	v_lshl_add_u64 v[10:11], v[8:9], 0, 2
	v_cmp_ne_u32_e64 s[22:23], 0, v2
	s_nop 1
	v_cndmask_b32_e64 v2, v15, v11, s[22:23]
	v_cndmask_b32_e64 v11, 0, -1, vcc
	v_cmp_eq_u32_e32 vcc, s55, v1
	s_nop 1
	v_cndmask_b32_e32 v1, v5, v11, vcc
	v_cmp_ne_u32_e32 vcc, 0, v1
	v_xor_b32_e32 v5, s29, v4
	v_xor_b32_e32 v4, s28, v4
	v_cndmask_b32_e32 v1, v9, v2, vcc
	v_cndmask_b32_e64 v2, v14, v10, s[22:23]
	v_cndmask_b32_e32 v2, v8, v2, vcc
	v_xor_b32_e32 v2, v2, v4
	v_xor_b32_e32 v1, v1, v5
	v_sub_co_u32_e32 v4, vcc, v2, v4
                                        ; implicit-def: $vgpr8_vgpr9
	s_nop 1
	v_subb_co_u32_e32 v5, vcc, v1, v5, vcc
.LBB9_50:                               ;   in Loop: Header=BB9_47 Depth=1
	s_andn2_saveexec_b64 s[22:23], s[26:27]
	s_cbranch_execz .LBB9_52
; %bb.51:                               ;   in Loop: Header=BB9_47 Depth=1
	v_cvt_f32_u32_e32 v1, s72
	s_sub_i32 s26, 0, s72
	v_rcp_iflag_f32_e32 v1, v1
	s_nop 0
	v_mul_f32_e32 v1, 0x4f7ffffe, v1
	v_cvt_u32_f32_e32 v1, v1
	v_mul_lo_u32 v2, s26, v1
	v_mul_hi_u32 v2, v1, v2
	v_add_u32_e32 v1, v1, v2
	v_mul_hi_u32 v1, v8, v1
	v_mul_lo_u32 v2, v1, s72
	v_sub_u32_e32 v2, v8, v2
	v_add_u32_e32 v4, 1, v1
	v_subrev_u32_e32 v5, s72, v2
	v_cmp_le_u32_e32 vcc, s72, v2
	s_nop 1
	v_cndmask_b32_e32 v2, v2, v5, vcc
	v_cndmask_b32_e32 v1, v1, v4, vcc
	v_add_u32_e32 v4, 1, v1
	v_cmp_le_u32_e32 vcc, s72, v2
	s_nop 1
	v_cndmask_b32_e32 v2, v1, v4, vcc
	v_mov_b64_e32 v[4:5], v[2:3]
.LBB9_52:                               ;   in Loop: Header=BB9_47 Depth=1
	s_or_b64 exec, exec, s[22:23]
	v_lshl_add_u64 v[0:1], v[4:5], 0, 7
	v_and_b32_e32 v0, -8, v0
	v_accvgpr_write_b32 a39, v1
	v_accvgpr_write_b32 a38, v0
.LBB9_53:                               ;   in Loop: Header=BB9_47 Depth=1
	s_or_b64 exec, exec, s[24:25]
	v_accvgpr_read_b32 v8, a38
	v_accvgpr_read_b32 v9, a39
	v_mul_lo_u32 v1, v9, s76
	v_mul_lo_u32 v2, v8, s77
	v_mad_u64_u32 v[26:27], s[22:23], v8, s76, 0
	v_add3_u32 v27, v27, v2, v1
	v_accvgpr_read_b32 v0, a4
	v_accvgpr_read_b32 v4, a20
	;; [unrolled: 1-line block ×4, first 2 shown]
	v_lshl_add_u64 v[16:17], v[4:5], 0, v[0:1]
	v_accvgpr_read_b32 v0, a40
	v_accvgpr_read_b32 v1, a41
	v_sub_co_u32_e32 v4, vcc, v0, v26
	v_mov_b32_e32 v10, 0
	s_nop 0
	v_subb_co_u32_e32 v5, vcc, v1, v27, vcc
	v_cmp_lt_i64_e32 vcc, v[8:9], v[4:5]
	s_nop 1
	v_cndmask_b32_e32 v2, v4, v8, vcc
	v_max_i32_e32 v1, 0, v2
	v_add_u32_e32 v4, 31, v1
	v_ashrrev_i32_e32 v5, 31, v4
	v_lshrrev_b32_e32 v5, 27, v5
	v_add_u32_e32 v4, v4, v5
	v_ashrrev_i32_e32 v4, 5, v4
	v_lshlrev_b32_e32 v4, 4, v4
	v_max_i32_e32 v8, s78, v4
	v_cmp_lt_i32_e32 vcc, 0, v2
	v_mov_b32_e32 v2, 0
	s_and_b64 s[22:23], s[50:51], vcc
	s_mov_b64 s[24:25], exec
	v_accvgpr_write_b32 a43, v17
	s_and_b64 s[22:23], s[24:25], s[22:23]
	v_accvgpr_write_b32 a42, v16
	s_mov_b64 exec, s[22:23]
	s_cbranch_execz .LBB9_195
; %bb.54:                               ;   in Loop: Header=BB9_47 Depth=1
	v_accvgpr_write_b32 a45, v27
	s_mov_b32 s70, 1
	s_mov_b64 s[28:29], -1
	s_mov_b64 s[26:27], 0
	v_mov_b32_e32 v10, 0
	v_accvgpr_write_b32 a44, v26
	s_branch .LBB9_57
.LBB9_55:                               ;   in Loop: Header=BB9_57 Depth=2
	s_or_b64 exec, exec, vcc
	v_lshl_add_u64 v[20:21], v[20:21], 0, 2
	flat_store_dwordx2 v[22:23], v[20:21] sc0 sc1
.LBB9_56:                               ;   in Loop: Header=BB9_57 Depth=2
	s_or_b64 exec, exec, s[22:23]
	v_add_u32_e32 v10, v8, v10
	v_cmp_ge_i32_e32 vcc, v10, v1
	s_xor_b64 s[22:23], s[28:29], -1
	s_or_b64 s[22:23], s[22:23], vcc
	s_and_b64 s[22:23], exec, s[22:23]
	s_or_b64 s[26:27], s[22:23], s[26:27]
	s_mov_b64 s[28:29], 0
	v_mov_b32_e32 v2, s70
	s_mov_b32 s70, 2
	s_andn2_b64 exec, exec, s[26:27]
	s_cbranch_execz .LBB9_194
.LBB9_57:                               ;   Parent Loop BB9_47 Depth=1
                                        ; =>  This Loop Header: Depth=2
                                        ;       Child Loop BB9_65 Depth 3
                                        ;       Child Loop BB9_89 Depth 3
	;; [unrolled: 1-line block ×9, first 2 shown]
	s_and_saveexec_b64 s[22:23], s[0:1]
	s_cbranch_execz .LBB9_59
; %bb.58:                               ;   in Loop: Header=BB9_57 Depth=2
	s_trap 2
	ds_read_b64 v[4:5], v0
	v_ashrrev_i32_e32 v11, 31, v10
	v_mov_b32_e32 v2, v3
	s_waitcnt lgkmcnt(0)
	v_lshl_add_u64 v[4:5], v[16:17], 1, v[4:5]
	v_lshl_add_u64 v[4:5], v[26:27], 1, v[4:5]
	;; [unrolled: 1-line block ×3, first 2 shown]
	ds_write_b64 v0, v[4:5]
	ds_write_b64 v0, v[2:3]
.LBB9_59:                               ;   in Loop: Header=BB9_57 Depth=2
	s_or_b64 exec, exec, s[22:23]
	v_and_b32_e32 v2, 8, v62
	v_cmp_ne_u32_e32 vcc, 0, v2
	s_mov_b64 s[54:55], -1
	s_and_saveexec_b64 s[22:23], vcc
	s_cbranch_execz .LBB9_71
; %bb.60:                               ;   in Loop: Header=BB9_57 Depth=2
	v_lshl_add_u64 v[14:15], v[32:33], 0, 8
	v_lshl_add_u64 v[4:5], v[20:21], 0, 2
	v_cmp_lt_u64_e32 vcc, v[14:15], v[4:5]
	v_mov_b32_e32 v2, 1
	s_and_saveexec_b64 s[54:55], vcc
	s_cbranch_execz .LBB9_70
; %bb.61:                               ;   in Loop: Header=BB9_57 Depth=2
	s_mov_b64 s[56:57], 0
	v_mov_b32_e32 v2, 0
                                        ; implicit-def: $sgpr58_sgpr59
	s_branch .LBB9_65
.LBB9_62:                               ;   in Loop: Header=BB9_65 Depth=3
	s_or_b64 exec, exec, s[66:67]
	v_mov_b32_e32 v9, 0
	s_orn2_b64 s[64:65], s[64:65], exec
.LBB9_63:                               ;   in Loop: Header=BB9_65 Depth=3
	s_or_b64 exec, exec, s[62:63]
	s_andn2_b64 vcc, s[58:59], exec
	s_and_b64 s[58:59], s[64:65], exec
	s_or_b64 s[58:59], vcc, s[58:59]
	v_mov_b32_e32 v2, v9
.LBB9_64:                               ;   in Loop: Header=BB9_65 Depth=3
	s_or_b64 exec, exec, s[60:61]
	s_waitcnt vmcnt(0) lgkmcnt(0)
	v_lshl_add_u64 v[14:15], v[32:33], 0, 8
	v_cmp_ge_u64_e32 vcc, v[14:15], v[4:5]
	s_xor_b64 s[60:61], s[58:59], -1
	s_or_b64 vcc, s[60:61], vcc
	s_and_b64 vcc, exec, vcc
	s_or_b64 s[56:57], vcc, s[56:57]
	s_andn2_b64 exec, exec, s[56:57]
	s_cbranch_execz .LBB9_69
.LBB9_65:                               ;   Parent Loop BB9_47 Depth=1
                                        ;     Parent Loop BB9_57 Depth=2
                                        ; =>    This Inner Loop Header: Depth=3
	s_sleep 1
	flat_load_dwordx2 v[32:33], v[22:23] sc0 sc1
	v_and_b32_e32 v9, 64, v62
	v_cmp_eq_u32_e32 vcc, 0, v9
	s_andn2_b64 s[58:59], s[58:59], exec
	s_and_saveexec_b64 s[60:61], vcc
	s_cbranch_execz .LBB9_64
; %bb.66:                               ;   in Loop: Header=BB9_65 Depth=3
	v_add_u32_e32 v9, 1, v2
	v_cmp_lt_i32_e32 vcc, s82, v2
	s_mov_b64 s[64:65], -1
	s_and_saveexec_b64 s[62:63], vcc
	s_cbranch_execz .LBB9_63
; %bb.67:                               ;   in Loop: Header=BB9_65 Depth=3
	s_trap 2
	ds_read_b64 v[14:15], v0
	s_waitcnt vmcnt(0) lgkmcnt(0)
	flat_load_dword v2, v[14:15] sc0 sc1
	s_waitcnt vmcnt(0) lgkmcnt(0)
	buffer_inv sc0 sc1
	v_cmp_ne_u32_e32 vcc, 0, v2
	s_and_saveexec_b64 s[66:67], vcc
	s_cbranch_execz .LBB9_62
; %bb.68:                               ;   in Loop: Header=BB9_65 Depth=3
	v_or_b32_e32 v62, 64, v62
	s_xor_b64 s[64:65], exec, -1
	ds_write_b32 v0, v2
	s_trap 2
	s_branch .LBB9_62
.LBB9_69:                               ;   in Loop: Header=BB9_57 Depth=2
	s_or_b64 exec, exec, s[56:57]
	v_and_b32_e32 v2, 8, v62
.LBB9_70:                               ;   in Loop: Header=BB9_57 Depth=2
	s_or_b64 exec, exec, s[54:55]
	v_cmp_eq_u32_e32 vcc, 0, v2
	s_orn2_b64 s[54:55], vcc, exec
	;;#ASMSTART
	s_wakeup
	;;#ASMEND
.LBB9_71:                               ;   in Loop: Header=BB9_57 Depth=2
	s_or_b64 exec, exec, s[22:23]
	v_sub_u32_e32 v2, v1, v10
	s_xor_b64 s[22:23], s[54:55], -1
	v_min_i32_e32 v8, v8, v2
	s_and_saveexec_b64 s[54:55], s[22:23]
	s_cbranch_execz .LBB9_81
; %bb.72:                               ;   in Loop: Header=BB9_57 Depth=2
	v_and_b32_e32 v2, 0x100, v62
	v_cmp_ne_u32_e32 vcc, 0, v2
	v_and_b32_e32 v2, 7, v20
	s_mov_b64 s[22:23], -1
                                        ; implicit-def: $vgpr4_vgpr5
	s_and_saveexec_b64 s[56:57], vcc
	s_cbranch_execz .LBB9_76
; %bb.73:                               ;   in Loop: Header=BB9_57 Depth=2
	v_mad_u64_u32 v[14:15], s[22:23], v2, 24, v[44:45]
	flat_load_dword v11, v[14:15]
	v_ashrrev_i32_e32 v9, 31, v8
	v_lshlrev_b64 v[4:5], 1, v[8:9]
	flat_store_dwordx2 v[14:15], v[4:5] offset:8
                                        ; implicit-def: $vgpr4_vgpr5
	s_waitcnt vmcnt(0) lgkmcnt(0)
	v_cmp_ne_u32_e32 vcc, 1, v11
	v_cmp_eq_u32_e64 s[22:23], 1, v11
	s_and_saveexec_b64 s[58:59], s[22:23]
	s_cbranch_execz .LBB9_75
; %bb.74:                               ;   in Loop: Header=BB9_57 Depth=2
	flat_load_dword v4, v[14:15] offset:4 sc0 sc1
	s_waitcnt vmcnt(0) lgkmcnt(0)
	v_ashrrev_i32_e32 v5, 31, v4
	v_lshrrev_b64 v[4:5], 1, v[4:5]
.LBB9_75:                               ;   in Loop: Header=BB9_57 Depth=2
	s_or_b64 exec, exec, s[58:59]
	s_orn2_b64 s[22:23], vcc, exec
.LBB9_76:                               ;   in Loop: Header=BB9_57 Depth=2
	s_or_b64 exec, exec, s[56:57]
	s_and_saveexec_b64 vcc, s[22:23]
; %bb.77:                               ;   in Loop: Header=BB9_57 Depth=2
	v_mad_i64_i32 v[4:5], s[22:23], v2, v60, 0
; %bb.78:                               ;   in Loop: Header=BB9_57 Depth=2
	s_or_b64 exec, exec, vcc
	v_and_b32_e32 v2, 0x2000, v62
	v_lshl_add_u64 v[4:5], v[4:5], 1, v[56:57]
	v_cmp_ne_u32_e32 vcc, 0, v2
	ds_write_b64 v0, v[4:5] offset:784
	s_and_saveexec_b64 s[22:23], vcc
	s_cbranch_execz .LBB9_80
; %bb.79:                               ;   in Loop: Header=BB9_57 Depth=2
	ds_read_b64 v[4:5], v0 offset:584
	s_waitcnt lgkmcnt(0)
	v_lshl_add_u64 v[4:5], v[4:5], 0, 1
	ds_write_b64 v0, v[4:5] offset:584
.LBB9_80:                               ;   in Loop: Header=BB9_57 Depth=2
	s_or_b64 exec, exec, s[22:23]
	v_lshl_add_u64 v[20:21], v[20:21], 0, 2
.LBB9_81:                               ;   in Loop: Header=BB9_57 Depth=2
	s_or_b64 exec, exec, s[54:55]
	s_and_saveexec_b64 s[22:23], s[4:5]
	s_cbranch_execz .LBB9_100
; %bb.82:                               ;   in Loop: Header=BB9_57 Depth=2
	s_and_saveexec_b64 vcc, s[38:39]
	s_xor_b64 s[54:55], exec, vcc
	s_cbranch_execz .LBB9_97
; %bb.83:                               ;   in Loop: Header=BB9_57 Depth=2
	s_and_saveexec_b64 s[56:57], s[12:13]
	s_cbranch_execz .LBB9_96
; %bb.84:                               ;   in Loop: Header=BB9_57 Depth=2
	s_mov_b64 s[60:61], exec
	v_mbcnt_lo_u32_b32 v2, s60, 0
	v_mbcnt_hi_u32_b32 v2, s61, v2
	v_cmp_eq_u32_e32 vcc, 0, v2
	s_waitcnt lgkmcnt(0)
	s_and_saveexec_b64 s[58:59], vcc
	s_cbranch_execz .LBB9_86
; %bb.85:                               ;   in Loop: Header=BB9_57 Depth=2
	s_bcnt1_i32_b64 vcc_lo, s[60:61]
	v_mov_b32_e32 v2, vcc_lo
	ds_add_u64 v0, v[2:3]
	s_trap 2
.LBB9_86:                               ;   in Loop: Header=BB9_57 Depth=2
	s_or_b64 exec, exec, s[58:59]
	s_trap 2
	ds_read_b64 v[4:5], v0
	v_lshl_add_u64 v[12:13], v[12:13], 0, v[34:35]
	s_waitcnt lgkmcnt(0)
	v_cmp_lt_u64_e32 vcc, v[4:5], v[12:13]
	s_and_saveexec_b64 s[58:59], vcc
	s_cbranch_execz .LBB9_95
; %bb.87:                               ;   in Loop: Header=BB9_57 Depth=2
	s_mov_b32 s71, 0
	s_mov_b64 s[60:61], 0
                                        ; implicit-def: $sgpr62_sgpr63
                                        ; implicit-def: $sgpr64_sgpr65
	s_branch .LBB9_89
.LBB9_88:                               ;   in Loop: Header=BB9_89 Depth=3
	s_or_b64 exec, exec, s[68:69]
	s_and_b64 vcc, exec, vcc
	s_or_b64 s[60:61], vcc, s[60:61]
	s_andn2_b64 vcc, s[62:63], exec
	s_and_b64 s[62:63], s[64:65], exec
	s_or_b64 s[62:63], vcc, s[62:63]
	s_andn2_b64 exec, exec, s[60:61]
	s_cbranch_execz .LBB9_93
.LBB9_89:                               ;   Parent Loop BB9_47 Depth=1
                                        ;     Parent Loop BB9_57 Depth=2
                                        ; =>    This Inner Loop Header: Depth=3
	s_add_i32 s71, s71, 1
	s_cmpk_lg_i32 s71, 0x2710
	s_cselect_b64 s[66:67], -1, 0
	s_and_b64 vcc, exec, s[66:67]
                                        ; implicit-def: $sgpr68_sgpr69
	s_cbranch_vccnz .LBB9_91
; %bb.90:                               ;   in Loop: Header=BB9_89 Depth=3
	s_trap 2
	ds_read_b64 v[4:5], v0
	s_andn2_b64 s[66:67], s[66:67], exec
	s_mov_b32 s71, 0
	s_mov_b64 s[68:69], -1
	s_waitcnt lgkmcnt(0)
	flat_load_dword v2, v[4:5] sc0 sc1
	s_waitcnt vmcnt(0) lgkmcnt(0)
	buffer_inv sc0 sc1
	v_cmp_eq_u32_e32 vcc, 0, v2
	s_and_b64 vcc, vcc, exec
	s_or_b64 s[66:67], s[66:67], vcc
.LBB9_91:                               ;   in Loop: Header=BB9_89 Depth=3
	s_andn2_b64 s[64:65], s[64:65], exec
	s_and_b64 s[68:69], s[68:69], exec
	s_mov_b64 vcc, -1
	s_or_b64 s[64:65], s[64:65], s[68:69]
	s_and_saveexec_b64 s[68:69], s[66:67]
	s_cbranch_execz .LBB9_88
; %bb.92:                               ;   in Loop: Header=BB9_89 Depth=3
	s_sleep 1
	s_trap 2
	ds_read_b64 v[4:5], v0
	s_andn2_b64 s[64:65], s[64:65], exec
	s_waitcnt lgkmcnt(0)
	v_cmp_ge_u64_e32 vcc, v[4:5], v[12:13]
	s_orn2_b64 vcc, vcc, exec
	s_branch .LBB9_88
.LBB9_93:                               ;   in Loop: Header=BB9_57 Depth=2
	s_or_b64 exec, exec, s[60:61]
	s_and_saveexec_b64 vcc, s[62:63]
	s_xor_b64 vcc, exec, vcc
	s_cbranch_execz .LBB9_95
; %bb.94:                               ;   in Loop: Header=BB9_57 Depth=2
	ds_write_b32 v0, v48
	s_trap 2
.LBB9_95:                               ;   in Loop: Header=BB9_57 Depth=2
	s_or_b64 exec, exec, s[58:59]
	;;#ASMSTART
	s_wakeup
	;;#ASMEND
.LBB9_96:                               ;   in Loop: Header=BB9_57 Depth=2
	s_or_b64 exec, exec, s[56:57]
.LBB9_97:                               ;   in Loop: Header=BB9_57 Depth=2
	s_andn2_saveexec_b64 vcc, s[54:55]
	s_cbranch_execz .LBB9_99
; %bb.98:                               ;   in Loop: Header=BB9_57 Depth=2
	s_waitcnt lgkmcnt(0)
	s_barrier
.LBB9_99:                               ;   in Loop: Header=BB9_57 Depth=2
	s_or_b64 exec, exec, vcc
.LBB9_100:                              ;   in Loop: Header=BB9_57 Depth=2
	s_or_b64 exec, exec, s[22:23]
	s_trap 2
	ds_read_b32 v4, v0
	v_and_b32_e32 v2, 0x4000, v62
	v_cmp_ne_u32_e32 vcc, 0, v2
	s_xor_b64 s[22:23], s[2:3], -1
	s_and_b64 vcc, s[22:23], vcc
	s_and_saveexec_b64 s[22:23], vcc
	s_cbranch_execz .LBB9_119
; %bb.101:                              ;   in Loop: Header=BB9_57 Depth=2
	s_and_saveexec_b64 vcc, s[38:39]
	s_xor_b64 s[54:55], exec, vcc
	s_cbranch_execz .LBB9_116
; %bb.102:                              ;   in Loop: Header=BB9_57 Depth=2
	s_and_saveexec_b64 s[56:57], s[12:13]
	s_cbranch_execz .LBB9_115
; %bb.103:                              ;   in Loop: Header=BB9_57 Depth=2
	s_mov_b64 s[60:61], exec
	v_mbcnt_lo_u32_b32 v2, s60, 0
	v_mbcnt_hi_u32_b32 v2, s61, v2
	v_cmp_eq_u32_e32 vcc, 0, v2
	s_waitcnt lgkmcnt(0)
	s_and_saveexec_b64 s[58:59], vcc
	s_cbranch_execz .LBB9_105
; %bb.104:                              ;   in Loop: Header=BB9_57 Depth=2
	s_bcnt1_i32_b64 vcc_lo, s[60:61]
	v_mov_b32_e32 v2, vcc_lo
	ds_add_u64 v0, v[2:3]
	s_trap 2
.LBB9_105:                              ;   in Loop: Header=BB9_57 Depth=2
	s_or_b64 exec, exec, s[58:59]
	s_trap 2
	ds_read_b64 v[14:15], v0
	v_lshl_add_u64 v[12:13], v[12:13], 0, v[34:35]
	s_waitcnt lgkmcnt(0)
	v_cmp_lt_u64_e32 vcc, v[14:15], v[12:13]
	s_and_saveexec_b64 s[58:59], vcc
	s_cbranch_execz .LBB9_114
; %bb.106:                              ;   in Loop: Header=BB9_57 Depth=2
	s_mov_b32 s71, 0
	s_mov_b64 s[60:61], 0
                                        ; implicit-def: $sgpr62_sgpr63
                                        ; implicit-def: $sgpr64_sgpr65
	s_branch .LBB9_108
.LBB9_107:                              ;   in Loop: Header=BB9_108 Depth=3
	s_or_b64 exec, exec, s[68:69]
	s_and_b64 vcc, exec, vcc
	s_or_b64 s[60:61], vcc, s[60:61]
	s_andn2_b64 vcc, s[62:63], exec
	s_and_b64 s[62:63], s[64:65], exec
	s_or_b64 s[62:63], vcc, s[62:63]
	s_andn2_b64 exec, exec, s[60:61]
	s_cbranch_execz .LBB9_112
.LBB9_108:                              ;   Parent Loop BB9_47 Depth=1
                                        ;     Parent Loop BB9_57 Depth=2
                                        ; =>    This Inner Loop Header: Depth=3
	s_add_i32 s71, s71, 1
	s_cmpk_lg_i32 s71, 0x2710
	s_cselect_b64 s[66:67], -1, 0
	s_and_b64 vcc, exec, s[66:67]
                                        ; implicit-def: $sgpr68_sgpr69
	s_cbranch_vccnz .LBB9_110
; %bb.109:                              ;   in Loop: Header=BB9_108 Depth=3
	s_trap 2
	ds_read_b64 v[14:15], v0
	s_andn2_b64 s[66:67], s[66:67], exec
	s_mov_b32 s71, 0
	s_mov_b64 s[68:69], -1
	s_waitcnt lgkmcnt(0)
	flat_load_dword v2, v[14:15] sc0 sc1
	s_waitcnt vmcnt(0) lgkmcnt(0)
	buffer_inv sc0 sc1
	v_cmp_eq_u32_e32 vcc, 0, v2
	s_and_b64 vcc, vcc, exec
	s_or_b64 s[66:67], s[66:67], vcc
.LBB9_110:                              ;   in Loop: Header=BB9_108 Depth=3
	s_andn2_b64 s[64:65], s[64:65], exec
	s_and_b64 s[68:69], s[68:69], exec
	s_mov_b64 vcc, -1
	s_or_b64 s[64:65], s[64:65], s[68:69]
	s_and_saveexec_b64 s[68:69], s[66:67]
	s_cbranch_execz .LBB9_107
; %bb.111:                              ;   in Loop: Header=BB9_108 Depth=3
	s_sleep 1
	s_trap 2
	ds_read_b64 v[14:15], v0
	s_andn2_b64 s[64:65], s[64:65], exec
	s_waitcnt lgkmcnt(0)
	v_cmp_ge_u64_e32 vcc, v[14:15], v[12:13]
	s_orn2_b64 vcc, vcc, exec
	s_branch .LBB9_107
.LBB9_112:                              ;   in Loop: Header=BB9_57 Depth=2
	s_or_b64 exec, exec, s[60:61]
	s_and_saveexec_b64 vcc, s[62:63]
	s_xor_b64 vcc, exec, vcc
	s_cbranch_execz .LBB9_114
; %bb.113:                              ;   in Loop: Header=BB9_57 Depth=2
	ds_write_b32 v0, v48
	s_trap 2
.LBB9_114:                              ;   in Loop: Header=BB9_57 Depth=2
	s_or_b64 exec, exec, s[58:59]
	;;#ASMSTART
	s_wakeup
	;;#ASMEND
.LBB9_115:                              ;   in Loop: Header=BB9_57 Depth=2
	s_or_b64 exec, exec, s[56:57]
.LBB9_116:                              ;   in Loop: Header=BB9_57 Depth=2
	s_andn2_saveexec_b64 vcc, s[54:55]
	s_cbranch_execz .LBB9_118
; %bb.117:                              ;   in Loop: Header=BB9_57 Depth=2
	s_waitcnt lgkmcnt(0)
	s_barrier
.LBB9_118:                              ;   in Loop: Header=BB9_57 Depth=2
	s_or_b64 exec, exec, vcc
.LBB9_119:                              ;   in Loop: Header=BB9_57 Depth=2
	s_or_b64 exec, exec, s[22:23]
	s_trap 2
	ds_read_b64 v[14:15], v0
	v_mov_b32_e32 v9, 0
	s_waitcnt lgkmcnt(0)
	v_readfirstlane_b32 s22, v14
	v_readfirstlane_b32 s23, v15
	s_cmp_eq_u64 s[22:23], 0
	s_cselect_b64 s[22:23], -1, 0
	s_or_b64 s[22:23], s[22:23], s[22:23]
	s_and_b64 vcc, exec, s[22:23]
	s_cbranch_vccnz .LBB9_140
; %bb.120:                              ;   in Loop: Header=BB9_57 Depth=2
	s_mov_b64 s[22:23], -1
	s_and_saveexec_b64 s[54:55], s[14:15]
	s_cbranch_execz .LBB9_122
; %bb.121:                              ;   in Loop: Header=BB9_57 Depth=2
	ds_read_b32 v2, v0 offset:720
	s_waitcnt lgkmcnt(0)
	v_and_b32_e32 v2, 15, v2
	v_cmp_eq_u32_e32 vcc, 0, v2
	s_orn2_b64 s[22:23], vcc, exec
.LBB9_122:                              ;   in Loop: Header=BB9_57 Depth=2
	s_or_b64 exec, exec, s[54:55]
	s_and_saveexec_b64 s[54:55], s[16:17]
	s_cbranch_execz .LBB9_124
; %bb.123:                              ;   in Loop: Header=BB9_57 Depth=2
	ds_read_b32 v2, v0 offset:784
	s_waitcnt lgkmcnt(0)
	v_and_b32_e32 v2, 15, v2
	v_cmp_eq_u32_e32 vcc, 0, v2
	s_and_b64 vcc, s[22:23], vcc
	s_andn2_b64 s[22:23], s[22:23], exec
	s_and_b64 vcc, vcc, exec
	s_or_b64 s[22:23], s[22:23], vcc
.LBB9_124:                              ;   in Loop: Header=BB9_57 Depth=2
	s_or_b64 exec, exec, s[54:55]
	v_cmp_eq_u32_e32 vcc, 0, v4
	s_xor_b64 s[22:23], s[22:23], -1
	v_cndmask_b32_e64 v4, 0, 1, s[22:23]
	v_cndmask_b32_e32 v9, 0, v8, vcc
	v_mov_b32_e32 v11, 0
	v_lshlrev_b32_e32 v2, 1, v9
	s_mov_b64 s[56:57], -1
	;;#ASMSTART
	;;#ASMEND
	s_nop 0
	v_cmp_ne_u32_e32 vcc, 0, v4
	s_cbranch_vccz .LBB9_141
; %bb.125:                              ;   in Loop: Header=BB9_57 Depth=2
	v_mov_b32_e32 v25, v52
	v_mov_b32_e32 v14, v46
	s_and_saveexec_b64 s[22:23], s[56:57]
	s_cbranch_execz .LBB9_154
.LBB9_126:                              ;   in Loop: Header=BB9_57 Depth=2
	v_ashrrev_i32_e32 v4, 31, v2
	v_lshrrev_b32_e32 v4, 22, v4
	v_add_u32_e32 v4, v2, v4
	v_ashrrev_i32_e32 v36, 10, v4
	v_sub_u32_e32 v30, v36, v14
	v_ashrrev_i32_e32 v4, 31, v25
	v_cmp_lt_i32_e32 vcc, 0, v30
	v_lshrrev_b32_e32 v31, 26, v4
	s_and_saveexec_b64 s[54:55], vcc
	s_cbranch_execz .LBB9_130
; %bb.127:                              ;   in Loop: Header=BB9_57 Depth=2
	s_trap 2
	ds_read_b64 v[4:5], v0
	v_add_u32_e32 v15, v25, v31
	v_and_b32_e32 v15, 0x7fffffc0, v15
	v_sub_u32_e32 v15, v25, v15
	v_lshlrev_b32_e32 v15, 1, v15
	v_lshlrev_b32_e32 v14, 10, v14
	v_add3_u32 v14, v15, v11, v14
	v_ashrrev_i32_e32 v15, 31, v14
	s_mov_b64 s[56:57], 0
	s_waitcnt lgkmcnt(0)
	v_mov_b64_e32 v[18:19], v[4:5]
.LBB9_128:                              ;   Parent Loop BB9_47 Depth=1
                                        ;     Parent Loop BB9_57 Depth=2
                                        ; =>    This Inner Loop Header: Depth=3
	v_lshl_add_u64 v[26:27], v[14:15], 0, v[18:19]
	flat_load_ushort v24, v[26:27] nt
	flat_load_ushort v28, v[26:27] offset:128 nt
	flat_load_ushort v29, v[26:27] offset:256 nt
	;; [unrolled: 1-line block ×7, first 2 shown]
	v_sub_u32_e32 v30, v30, v34
	v_cmp_gt_i32_e32 vcc, 1, v30
	v_lshl_add_u64 v[26:27], v[14:15], 0, v[4:5]
	v_lshl_add_u64 v[18:19], v[18:19], 0, v[40:41]
	;; [unrolled: 1-line block ×3, first 2 shown]
	s_or_b64 s[56:57], vcc, s[56:57]
	s_waitcnt vmcnt(0) lgkmcnt(0)
	flat_store_short v[26:27], v24 nt
	flat_store_short v[26:27], v28 offset:128 nt
	flat_store_short v[26:27], v29 offset:256 nt
	;; [unrolled: 1-line block ×7, first 2 shown]
	s_andn2_b64 exec, exec, s[56:57]
	s_cbranch_execnz .LBB9_128
; %bb.129:                              ;   in Loop: Header=BB9_57 Depth=2
	s_or_b64 exec, exec, s[56:57]
	v_accvgpr_read_b32 v28, a32
	v_accvgpr_read_b32 v26, a44
	;; [unrolled: 1-line block ×3, first 2 shown]
	v_mov_b32_e32 v48, 1
	v_accvgpr_read_b32 v27, a45
.LBB9_130:                              ;   in Loop: Header=BB9_57 Depth=2
	s_or_b64 exec, exec, s[54:55]
	v_lshlrev_b32_e32 v4, 10, v36
	v_cmp_ne_u32_e32 vcc, v2, v4
	s_and_saveexec_b64 s[54:55], vcc
	s_cbranch_execz .LBB9_134
; %bb.131:                              ;   in Loop: Header=BB9_57 Depth=2
	v_add_u32_e32 v5, v25, v31
	v_and_b32_e32 v5, 0xffffffc0, v5
	v_sub_u32_e32 v5, v25, v5
	v_lshlrev_b32_e32 v14, 6, v30
	v_sub_u32_e32 v5, v5, v14
	v_ashrrev_i32_e32 v14, 31, v5
	v_lshrrev_b32_e32 v14, 26, v14
	v_add_u32_e32 v14, v5, v14
	v_and_b32_e32 v15, 0x7fffffc0, v14
	v_sub_u32_e32 v5, v5, v15
	v_lshlrev_b32_e32 v14, 1, v14
	v_and_b32_e32 v14, 0xffffff80, v14
	v_lshlrev_b32_e32 v5, 1, v5
	v_add3_u32 v14, v14, v5, v4
	v_sub_u32_e32 v2, v2, v14
	v_cmp_lt_i32_e32 vcc, 1, v2
	s_and_b64 exec, exec, vcc
	s_cbranch_execz .LBB9_134
; %bb.132:                              ;   in Loop: Header=BB9_57 Depth=2
	s_trap 2
	ds_read_b64 v[4:5], v0
	v_add_u32_e32 v14, v14, v11
	v_ashrrev_i32_e32 v15, 31, v14
	s_mov_b64 s[56:57], 0
.LBB9_133:                              ;   Parent Loop BB9_47 Depth=1
                                        ;     Parent Loop BB9_57 Depth=2
                                        ; =>    This Inner Loop Header: Depth=3
	s_waitcnt lgkmcnt(0)
	v_lshl_add_u64 v[18:19], v[4:5], 0, v[14:15]
	flat_load_ushort v11, v[18:19] nt
	v_sub_u32_e32 v2, v2, v61
	v_cmp_gt_i32_e32 vcc, 2, v2
	v_lshl_add_u64 v[14:15], v[14:15], 0, v[42:43]
	s_or_b64 s[56:57], vcc, s[56:57]
	s_waitcnt vmcnt(0) lgkmcnt(0)
	flat_store_short v[18:19], v11 nt
	s_andn2_b64 exec, exec, s[56:57]
	s_cbranch_execnz .LBB9_133
.LBB9_134:                              ;   in Loop: Header=BB9_57 Depth=2
	s_or_b64 exec, exec, s[54:55]
	s_or_b64 exec, exec, s[22:23]
	s_and_saveexec_b64 s[22:23], s[4:5]
	s_cbranch_execnz .LBB9_155
.LBB9_135:                              ;   in Loop: Header=BB9_57 Depth=2
	s_or_b64 exec, exec, s[22:23]
                                        ; implicit-def: $vgpr2
	s_and_saveexec_b64 s[22:23], s[20:21]
	s_xor_b64 s[54:55], exec, s[22:23]
	s_cbranch_execz .LBB9_173
.LBB9_136:                              ;   in Loop: Header=BB9_57 Depth=2
	v_and_b32_e32 v4, 16, v62
	v_cmp_lt_i32_e32 vcc, 0, v9
	v_cmp_ne_u32_e64 s[22:23], 0, v4
	v_and_b32_e32 v2, 16, v62
	s_and_b64 vcc, s[22:23], vcc
	s_and_saveexec_b64 s[22:23], vcc
	s_cbranch_execz .LBB9_138
; %bb.137:                              ;   in Loop: Header=BB9_57 Depth=2
	v_mov_b32_e32 v2, 1
	buffer_wbl2 sc1
	s_waitcnt vmcnt(0) lgkmcnt(0)
	buffer_inv sc1
.LBB9_138:                              ;   in Loop: Header=BB9_57 Depth=2
	s_or_b64 exec, exec, s[22:23]
	s_andn2_saveexec_b64 s[22:23], s[54:55]
	s_cbranch_execnz .LBB9_174
.LBB9_139:                              ;   in Loop: Header=BB9_57 Depth=2
	s_or_b64 exec, exec, s[22:23]
	v_cmp_ne_u32_e32 vcc, 0, v2
	s_and_saveexec_b64 s[22:23], vcc
	s_cbranch_execz .LBB9_56
	s_branch .LBB9_192
.LBB9_140:                              ;   in Loop: Header=BB9_57 Depth=2
	s_and_saveexec_b64 s[22:23], s[4:5]
	s_cbranch_execnz .LBB9_155
	s_branch .LBB9_135
.LBB9_141:                              ;   in Loop: Header=BB9_57 Depth=2
	v_ashrrev_i32_e32 v4, 31, v2
	v_lshrrev_b32_e32 v4, 20, v4
	v_add_u32_e32 v4, v2, v4
	v_ashrrev_i32_e32 v11, 12, v4
	v_sub_u32_e32 v19, v11, v46
	v_cmp_lt_i32_e32 vcc, 0, v19
	s_and_saveexec_b64 s[22:23], vcc
	s_cbranch_execz .LBB9_145
; %bb.142:                              ;   in Loop: Header=BB9_57 Depth=2
	s_trap 2
	ds_read_b64 v[4:5], v0
	v_accvgpr_read_b32 v16, a34
	s_mov_b64 s[54:55], 0
	v_mov_b64_e32 v[26:27], v[28:29]
	v_accvgpr_read_b32 v17, a35
	s_waitcnt lgkmcnt(0)
	v_mov_b64_e32 v[14:15], v[4:5]
.LBB9_143:                              ;   Parent Loop BB9_47 Depth=1
                                        ;     Parent Loop BB9_57 Depth=2
                                        ; =>    This Inner Loop Header: Depth=3
	v_lshl_add_u64 v[24:25], v[16:17], 0, v[14:15]
	global_load_dwordx4 v[36:39], v[24:25], off nt
	global_load_dwordx4 v[56:59], v[24:25], off offset:1024 nt
	global_load_dwordx4 v[48:51], v[24:25], off offset:2048 nt
	global_load_dwordx4 v[28:31], v[24:25], off offset:3072 nt
	v_sub_u32_e32 v19, v19, v34
	v_cmp_gt_i32_e32 vcc, 1, v19
	v_lshl_add_u64 v[24:25], v[16:17], 0, v[4:5]
	v_lshl_add_u64 v[14:15], v[14:15], 0, v[26:27]
	;; [unrolled: 1-line block ×3, first 2 shown]
	s_or_b64 s[54:55], vcc, s[54:55]
	s_waitcnt vmcnt(0)
	global_store_dwordx4 v[24:25], v[36:39], off nt
	s_waitcnt vmcnt(3)
	global_store_dwordx4 v[24:25], v[56:59], off offset:1024 nt
	s_waitcnt vmcnt(3)
	global_store_dwordx4 v[24:25], v[48:51], off offset:2048 nt
	;; [unrolled: 2-line block ×3, first 2 shown]
	s_andn2_b64 exec, exec, s[54:55]
	s_cbranch_execnz .LBB9_143
; %bb.144:                              ;   in Loop: Header=BB9_57 Depth=2
	s_or_b64 exec, exec, s[54:55]
	v_accvgpr_read_b32 v57, a17
	v_accvgpr_read_b32 v59, a19
	;; [unrolled: 1-line block ×3, first 2 shown]
	v_mov_b64_e32 v[28:29], v[26:27]
	v_accvgpr_read_b32 v16, a42
	v_accvgpr_read_b32 v26, a44
	;; [unrolled: 1-line block ×5, first 2 shown]
	v_mov_b32_e32 v48, 1
	v_accvgpr_read_b32 v17, a43
	v_accvgpr_read_b32 v27, a45
.LBB9_145:                              ;   in Loop: Header=BB9_57 Depth=2
	s_or_b64 exec, exec, s[22:23]
	v_lshlrev_b32_e32 v18, 12, v11
	v_cmp_ne_u32_e32 vcc, v2, v18
	s_mov_b64 s[56:57], 0
	v_mov_b32_e32 v11, 0
                                        ; implicit-def: $vgpr25
                                        ; implicit-def: $vgpr14
	s_and_saveexec_b64 s[54:55], vcc
	s_cbranch_execz .LBB9_153
; %bb.146:                              ;   in Loop: Header=BB9_57 Depth=2
	v_lshlrev_b32_e32 v5, 6, v19
	v_accvgpr_read_b32 v0, a31
	v_sub_u32_e32 v5, v0, v5
	v_ashrrev_i32_e32 v11, 31, v5
	v_lshrrev_b32_e32 v11, 26, v11
	v_add_u32_e32 v11, v5, v11
	v_ashrrev_i32_e32 v15, 6, v11
	v_and_b32_e32 v11, 0xffffffc0, v11
	v_sub_u32_e32 v19, v5, v11
	v_sub_u32_e32 v4, v2, v18
	v_lshlrev_b32_e32 v5, 4, v19
	v_lshl_add_u32 v14, v15, 10, v5
	v_ashrrev_i32_e32 v5, 31, v4
	v_lshrrev_b32_e32 v5, 22, v5
	v_add_u32_e32 v5, v4, v5
	v_and_b32_e32 v30, 0xfffffc00, v5
	v_sub_u32_e32 v36, v4, v30
	v_ashrrev_i32_e32 v24, 10, v5
	v_cmp_lt_i32_e32 vcc, 15, v36
	v_sub_u32_e32 v11, v4, v14
	s_nop 0
	v_addc_co_u32_e64 v4, s[22:23], 0, v24, vcc
	v_sub_u32_e32 v31, v4, v15
	v_cmp_lt_i32_e64 s[22:23], 15, v11
	s_and_saveexec_b64 s[56:57], s[22:23]
	s_cbranch_execz .LBB9_150
; %bb.147:                              ;   in Loop: Header=BB9_57 Depth=2
	s_trap 2
	ds_read_b64 v[4:5], v0
	v_add_u32_e32 v14, v14, v18
	v_ashrrev_i32_e32 v15, 31, v14
	s_mov_b64 s[58:59], 0
.LBB9_148:                              ;   Parent Loop BB9_47 Depth=1
                                        ;     Parent Loop BB9_57 Depth=2
                                        ; =>    This Inner Loop Header: Depth=3
	s_waitcnt lgkmcnt(0)
	v_lshl_add_u64 v[24:25], v[4:5], 0, v[14:15]
	global_load_dwordx4 v[48:51], v[24:25], off nt
	v_sub_u32_e32 v11, v11, v47
	v_cmp_gt_i32_e64 s[22:23], 16, v11
	v_sub_u32_e32 v31, v31, v34
	v_lshl_add_u64 v[14:15], v[14:15], 0, v[40:41]
	s_or_b64 s[58:59], s[22:23], s[58:59]
	s_waitcnt vmcnt(0)
	global_store_dwordx4 v[24:25], v[48:51], off nt
	s_andn2_b64 exec, exec, s[58:59]
	s_cbranch_execnz .LBB9_148
; %bb.149:                              ;   in Loop: Header=BB9_57 Depth=2
	s_or_b64 exec, exec, s[58:59]
	v_accvgpr_read_b32 v51, a29
	v_accvgpr_read_b32 v50, a28
	v_mov_b32_e32 v48, 1
.LBB9_150:                              ;   in Loop: Header=BB9_57 Depth=2
	s_or_b64 exec, exec, s[56:57]
	v_and_b32_e32 v4, 14, v2
	v_cndmask_b32_e32 v2, v36, v4, vcc
	v_cmp_ne_u32_e64 s[22:23], 0, v2
	s_mov_b64 s[56:57], 0
	v_mov_b32_e32 v11, 0
                                        ; implicit-def: $vgpr25
                                        ; implicit-def: $vgpr14
	s_and_saveexec_b64 s[58:59], s[22:23]
	s_cbranch_execz .LBB9_152
; %bb.151:                              ;   in Loop: Header=BB9_57 Depth=2
	v_sub_u32_e32 v4, v36, v4
	v_cndmask_b32_e32 v4, 0, v4, vcc
	v_cmp_lt_i32_e32 vcc, 0, v31
	v_add3_u32 v11, v30, v18, v4
	s_mov_b64 s[56:57], exec
	v_cndmask_b32_e32 v4, 0, v34, vcc
	v_sub_u32_e32 v4, v4, v31
	v_lshl_add_u32 v25, v4, 6, v19
	v_ashrrev_i32_e32 v4, 31, v25
	v_lshrrev_b32_e32 v4, 26, v4
	v_add_u32_e32 v4, v25, v4
	v_ashrrev_i32_e32 v14, 6, v4
.LBB9_152:                              ;   in Loop: Header=BB9_57 Depth=2
	s_or_b64 exec, exec, s[58:59]
	s_and_b64 s[56:57], s[56:57], exec
.LBB9_153:                              ;   in Loop: Header=BB9_57 Depth=2
	s_or_b64 exec, exec, s[54:55]
	s_and_saveexec_b64 s[22:23], s[56:57]
	s_cbranch_execnz .LBB9_126
.LBB9_154:                              ;   in Loop: Header=BB9_57 Depth=2
	s_or_b64 exec, exec, s[22:23]
	s_and_saveexec_b64 s[22:23], s[4:5]
	s_cbranch_execz .LBB9_135
.LBB9_155:                              ;   in Loop: Header=BB9_57 Depth=2
	s_and_saveexec_b64 vcc, s[38:39]
	s_xor_b64 s[54:55], exec, vcc
	s_cbranch_execz .LBB9_170
; %bb.156:                              ;   in Loop: Header=BB9_57 Depth=2
	s_and_saveexec_b64 s[56:57], s[12:13]
	s_cbranch_execz .LBB9_169
; %bb.157:                              ;   in Loop: Header=BB9_57 Depth=2
	s_mov_b64 s[60:61], exec
	v_mbcnt_lo_u32_b32 v2, s60, 0
	v_mbcnt_hi_u32_b32 v2, s61, v2
	v_cmp_eq_u32_e32 vcc, 0, v2
	s_waitcnt lgkmcnt(0)
	s_and_saveexec_b64 s[58:59], vcc
	s_cbranch_execz .LBB9_159
; %bb.158:                              ;   in Loop: Header=BB9_57 Depth=2
	s_bcnt1_i32_b64 vcc_lo, s[60:61]
	v_mov_b32_e32 v2, vcc_lo
	ds_add_u64 v0, v[2:3]
	s_trap 2
.LBB9_159:                              ;   in Loop: Header=BB9_57 Depth=2
	s_or_b64 exec, exec, s[58:59]
	s_trap 2
	ds_read_b64 v[4:5], v0
	v_lshl_add_u64 v[12:13], v[12:13], 0, v[34:35]
	s_waitcnt lgkmcnt(0)
	v_cmp_lt_u64_e32 vcc, v[4:5], v[12:13]
	s_and_saveexec_b64 s[58:59], vcc
	s_cbranch_execz .LBB9_168
; %bb.160:                              ;   in Loop: Header=BB9_57 Depth=2
	s_mov_b32 s71, 0
	s_mov_b64 s[60:61], 0
                                        ; implicit-def: $sgpr62_sgpr63
                                        ; implicit-def: $sgpr64_sgpr65
	s_branch .LBB9_162
.LBB9_161:                              ;   in Loop: Header=BB9_162 Depth=3
	s_or_b64 exec, exec, s[68:69]
	s_and_b64 vcc, exec, vcc
	s_or_b64 s[60:61], vcc, s[60:61]
	s_andn2_b64 vcc, s[62:63], exec
	s_and_b64 s[62:63], s[64:65], exec
	s_or_b64 s[62:63], vcc, s[62:63]
	s_andn2_b64 exec, exec, s[60:61]
	s_cbranch_execz .LBB9_166
.LBB9_162:                              ;   Parent Loop BB9_47 Depth=1
                                        ;     Parent Loop BB9_57 Depth=2
                                        ; =>    This Inner Loop Header: Depth=3
	s_add_i32 s71, s71, 1
	s_cmpk_lg_i32 s71, 0x2710
	s_cselect_b64 s[66:67], -1, 0
	s_and_b64 vcc, exec, s[66:67]
                                        ; implicit-def: $sgpr68_sgpr69
	s_cbranch_vccnz .LBB9_164
; %bb.163:                              ;   in Loop: Header=BB9_162 Depth=3
	s_trap 2
	ds_read_b64 v[4:5], v0
	s_andn2_b64 s[66:67], s[66:67], exec
	s_mov_b32 s71, 0
	s_mov_b64 s[68:69], -1
	s_waitcnt vmcnt(0) lgkmcnt(0)
	flat_load_dword v2, v[4:5] sc0 sc1
	s_waitcnt vmcnt(0) lgkmcnt(0)
	buffer_inv sc0 sc1
	v_cmp_eq_u32_e32 vcc, 0, v2
	s_and_b64 vcc, vcc, exec
	s_or_b64 s[66:67], s[66:67], vcc
.LBB9_164:                              ;   in Loop: Header=BB9_162 Depth=3
	s_andn2_b64 s[64:65], s[64:65], exec
	s_and_b64 s[68:69], s[68:69], exec
	s_mov_b64 vcc, -1
	s_or_b64 s[64:65], s[64:65], s[68:69]
	s_and_saveexec_b64 s[68:69], s[66:67]
	s_cbranch_execz .LBB9_161
; %bb.165:                              ;   in Loop: Header=BB9_162 Depth=3
	s_sleep 1
	s_trap 2
	ds_read_b64 v[4:5], v0
	s_andn2_b64 s[64:65], s[64:65], exec
	s_waitcnt lgkmcnt(0)
	v_cmp_ge_u64_e32 vcc, v[4:5], v[12:13]
	s_orn2_b64 vcc, vcc, exec
	s_branch .LBB9_161
.LBB9_166:                              ;   in Loop: Header=BB9_57 Depth=2
	s_or_b64 exec, exec, s[60:61]
	s_and_saveexec_b64 vcc, s[62:63]
	s_xor_b64 vcc, exec, vcc
	s_cbranch_execz .LBB9_168
; %bb.167:                              ;   in Loop: Header=BB9_57 Depth=2
	ds_write_b32 v0, v48
	s_trap 2
.LBB9_168:                              ;   in Loop: Header=BB9_57 Depth=2
	s_or_b64 exec, exec, s[58:59]
	;;#ASMSTART
	s_wakeup
	;;#ASMEND
.LBB9_169:                              ;   in Loop: Header=BB9_57 Depth=2
	s_or_b64 exec, exec, s[56:57]
.LBB9_170:                              ;   in Loop: Header=BB9_57 Depth=2
	s_andn2_saveexec_b64 vcc, s[54:55]
	s_cbranch_execz .LBB9_172
; %bb.171:                              ;   in Loop: Header=BB9_57 Depth=2
	s_waitcnt lgkmcnt(0)
	s_barrier
.LBB9_172:                              ;   in Loop: Header=BB9_57 Depth=2
	s_or_b64 exec, exec, vcc
	s_or_b64 exec, exec, s[22:23]
                                        ; implicit-def: $vgpr2
	s_and_saveexec_b64 s[22:23], s[20:21]
	s_xor_b64 s[54:55], exec, s[22:23]
	s_cbranch_execnz .LBB9_136
.LBB9_173:                              ;   in Loop: Header=BB9_57 Depth=2
	s_andn2_saveexec_b64 s[22:23], s[54:55]
	s_cbranch_execz .LBB9_139
.LBB9_174:                              ;   in Loop: Header=BB9_57 Depth=2
	s_and_saveexec_b64 vcc, s[38:39]
	s_xor_b64 s[54:55], exec, vcc
	s_cbranch_execz .LBB9_189
; %bb.175:                              ;   in Loop: Header=BB9_57 Depth=2
	s_and_saveexec_b64 s[56:57], s[12:13]
	s_cbranch_execz .LBB9_188
; %bb.176:                              ;   in Loop: Header=BB9_57 Depth=2
	s_mov_b64 s[60:61], exec
	v_mbcnt_lo_u32_b32 v2, s60, 0
	v_mbcnt_hi_u32_b32 v2, s61, v2
	v_cmp_eq_u32_e32 vcc, 0, v2
	;;#ASMSTART
	s_waitcnt lgkmcnt(0) vmcnt(0)
	;;#ASMEND
	s_and_saveexec_b64 s[58:59], vcc
	s_cbranch_execz .LBB9_178
; %bb.177:                              ;   in Loop: Header=BB9_57 Depth=2
	s_bcnt1_i32_b64 vcc_lo, s[60:61]
	v_mov_b32_e32 v2, vcc_lo
	ds_add_u64 v0, v[2:3]
	s_trap 2
.LBB9_178:                              ;   in Loop: Header=BB9_57 Depth=2
	s_or_b64 exec, exec, s[58:59]
	s_trap 2
	ds_read_b64 v[4:5], v0
	v_lshl_add_u64 v[12:13], v[12:13], 0, v[34:35]
	s_waitcnt lgkmcnt(0)
	v_cmp_lt_u64_e32 vcc, v[4:5], v[12:13]
	s_and_saveexec_b64 s[58:59], vcc
	s_cbranch_execz .LBB9_187
; %bb.179:                              ;   in Loop: Header=BB9_57 Depth=2
	s_mov_b32 s71, 0
	s_mov_b64 s[60:61], 0
                                        ; implicit-def: $sgpr62_sgpr63
                                        ; implicit-def: $sgpr64_sgpr65
	s_branch .LBB9_181
.LBB9_180:                              ;   in Loop: Header=BB9_181 Depth=3
	s_or_b64 exec, exec, s[68:69]
	s_and_b64 vcc, exec, vcc
	s_or_b64 s[60:61], vcc, s[60:61]
	s_andn2_b64 vcc, s[62:63], exec
	s_and_b64 s[62:63], s[64:65], exec
	s_or_b64 s[62:63], vcc, s[62:63]
	s_andn2_b64 exec, exec, s[60:61]
	s_cbranch_execz .LBB9_185
.LBB9_181:                              ;   Parent Loop BB9_47 Depth=1
                                        ;     Parent Loop BB9_57 Depth=2
                                        ; =>    This Inner Loop Header: Depth=3
	s_add_i32 s71, s71, 1
	s_cmpk_lg_i32 s71, 0x2710
	s_cselect_b64 s[66:67], -1, 0
	s_and_b64 vcc, exec, s[66:67]
                                        ; implicit-def: $sgpr68_sgpr69
	s_cbranch_vccnz .LBB9_183
; %bb.182:                              ;   in Loop: Header=BB9_181 Depth=3
	s_trap 2
	ds_read_b64 v[4:5], v0
	s_andn2_b64 s[66:67], s[66:67], exec
	s_mov_b32 s71, 0
	s_mov_b64 s[68:69], -1
	s_waitcnt vmcnt(0) lgkmcnt(0)
	flat_load_dword v2, v[4:5] sc0 sc1
	s_waitcnt vmcnt(0) lgkmcnt(0)
	buffer_inv sc0 sc1
	v_cmp_eq_u32_e32 vcc, 0, v2
	s_and_b64 vcc, vcc, exec
	s_or_b64 s[66:67], s[66:67], vcc
.LBB9_183:                              ;   in Loop: Header=BB9_181 Depth=3
	s_andn2_b64 s[64:65], s[64:65], exec
	s_and_b64 s[68:69], s[68:69], exec
	s_mov_b64 vcc, -1
	s_or_b64 s[64:65], s[64:65], s[68:69]
	s_and_saveexec_b64 s[68:69], s[66:67]
	s_cbranch_execz .LBB9_180
; %bb.184:                              ;   in Loop: Header=BB9_181 Depth=3
	s_sleep 1
	s_trap 2
	ds_read_b64 v[4:5], v0
	s_andn2_b64 s[64:65], s[64:65], exec
	s_waitcnt lgkmcnt(0)
	v_cmp_ge_u64_e32 vcc, v[4:5], v[12:13]
	s_orn2_b64 vcc, vcc, exec
	s_branch .LBB9_180
.LBB9_185:                              ;   in Loop: Header=BB9_57 Depth=2
	s_or_b64 exec, exec, s[60:61]
	s_and_saveexec_b64 vcc, s[62:63]
	s_xor_b64 vcc, exec, vcc
	s_cbranch_execz .LBB9_187
; %bb.186:                              ;   in Loop: Header=BB9_57 Depth=2
	ds_write_b32 v0, v48
	s_trap 2
.LBB9_187:                              ;   in Loop: Header=BB9_57 Depth=2
	s_or_b64 exec, exec, s[58:59]
	;;#ASMSTART
	s_wakeup
	;;#ASMEND
.LBB9_188:                              ;   in Loop: Header=BB9_57 Depth=2
	s_or_b64 exec, exec, s[56:57]
.LBB9_189:                              ;   in Loop: Header=BB9_57 Depth=2
	s_andn2_saveexec_b64 vcc, s[54:55]
	s_cbranch_execz .LBB9_191
; %bb.190:                              ;   in Loop: Header=BB9_57 Depth=2
	;;#ASMSTART
	s_waitcnt lgkmcnt(0) vmcnt(0)
	;;#ASMEND
	s_barrier
.LBB9_191:                              ;   in Loop: Header=BB9_57 Depth=2
	s_or_b64 exec, exec, vcc
	v_and_b32_e32 v2, 16, v62
	s_or_b64 exec, exec, s[22:23]
	v_cmp_ne_u32_e32 vcc, 0, v2
	s_and_saveexec_b64 s[22:23], vcc
	s_cbranch_execz .LBB9_56
.LBB9_192:                              ;   in Loop: Header=BB9_57 Depth=2
	s_and_saveexec_b64 vcc, s[10:11]
	s_cbranch_execz .LBB9_55
; %bb.193:                              ;   in Loop: Header=BB9_57 Depth=2
	flat_store_dword v[58:59], v48 sc0 sc1
	s_branch .LBB9_55
.LBB9_194:                              ;   in Loop: Header=BB9_47 Depth=1
	s_or_b64 exec, exec, s[26:27]
.LBB9_195:                              ;   in Loop: Header=BB9_47 Depth=1
	s_or_b64 exec, exec, s[24:25]
	v_cmp_gt_i32_e32 vcc, 2, v2
	s_and_saveexec_b64 s[24:25], vcc
	s_cbranch_execz .LBB9_267
; %bb.196:                              ;   in Loop: Header=BB9_47 Depth=1
	v_cmp_eq_u32_e64 s[22:23], 0, v2
	s_mov_b64 s[26:27], 0
	s_branch .LBB9_199
.LBB9_197:                              ;   in Loop: Header=BB9_199 Depth=2
	s_or_b64 exec, exec, s[28:29]
	v_lshl_add_u64 v[20:21], v[20:21], 0, 2
	flat_store_dwordx2 v[22:23], v[20:21] sc0 sc1
.LBB9_198:                              ;   in Loop: Header=BB9_199 Depth=2
	s_or_b64 exec, exec, s[22:23]
	v_add_u32_e32 v10, v8, v10
	s_mov_b64 s[22:23], 0
	s_andn2_b64 exec, exec, s[26:27]
	s_cbranch_execz .LBB9_266
.LBB9_199:                              ;   Parent Loop BB9_47 Depth=1
                                        ; =>  This Loop Header: Depth=2
                                        ;       Child Loop BB9_205 Depth 3
                                        ;       Child Loop BB9_234 Depth 3
	;; [unrolled: 1-line block ×3, first 2 shown]
	v_and_b32_e32 v2, 8, v62
	s_mov_b64 s[54:55], -1
	v_cmp_ne_u32_e32 vcc, 0, v2
	s_and_saveexec_b64 s[28:29], vcc
	s_cbranch_execz .LBB9_211
; %bb.200:                              ;   in Loop: Header=BB9_199 Depth=2
	v_lshl_add_u64 v[14:15], v[32:33], 0, 8
	v_lshl_add_u64 v[4:5], v[20:21], 0, 2
	v_cmp_lt_u64_e32 vcc, v[14:15], v[4:5]
	v_mov_b32_e32 v2, 1
	s_and_saveexec_b64 s[54:55], vcc
	s_cbranch_execz .LBB9_210
; %bb.201:                              ;   in Loop: Header=BB9_199 Depth=2
	s_mov_b64 s[56:57], 0
	v_mov_b32_e32 v2, 0
                                        ; implicit-def: $sgpr58_sgpr59
	s_branch .LBB9_205
.LBB9_202:                              ;   in Loop: Header=BB9_205 Depth=3
	s_or_b64 exec, exec, s[66:67]
	v_mov_b32_e32 v9, 0
	s_orn2_b64 s[64:65], s[64:65], exec
.LBB9_203:                              ;   in Loop: Header=BB9_205 Depth=3
	s_or_b64 exec, exec, s[62:63]
	s_andn2_b64 vcc, s[58:59], exec
	s_and_b64 s[58:59], s[64:65], exec
	s_or_b64 s[58:59], vcc, s[58:59]
	v_mov_b32_e32 v2, v9
.LBB9_204:                              ;   in Loop: Header=BB9_205 Depth=3
	s_or_b64 exec, exec, s[60:61]
	s_waitcnt vmcnt(0) lgkmcnt(0)
	v_lshl_add_u64 v[14:15], v[32:33], 0, 8
	v_cmp_ge_u64_e32 vcc, v[14:15], v[4:5]
	s_xor_b64 s[60:61], s[58:59], -1
	s_or_b64 vcc, s[60:61], vcc
	s_and_b64 vcc, exec, vcc
	s_or_b64 s[56:57], vcc, s[56:57]
	s_andn2_b64 exec, exec, s[56:57]
	s_cbranch_execz .LBB9_209
.LBB9_205:                              ;   Parent Loop BB9_47 Depth=1
                                        ;     Parent Loop BB9_199 Depth=2
                                        ; =>    This Inner Loop Header: Depth=3
	s_sleep 1
	flat_load_dwordx2 v[32:33], v[22:23] sc0 sc1
	v_and_b32_e32 v9, 64, v62
	v_cmp_eq_u32_e32 vcc, 0, v9
	s_andn2_b64 s[58:59], s[58:59], exec
	s_and_saveexec_b64 s[60:61], vcc
	s_cbranch_execz .LBB9_204
; %bb.206:                              ;   in Loop: Header=BB9_205 Depth=3
	v_add_u32_e32 v9, 1, v2
	v_cmp_lt_i32_e32 vcc, s82, v2
	s_mov_b64 s[64:65], -1
	s_and_saveexec_b64 s[62:63], vcc
	s_cbranch_execz .LBB9_203
; %bb.207:                              ;   in Loop: Header=BB9_205 Depth=3
	s_trap 2
	ds_read_b64 v[14:15], v0
	s_waitcnt vmcnt(0) lgkmcnt(0)
	flat_load_dword v2, v[14:15] sc0 sc1
	s_waitcnt vmcnt(0) lgkmcnt(0)
	buffer_inv sc0 sc1
	v_cmp_ne_u32_e32 vcc, 0, v2
	s_and_saveexec_b64 s[66:67], vcc
	s_cbranch_execz .LBB9_202
; %bb.208:                              ;   in Loop: Header=BB9_205 Depth=3
	v_or_b32_e32 v62, 64, v62
	s_xor_b64 s[64:65], exec, -1
	ds_write_b32 v0, v2
	s_trap 2
	s_branch .LBB9_202
.LBB9_209:                              ;   in Loop: Header=BB9_199 Depth=2
	s_or_b64 exec, exec, s[56:57]
	v_and_b32_e32 v2, 8, v62
.LBB9_210:                              ;   in Loop: Header=BB9_199 Depth=2
	s_or_b64 exec, exec, s[54:55]
	v_cmp_eq_u32_e32 vcc, 0, v2
	s_orn2_b64 s[54:55], vcc, exec
	;;#ASMSTART
	s_wakeup
	;;#ASMEND
.LBB9_211:                              ;   in Loop: Header=BB9_199 Depth=2
	s_or_b64 exec, exec, s[28:29]
	s_xor_b64 s[22:23], s[22:23], -1
	s_and_b64 s[22:23], exec, s[22:23]
	s_or_b64 s[26:27], s[22:23], s[26:27]
	v_sub_u32_e32 v2, v1, v10
	s_xor_b64 s[22:23], s[54:55], -1
	v_min_i32_e32 v8, v8, v2
	s_and_saveexec_b64 s[28:29], s[22:23]
	s_cbranch_execz .LBB9_226
; %bb.212:                              ;   in Loop: Header=BB9_199 Depth=2
	v_and_b32_e32 v2, 0x100, v62
	v_cmp_ne_u32_e32 vcc, 0, v2
	v_and_b32_e32 v2, 7, v20
	s_mov_b64 s[22:23], -1
                                        ; implicit-def: $vgpr4_vgpr5
	s_and_saveexec_b64 s[54:55], vcc
	s_cbranch_execz .LBB9_216
; %bb.213:                              ;   in Loop: Header=BB9_199 Depth=2
	v_mad_u64_u32 v[14:15], s[22:23], v2, 24, v[44:45]
	flat_load_dword v11, v[14:15]
	v_ashrrev_i32_e32 v9, 31, v8
	v_lshlrev_b64 v[4:5], 1, v[8:9]
	flat_store_dwordx2 v[14:15], v[4:5] offset:8
                                        ; implicit-def: $vgpr4_vgpr5
	s_waitcnt vmcnt(0) lgkmcnt(0)
	v_cmp_ne_u32_e32 vcc, 1, v11
	v_cmp_eq_u32_e64 s[22:23], 1, v11
	s_and_saveexec_b64 s[56:57], s[22:23]
	s_cbranch_execz .LBB9_215
; %bb.214:                              ;   in Loop: Header=BB9_199 Depth=2
	flat_load_dword v4, v[14:15] offset:4 sc0 sc1
	s_waitcnt vmcnt(0) lgkmcnt(0)
	v_ashrrev_i32_e32 v5, 31, v4
	v_lshrrev_b64 v[4:5], 1, v[4:5]
.LBB9_215:                              ;   in Loop: Header=BB9_199 Depth=2
	s_or_b64 exec, exec, s[56:57]
	s_orn2_b64 s[22:23], vcc, exec
.LBB9_216:                              ;   in Loop: Header=BB9_199 Depth=2
	s_or_b64 exec, exec, s[54:55]
	s_and_saveexec_b64 vcc, s[22:23]
; %bb.217:                              ;   in Loop: Header=BB9_199 Depth=2
	v_mad_i64_i32 v[4:5], s[22:23], v2, v60, 0
; %bb.218:                              ;   in Loop: Header=BB9_199 Depth=2
	s_or_b64 exec, exec, vcc
	v_and_b32_e32 v2, 0x2000, v62
	v_lshl_add_u64 v[4:5], v[4:5], 1, v[56:57]
	v_cmp_ne_u32_e32 vcc, 0, v2
	ds_write_b64 v0, v[4:5] offset:784
	s_and_saveexec_b64 s[22:23], vcc
	s_cbranch_execz .LBB9_220
; %bb.219:                              ;   in Loop: Header=BB9_199 Depth=2
	ds_read_b64 v[4:5], v0 offset:584
	s_waitcnt lgkmcnt(0)
	v_lshl_add_u64 v[4:5], v[4:5], 0, 1
	ds_write_b64 v0, v[4:5] offset:584
.LBB9_220:                              ;   in Loop: Header=BB9_199 Depth=2
	s_or_b64 exec, exec, s[22:23]
	v_lshl_add_u64 v[20:21], v[20:21], 0, 2
	s_or_b64 exec, exec, s[28:29]
	s_and_saveexec_b64 s[22:23], s[4:5]
	s_cbranch_execnz .LBB9_227
.LBB9_221:                              ;   in Loop: Header=BB9_199 Depth=2
	s_or_b64 exec, exec, s[22:23]
                                        ; implicit-def: $vgpr2
	s_and_saveexec_b64 s[22:23], s[20:21]
	s_xor_b64 s[22:23], exec, s[22:23]
	s_cbranch_execz .LBB9_245
.LBB9_222:                              ;   in Loop: Header=BB9_199 Depth=2
	s_trap 2
	ds_read_b32 v4, v0
	v_cmp_lt_i32_e32 vcc, 0, v8
	v_and_b32_e32 v5, 16, v62
	v_and_b32_e32 v2, 16, v62
	s_waitcnt lgkmcnt(0)
	v_readfirstlane_b32 s28, v4
	s_cmp_eq_u32 s28, 0
	s_cselect_b64 s[28:29], -1, 0
	s_and_b64 s[28:29], vcc, s[28:29]
	v_cmp_ne_u32_e32 vcc, 0, v5
	s_and_b64 vcc, vcc, s[28:29]
	s_and_saveexec_b64 s[28:29], vcc
	s_cbranch_execz .LBB9_224
; %bb.223:                              ;   in Loop: Header=BB9_199 Depth=2
	v_mov_b32_e32 v2, 1
	buffer_wbl2 sc1
	s_waitcnt vmcnt(0)
	buffer_inv sc1
.LBB9_224:                              ;   in Loop: Header=BB9_199 Depth=2
	s_or_b64 exec, exec, s[28:29]
	s_andn2_saveexec_b64 s[22:23], s[22:23]
	s_cbranch_execnz .LBB9_246
.LBB9_225:                              ;   in Loop: Header=BB9_199 Depth=2
	s_or_b64 exec, exec, s[22:23]
	v_cmp_ne_u32_e32 vcc, 0, v2
	s_and_saveexec_b64 s[22:23], vcc
	s_cbranch_execz .LBB9_198
	s_branch .LBB9_264
.LBB9_226:                              ;   in Loop: Header=BB9_199 Depth=2
	s_or_b64 exec, exec, s[28:29]
	s_and_saveexec_b64 s[22:23], s[4:5]
	s_cbranch_execz .LBB9_221
.LBB9_227:                              ;   in Loop: Header=BB9_199 Depth=2
	s_and_saveexec_b64 s[28:29], s[38:39]
	s_xor_b64 s[28:29], exec, s[28:29]
	s_cbranch_execz .LBB9_242
; %bb.228:                              ;   in Loop: Header=BB9_199 Depth=2
	s_and_saveexec_b64 s[54:55], s[12:13]
	s_cbranch_execz .LBB9_241
; %bb.229:                              ;   in Loop: Header=BB9_199 Depth=2
	s_mov_b64 s[58:59], exec
	v_mbcnt_lo_u32_b32 v2, s58, 0
	v_mbcnt_hi_u32_b32 v2, s59, v2
	v_cmp_eq_u32_e32 vcc, 0, v2
	s_waitcnt lgkmcnt(0)
	s_and_saveexec_b64 s[56:57], vcc
	s_cbranch_execz .LBB9_231
; %bb.230:                              ;   in Loop: Header=BB9_199 Depth=2
	s_bcnt1_i32_b64 vcc_lo, s[58:59]
	v_mov_b32_e32 v2, vcc_lo
	ds_add_u64 v0, v[2:3]
	s_trap 2
.LBB9_231:                              ;   in Loop: Header=BB9_199 Depth=2
	s_or_b64 exec, exec, s[56:57]
	s_trap 2
	ds_read_b64 v[4:5], v0
	v_lshl_add_u64 v[12:13], v[12:13], 0, v[34:35]
	s_waitcnt lgkmcnt(0)
	v_cmp_lt_u64_e32 vcc, v[4:5], v[12:13]
	s_and_saveexec_b64 s[56:57], vcc
	s_cbranch_execz .LBB9_240
; %bb.232:                              ;   in Loop: Header=BB9_199 Depth=2
	s_mov_b32 s68, 0
	s_mov_b64 s[58:59], 0
                                        ; implicit-def: $sgpr60_sgpr61
                                        ; implicit-def: $sgpr62_sgpr63
	s_branch .LBB9_234
.LBB9_233:                              ;   in Loop: Header=BB9_234 Depth=3
	s_or_b64 exec, exec, s[66:67]
	s_and_b64 vcc, exec, vcc
	s_or_b64 s[58:59], vcc, s[58:59]
	s_andn2_b64 vcc, s[60:61], exec
	s_and_b64 s[60:61], s[62:63], exec
	s_or_b64 s[60:61], vcc, s[60:61]
	s_andn2_b64 exec, exec, s[58:59]
	s_cbranch_execz .LBB9_238
.LBB9_234:                              ;   Parent Loop BB9_47 Depth=1
                                        ;     Parent Loop BB9_199 Depth=2
                                        ; =>    This Inner Loop Header: Depth=3
	s_add_i32 s68, s68, 1
	s_cmpk_lg_i32 s68, 0x2710
	s_cselect_b64 s[64:65], -1, 0
	s_and_b64 vcc, exec, s[64:65]
                                        ; implicit-def: $sgpr66_sgpr67
	s_cbranch_vccnz .LBB9_236
; %bb.235:                              ;   in Loop: Header=BB9_234 Depth=3
	s_trap 2
	ds_read_b64 v[4:5], v0
	s_andn2_b64 s[64:65], s[64:65], exec
	s_mov_b32 s68, 0
	s_mov_b64 s[66:67], -1
	s_waitcnt vmcnt(0) lgkmcnt(0)
	flat_load_dword v2, v[4:5] sc0 sc1
	s_waitcnt vmcnt(0) lgkmcnt(0)
	buffer_inv sc0 sc1
	v_cmp_eq_u32_e32 vcc, 0, v2
	s_and_b64 vcc, vcc, exec
	s_or_b64 s[64:65], s[64:65], vcc
.LBB9_236:                              ;   in Loop: Header=BB9_234 Depth=3
	s_andn2_b64 s[62:63], s[62:63], exec
	s_and_b64 s[66:67], s[66:67], exec
	s_mov_b64 vcc, -1
	s_or_b64 s[62:63], s[62:63], s[66:67]
	s_and_saveexec_b64 s[66:67], s[64:65]
	s_cbranch_execz .LBB9_233
; %bb.237:                              ;   in Loop: Header=BB9_234 Depth=3
	s_sleep 1
	s_trap 2
	ds_read_b64 v[4:5], v0
	s_andn2_b64 s[62:63], s[62:63], exec
	s_waitcnt lgkmcnt(0)
	v_cmp_ge_u64_e32 vcc, v[4:5], v[12:13]
	s_orn2_b64 vcc, vcc, exec
	s_branch .LBB9_233
.LBB9_238:                              ;   in Loop: Header=BB9_199 Depth=2
	s_or_b64 exec, exec, s[58:59]
	s_and_saveexec_b64 vcc, s[60:61]
	s_xor_b64 vcc, exec, vcc
	s_cbranch_execz .LBB9_240
; %bb.239:                              ;   in Loop: Header=BB9_199 Depth=2
	ds_write_b32 v0, v48
	s_trap 2
.LBB9_240:                              ;   in Loop: Header=BB9_199 Depth=2
	s_or_b64 exec, exec, s[56:57]
	;;#ASMSTART
	s_wakeup
	;;#ASMEND
.LBB9_241:                              ;   in Loop: Header=BB9_199 Depth=2
	s_or_b64 exec, exec, s[54:55]
.LBB9_242:                              ;   in Loop: Header=BB9_199 Depth=2
	s_andn2_saveexec_b64 s[28:29], s[28:29]
	s_cbranch_execz .LBB9_244
; %bb.243:                              ;   in Loop: Header=BB9_199 Depth=2
	s_waitcnt lgkmcnt(0)
	s_barrier
.LBB9_244:                              ;   in Loop: Header=BB9_199 Depth=2
	s_or_b64 exec, exec, s[28:29]
	s_or_b64 exec, exec, s[22:23]
                                        ; implicit-def: $vgpr2
	s_and_saveexec_b64 s[22:23], s[20:21]
	s_xor_b64 s[22:23], exec, s[22:23]
	s_cbranch_execnz .LBB9_222
.LBB9_245:                              ;   in Loop: Header=BB9_199 Depth=2
	s_andn2_saveexec_b64 s[22:23], s[22:23]
	s_cbranch_execz .LBB9_225
.LBB9_246:                              ;   in Loop: Header=BB9_199 Depth=2
	s_and_saveexec_b64 s[28:29], s[38:39]
	s_xor_b64 s[28:29], exec, s[28:29]
	s_cbranch_execz .LBB9_261
; %bb.247:                              ;   in Loop: Header=BB9_199 Depth=2
	s_and_saveexec_b64 s[54:55], s[12:13]
	s_cbranch_execz .LBB9_260
; %bb.248:                              ;   in Loop: Header=BB9_199 Depth=2
	s_mov_b64 s[58:59], exec
	v_mbcnt_lo_u32_b32 v2, s58, 0
	v_mbcnt_hi_u32_b32 v2, s59, v2
	v_cmp_eq_u32_e32 vcc, 0, v2
	;;#ASMSTART
	s_waitcnt lgkmcnt(0) vmcnt(0)
	;;#ASMEND
	s_and_saveexec_b64 s[56:57], vcc
	s_cbranch_execz .LBB9_250
; %bb.249:                              ;   in Loop: Header=BB9_199 Depth=2
	s_bcnt1_i32_b64 vcc_lo, s[58:59]
	v_mov_b32_e32 v2, vcc_lo
	ds_add_u64 v0, v[2:3]
	s_trap 2
.LBB9_250:                              ;   in Loop: Header=BB9_199 Depth=2
	s_or_b64 exec, exec, s[56:57]
	s_trap 2
	ds_read_b64 v[4:5], v0
	v_lshl_add_u64 v[12:13], v[12:13], 0, v[34:35]
	s_waitcnt lgkmcnt(0)
	v_cmp_lt_u64_e32 vcc, v[4:5], v[12:13]
	s_and_saveexec_b64 s[56:57], vcc
	s_cbranch_execz .LBB9_259
; %bb.251:                              ;   in Loop: Header=BB9_199 Depth=2
	s_mov_b32 s68, 0
	s_mov_b64 s[58:59], 0
                                        ; implicit-def: $sgpr60_sgpr61
                                        ; implicit-def: $sgpr62_sgpr63
	s_branch .LBB9_253
.LBB9_252:                              ;   in Loop: Header=BB9_253 Depth=3
	s_or_b64 exec, exec, s[66:67]
	s_and_b64 vcc, exec, vcc
	s_or_b64 s[58:59], vcc, s[58:59]
	s_andn2_b64 vcc, s[60:61], exec
	s_and_b64 s[60:61], s[62:63], exec
	s_or_b64 s[60:61], vcc, s[60:61]
	s_andn2_b64 exec, exec, s[58:59]
	s_cbranch_execz .LBB9_257
.LBB9_253:                              ;   Parent Loop BB9_47 Depth=1
                                        ;     Parent Loop BB9_199 Depth=2
                                        ; =>    This Inner Loop Header: Depth=3
	s_add_i32 s68, s68, 1
	s_cmpk_lg_i32 s68, 0x2710
	s_cselect_b64 s[64:65], -1, 0
	s_and_b64 vcc, exec, s[64:65]
                                        ; implicit-def: $sgpr66_sgpr67
	s_cbranch_vccnz .LBB9_255
; %bb.254:                              ;   in Loop: Header=BB9_253 Depth=3
	s_trap 2
	ds_read_b64 v[4:5], v0
	s_andn2_b64 s[64:65], s[64:65], exec
	s_mov_b32 s68, 0
	s_mov_b64 s[66:67], -1
	s_waitcnt vmcnt(0) lgkmcnt(0)
	flat_load_dword v2, v[4:5] sc0 sc1
	s_waitcnt vmcnt(0) lgkmcnt(0)
	buffer_inv sc0 sc1
	v_cmp_eq_u32_e32 vcc, 0, v2
	s_and_b64 vcc, vcc, exec
	s_or_b64 s[64:65], s[64:65], vcc
.LBB9_255:                              ;   in Loop: Header=BB9_253 Depth=3
	s_andn2_b64 s[62:63], s[62:63], exec
	s_and_b64 s[66:67], s[66:67], exec
	s_mov_b64 vcc, -1
	s_or_b64 s[62:63], s[62:63], s[66:67]
	s_and_saveexec_b64 s[66:67], s[64:65]
	s_cbranch_execz .LBB9_252
; %bb.256:                              ;   in Loop: Header=BB9_253 Depth=3
	s_sleep 1
	s_trap 2
	ds_read_b64 v[4:5], v0
	s_andn2_b64 s[62:63], s[62:63], exec
	s_waitcnt lgkmcnt(0)
	v_cmp_ge_u64_e32 vcc, v[4:5], v[12:13]
	s_orn2_b64 vcc, vcc, exec
	s_branch .LBB9_252
.LBB9_257:                              ;   in Loop: Header=BB9_199 Depth=2
	s_or_b64 exec, exec, s[58:59]
	s_and_saveexec_b64 vcc, s[60:61]
	s_xor_b64 vcc, exec, vcc
	s_cbranch_execz .LBB9_259
; %bb.258:                              ;   in Loop: Header=BB9_199 Depth=2
	ds_write_b32 v0, v48
	s_trap 2
.LBB9_259:                              ;   in Loop: Header=BB9_199 Depth=2
	s_or_b64 exec, exec, s[56:57]
	;;#ASMSTART
	s_wakeup
	;;#ASMEND
.LBB9_260:                              ;   in Loop: Header=BB9_199 Depth=2
	s_or_b64 exec, exec, s[54:55]
.LBB9_261:                              ;   in Loop: Header=BB9_199 Depth=2
	s_andn2_saveexec_b64 s[28:29], s[28:29]
	s_cbranch_execz .LBB9_263
; %bb.262:                              ;   in Loop: Header=BB9_199 Depth=2
	;;#ASMSTART
	s_waitcnt lgkmcnt(0) vmcnt(0)
	;;#ASMEND
	s_barrier
.LBB9_263:                              ;   in Loop: Header=BB9_199 Depth=2
	s_or_b64 exec, exec, s[28:29]
	v_and_b32_e32 v2, 16, v62
	s_or_b64 exec, exec, s[22:23]
	v_cmp_ne_u32_e32 vcc, 0, v2
	s_and_saveexec_b64 s[22:23], vcc
	s_cbranch_execz .LBB9_198
.LBB9_264:                              ;   in Loop: Header=BB9_199 Depth=2
	s_and_saveexec_b64 s[28:29], s[10:11]
	s_cbranch_execz .LBB9_197
; %bb.265:                              ;   in Loop: Header=BB9_199 Depth=2
	flat_store_dword v[58:59], v48 sc0 sc1
	s_branch .LBB9_197
.LBB9_266:                              ;   in Loop: Header=BB9_47 Depth=1
	s_or_b64 exec, exec, s[26:27]
.LBB9_267:                              ;   in Loop: Header=BB9_47 Depth=1
	s_or_b64 exec, exec, s[24:25]
	v_cndmask_b32_e64 v1, 0, 1, s[46:47]
	v_cmp_ne_u32_e64 s[22:23], 1, v1
	s_andn2_b64 vcc, exec, s[46:47]
	s_cbranch_vccnz .LBB9_488
; %bb.268:                              ;   in Loop: Header=BB9_47 Depth=1
	s_mov_b32 s87, 2
	s_branch .LBB9_271
.LBB9_269:                              ;   in Loop: Header=BB9_271 Depth=2
	s_or_b64 exec, exec, s[28:29]
.LBB9_270:                              ;   in Loop: Header=BB9_271 Depth=2
	s_or_b64 exec, exec, s[26:27]
	s_add_i32 s87, s87, 1
	s_cmp_eq_u32 s87, s72
	s_cbranch_scc1 .LBB9_488
.LBB9_271:                              ;   Parent Loop BB9_47 Depth=1
                                        ; =>  This Loop Header: Depth=2
                                        ;       Child Loop BB9_274 Depth 3
                                        ;         Child Loop BB9_282 Depth 4
                                        ;         Child Loop BB9_308 Depth 4
	;; [unrolled: 1-line block ×9, first 2 shown]
                                        ;       Child Loop BB9_418 Depth 3
                                        ;         Child Loop BB9_424 Depth 4
                                        ;         Child Loop BB9_462 Depth 4
	;; [unrolled: 1-line block ×3, first 2 shown]
	s_sub_i32 s24, s75, s87
	s_cmp_le_i32 s72, s24
	s_cselect_b32 s25, s72, 0
	s_sub_i32 s24, s24, s25
	v_accvgpr_read_b32 v8, a38
	s_ashr_i32 s25, s24, 31
	v_accvgpr_read_b32 v9, a39
	v_mul_lo_u32 v0, v8, s25
	v_mul_lo_u32 v1, v9, s24
	v_mad_u64_u32 v[10:11], s[24:25], v8, s24, 0
	v_add3_u32 v11, v11, v0, v1
	v_accvgpr_read_b32 v0, a40
	v_accvgpr_read_b32 v1, a41
	v_sub_co_u32_e32 v4, vcc, v0, v10
	v_accvgpr_write_b32 a47, v11
	s_nop 0
	v_subb_co_u32_e32 v5, vcc, v1, v11, vcc
	v_cmp_lt_i64_e32 vcc, v[8:9], v[4:5]
	v_accvgpr_write_b32 a46, v10
	v_mov_b32_e32 v10, 0
	v_cndmask_b32_e32 v0, v4, v8, vcc
	v_max_i32_e32 v49, 0, v0
	v_add_u32_e32 v2, 31, v49
	v_ashrrev_i32_e32 v4, 31, v2
	v_lshrrev_b32_e32 v4, 27, v4
	v_add_u32_e32 v2, v2, v4
	v_ashrrev_i32_e32 v2, 5, v2
	v_lshlrev_b32_e32 v2, 4, v2
	v_cmp_lt_i32_e32 vcc, 0, v0
	v_max_i32_e32 v8, s78, v2
	s_and_b64 s[24:25], s[50:51], vcc
	v_mov_b32_e32 v2, 0
	s_and_saveexec_b64 s[26:27], s[24:25]
	s_cbranch_execz .LBB9_415
; %bb.272:                              ;   in Loop: Header=BB9_271 Depth=2
	s_mov_b32 s88, 1
	s_mov_b64 s[54:55], -1
	s_mov_b64 s[28:29], 0
	v_mov_b32_e32 v10, 0
	v_accvgpr_write_b32 a44, v49
	s_branch .LBB9_274
.LBB9_273:                              ;   in Loop: Header=BB9_274 Depth=3
	s_or_b64 exec, exec, s[24:25]
	v_add_u32_e32 v10, v8, v10
	v_cmp_ge_i32_e32 vcc, v10, v49
	s_xor_b64 s[24:25], s[54:55], -1
	s_or_b64 s[24:25], s[24:25], vcc
	s_and_b64 s[24:25], exec, s[24:25]
	s_or_b64 s[28:29], s[24:25], s[28:29]
	s_mov_b64 s[54:55], 0
	v_mov_b32_e32 v2, s88
	s_mov_b32 s88, 2
	s_andn2_b64 exec, exec, s[28:29]
	s_cbranch_execz .LBB9_414
.LBB9_274:                              ;   Parent Loop BB9_47 Depth=1
                                        ;     Parent Loop BB9_271 Depth=2
                                        ; =>    This Loop Header: Depth=3
                                        ;         Child Loop BB9_282 Depth 4
                                        ;         Child Loop BB9_308 Depth 4
	;; [unrolled: 1-line block ×9, first 2 shown]
	s_and_saveexec_b64 s[24:25], s[0:1]
	s_cbranch_execz .LBB9_276
; %bb.275:                              ;   in Loop: Header=BB9_274 Depth=3
	s_trap 2
	ds_read_b64 v[4:5], v0
	v_accvgpr_read_b32 v0, a46
	v_accvgpr_read_b32 v1, a47
	v_ashrrev_i32_e32 v11, 31, v10
	v_mov_b32_e32 v2, v3
	s_waitcnt lgkmcnt(0)
	v_lshl_add_u64 v[4:5], v[16:17], 1, v[4:5]
	v_lshl_add_u64 v[4:5], v[0:1], 1, v[4:5]
	;; [unrolled: 1-line block ×3, first 2 shown]
	ds_write_b64 v0, v[4:5]
	ds_write_b64 v0, v[2:3]
.LBB9_276:                              ;   in Loop: Header=BB9_274 Depth=3
	s_or_b64 exec, exec, s[24:25]
	v_and_b32_e32 v0, 12, v62
	v_cmp_ne_u32_e32 vcc, 0, v0
	s_mov_b64 s[56:57], -1
	s_and_saveexec_b64 s[24:25], vcc
	s_cbranch_execz .LBB9_288
; %bb.277:                              ;   in Loop: Header=BB9_274 Depth=3
	v_and_b32_e32 v2, 8, v62
	v_lshl_add_u64 v[14:15], v[32:33], 0, v[2:3]
	v_lshl_add_u64 v[4:5], v[20:21], 0, 2
	v_cmp_lt_u64_e32 vcc, v[14:15], v[4:5]
	v_mov_b32_e32 v9, 1
	s_and_saveexec_b64 s[56:57], vcc
	s_cbranch_execz .LBB9_287
; %bb.278:                              ;   in Loop: Header=BB9_274 Depth=3
	s_mov_b64 s[58:59], 0
	v_mov_b32_e32 v9, 0
                                        ; implicit-def: $sgpr60_sgpr61
	s_branch .LBB9_282
.LBB9_279:                              ;   in Loop: Header=BB9_282 Depth=4
	s_or_b64 exec, exec, s[68:69]
	v_mov_b32_e32 v11, 0
	s_orn2_b64 s[66:67], s[66:67], exec
.LBB9_280:                              ;   in Loop: Header=BB9_282 Depth=4
	s_or_b64 exec, exec, s[64:65]
	s_andn2_b64 vcc, s[60:61], exec
	s_and_b64 s[60:61], s[66:67], exec
	s_or_b64 s[60:61], vcc, s[60:61]
	v_mov_b32_e32 v9, v11
.LBB9_281:                              ;   in Loop: Header=BB9_282 Depth=4
	s_or_b64 exec, exec, s[62:63]
	s_waitcnt vmcnt(0) lgkmcnt(0)
	v_lshl_add_u64 v[14:15], v[32:33], 0, v[2:3]
	v_cmp_ge_u64_e32 vcc, v[14:15], v[4:5]
	s_xor_b64 s[62:63], s[60:61], -1
	s_or_b64 vcc, s[62:63], vcc
	s_and_b64 vcc, exec, vcc
	s_or_b64 s[58:59], vcc, s[58:59]
	s_andn2_b64 exec, exec, s[58:59]
	s_cbranch_execz .LBB9_286
.LBB9_282:                              ;   Parent Loop BB9_47 Depth=1
                                        ;     Parent Loop BB9_271 Depth=2
                                        ;       Parent Loop BB9_274 Depth=3
                                        ; =>      This Inner Loop Header: Depth=4
	s_sleep 1
	flat_load_dwordx2 v[32:33], v[22:23] sc0 sc1
	v_and_b32_e32 v0, 64, v62
	v_cmp_eq_u32_e32 vcc, 0, v0
	s_andn2_b64 s[60:61], s[60:61], exec
	s_and_saveexec_b64 s[62:63], vcc
	s_cbranch_execz .LBB9_281
; %bb.283:                              ;   in Loop: Header=BB9_282 Depth=4
	v_add_u32_e32 v11, 1, v9
	v_cmp_lt_i32_e32 vcc, s82, v9
	s_mov_b64 s[66:67], -1
	s_and_saveexec_b64 s[64:65], vcc
	s_cbranch_execz .LBB9_280
; %bb.284:                              ;   in Loop: Header=BB9_282 Depth=4
	s_trap 2
	ds_read_b64 v[14:15], v0
	s_waitcnt vmcnt(0) lgkmcnt(0)
	flat_load_dword v9, v[14:15] sc0 sc1
	s_waitcnt vmcnt(0) lgkmcnt(0)
	buffer_inv sc0 sc1
	v_cmp_ne_u32_e32 vcc, 0, v9
	s_and_saveexec_b64 s[68:69], vcc
	s_cbranch_execz .LBB9_279
; %bb.285:                              ;   in Loop: Header=BB9_282 Depth=4
	v_or_b32_e32 v62, 64, v62
	s_xor_b64 s[66:67], exec, -1
	ds_write_b32 v0, v9
	s_trap 2
	s_branch .LBB9_279
.LBB9_286:                              ;   in Loop: Header=BB9_274 Depth=3
	s_or_b64 exec, exec, s[58:59]
	v_and_b32_e32 v9, 12, v62
.LBB9_287:                              ;   in Loop: Header=BB9_274 Depth=3
	s_or_b64 exec, exec, s[56:57]
	v_cmp_eq_u32_e32 vcc, 0, v9
	s_orn2_b64 s[56:57], vcc, exec
	;;#ASMSTART
	s_wakeup
	;;#ASMEND
.LBB9_288:                              ;   in Loop: Header=BB9_274 Depth=3
	s_or_b64 exec, exec, s[24:25]
	v_sub_u32_e32 v0, v49, v10
	s_xor_b64 s[24:25], s[56:57], -1
	v_min_i32_e32 v8, v8, v0
	s_and_saveexec_b64 s[56:57], s[24:25]
	s_cbranch_execz .LBB9_300
; %bb.289:                              ;   in Loop: Header=BB9_274 Depth=3
	v_and_b32_e32 v0, 0x108, v62
	v_cmp_ne_u32_e32 vcc, s83, v0
	v_and_b32_e32 v2, 7, v20
	s_and_saveexec_b64 s[24:25], vcc
	s_xor_b64 s[24:25], exec, s[24:25]
	s_andn2_saveexec_b64 s[24:25], s[24:25]
	s_cbranch_execz .LBB9_291
; %bb.290:                              ;   in Loop: Header=BB9_274 Depth=3
	v_ashrrev_i32_e32 v9, 31, v8
	v_mad_u64_u32 v[4:5], vcc, v2, 24, v[44:45]
	v_lshlrev_b64 v[14:15], 1, v[8:9]
	flat_store_dwordx2 v[4:5], v[14:15] offset:8
.LBB9_291:                              ;   in Loop: Header=BB9_274 Depth=3
	s_or_b64 exec, exec, s[24:25]
	v_and_b32_e32 v0, 0x100, v62
	v_cmp_ne_u32_e32 vcc, 0, v0
	s_mov_b64 s[24:25], -1
                                        ; implicit-def: $vgpr4_vgpr5
	s_and_saveexec_b64 s[58:59], vcc
	s_cbranch_execz .LBB9_295
; %bb.292:                              ;   in Loop: Header=BB9_274 Depth=3
	v_mad_u64_u32 v[14:15], s[24:25], v2, 24, v[44:45]
	v_mov_b32_e32 v4, v15
	v_mad_u64_u32 v[4:5], s[24:25], v3, 24, v[4:5]
	v_mov_b32_e32 v15, v4
	flat_load_dword v0, v[14:15]
                                        ; implicit-def: $vgpr4_vgpr5
	s_waitcnt vmcnt(0) lgkmcnt(0)
	v_cmp_ne_u32_e32 vcc, 1, v0
	v_cmp_eq_u32_e64 s[24:25], 1, v0
	s_and_saveexec_b64 s[60:61], s[24:25]
	s_cbranch_execz .LBB9_294
; %bb.293:                              ;   in Loop: Header=BB9_274 Depth=3
	flat_load_dword v4, v[14:15] offset:4 sc0 sc1
	s_waitcnt vmcnt(0) lgkmcnt(0)
	v_ashrrev_i32_e32 v5, 31, v4
	v_lshrrev_b64 v[4:5], 1, v[4:5]
.LBB9_294:                              ;   in Loop: Header=BB9_274 Depth=3
	s_or_b64 exec, exec, s[60:61]
	s_orn2_b64 s[24:25], vcc, exec
.LBB9_295:                              ;   in Loop: Header=BB9_274 Depth=3
	s_or_b64 exec, exec, s[58:59]
	s_and_saveexec_b64 vcc, s[24:25]
; %bb.296:                              ;   in Loop: Header=BB9_274 Depth=3
	v_mul_lo_u32 v0, v3, v60
	v_mul_lo_u32 v9, v2, v53
	v_mad_u64_u32 v[4:5], s[24:25], v2, v60, 0
	v_add3_u32 v5, v5, v9, v0
; %bb.297:                              ;   in Loop: Header=BB9_274 Depth=3
	s_or_b64 exec, exec, vcc
	v_lshl_add_u64 v[4:5], v[4:5], 1, v[56:57]
	s_trap 2
	ds_write_b64 v0, v[4:5]
	v_and_b32_e32 v0, 0x2000, v62
	v_cmp_ne_u32_e32 vcc, 0, v0
	s_and_saveexec_b64 s[24:25], vcc
	s_cbranch_execz .LBB9_299
; %bb.298:                              ;   in Loop: Header=BB9_274 Depth=3
	ds_read_b64 v[4:5], v0 offset:584
	s_waitcnt lgkmcnt(0)
	v_lshl_add_u64 v[4:5], v[4:5], 0, 1
	ds_write_b64 v0, v[4:5] offset:584
.LBB9_299:                              ;   in Loop: Header=BB9_274 Depth=3
	s_or_b64 exec, exec, s[24:25]
	v_lshl_add_u64 v[20:21], v[20:21], 0, 2
.LBB9_300:                              ;   in Loop: Header=BB9_274 Depth=3
	s_or_b64 exec, exec, s[56:57]
	s_and_saveexec_b64 s[24:25], s[4:5]
	s_cbranch_execz .LBB9_319
; %bb.301:                              ;   in Loop: Header=BB9_274 Depth=3
	s_and_saveexec_b64 vcc, s[38:39]
	s_xor_b64 s[56:57], exec, vcc
	s_cbranch_execz .LBB9_316
; %bb.302:                              ;   in Loop: Header=BB9_274 Depth=3
	s_and_saveexec_b64 s[58:59], s[12:13]
	s_cbranch_execz .LBB9_315
; %bb.303:                              ;   in Loop: Header=BB9_274 Depth=3
	s_mov_b64 s[62:63], exec
	v_mbcnt_lo_u32_b32 v0, s62, 0
	v_mbcnt_hi_u32_b32 v0, s63, v0
	v_cmp_eq_u32_e32 vcc, 0, v0
	s_waitcnt lgkmcnt(0)
	s_and_saveexec_b64 s[60:61], vcc
	s_cbranch_execz .LBB9_305
; %bb.304:                              ;   in Loop: Header=BB9_274 Depth=3
	s_bcnt1_i32_b64 vcc_lo, s[62:63]
	v_mov_b32_e32 v2, vcc_lo
	ds_add_u64 v0, v[2:3]
	s_trap 2
.LBB9_305:                              ;   in Loop: Header=BB9_274 Depth=3
	s_or_b64 exec, exec, s[60:61]
	s_trap 2
	ds_read_b64 v[4:5], v0
	v_lshl_add_u64 v[12:13], v[12:13], 0, v[34:35]
	s_waitcnt lgkmcnt(0)
	v_cmp_lt_u64_e32 vcc, v[4:5], v[12:13]
	s_and_saveexec_b64 s[60:61], vcc
	s_cbranch_execz .LBB9_314
; %bb.306:                              ;   in Loop: Header=BB9_274 Depth=3
	s_mov_b32 s89, 0
	s_mov_b64 s[62:63], 0
                                        ; implicit-def: $sgpr64_sgpr65
                                        ; implicit-def: $sgpr66_sgpr67
	s_branch .LBB9_308
.LBB9_307:                              ;   in Loop: Header=BB9_308 Depth=4
	s_or_b64 exec, exec, s[70:71]
	s_and_b64 vcc, exec, vcc
	s_or_b64 s[62:63], vcc, s[62:63]
	s_andn2_b64 vcc, s[64:65], exec
	s_and_b64 s[64:65], s[66:67], exec
	s_or_b64 s[64:65], vcc, s[64:65]
	s_andn2_b64 exec, exec, s[62:63]
	s_cbranch_execz .LBB9_312
.LBB9_308:                              ;   Parent Loop BB9_47 Depth=1
                                        ;     Parent Loop BB9_271 Depth=2
                                        ;       Parent Loop BB9_274 Depth=3
                                        ; =>      This Inner Loop Header: Depth=4
	s_add_i32 s89, s89, 1
	s_cmpk_lg_i32 s89, 0x2710
	s_cselect_b64 s[68:69], -1, 0
	s_and_b64 vcc, exec, s[68:69]
                                        ; implicit-def: $sgpr70_sgpr71
	s_cbranch_vccnz .LBB9_310
; %bb.309:                              ;   in Loop: Header=BB9_308 Depth=4
	s_trap 2
	ds_read_b64 v[4:5], v0
	s_andn2_b64 s[68:69], s[68:69], exec
	s_mov_b32 s89, 0
	s_mov_b64 s[70:71], -1
	s_waitcnt vmcnt(0) lgkmcnt(0)
	flat_load_dword v0, v[4:5] sc0 sc1
	s_waitcnt vmcnt(0) lgkmcnt(0)
	buffer_inv sc0 sc1
	v_cmp_eq_u32_e32 vcc, 0, v0
	s_and_b64 vcc, vcc, exec
	s_or_b64 s[68:69], s[68:69], vcc
.LBB9_310:                              ;   in Loop: Header=BB9_308 Depth=4
	s_andn2_b64 s[66:67], s[66:67], exec
	s_and_b64 s[70:71], s[70:71], exec
	s_mov_b64 vcc, -1
	s_or_b64 s[66:67], s[66:67], s[70:71]
	s_and_saveexec_b64 s[70:71], s[68:69]
	s_cbranch_execz .LBB9_307
; %bb.311:                              ;   in Loop: Header=BB9_308 Depth=4
	s_sleep 1
	s_trap 2
	ds_read_b64 v[4:5], v0
	s_andn2_b64 s[66:67], s[66:67], exec
	s_waitcnt lgkmcnt(0)
	v_cmp_ge_u64_e32 vcc, v[4:5], v[12:13]
	s_orn2_b64 vcc, vcc, exec
	s_branch .LBB9_307
.LBB9_312:                              ;   in Loop: Header=BB9_274 Depth=3
	s_or_b64 exec, exec, s[62:63]
	s_and_saveexec_b64 vcc, s[64:65]
	s_xor_b64 vcc, exec, vcc
	s_cbranch_execz .LBB9_314
; %bb.313:                              ;   in Loop: Header=BB9_274 Depth=3
	ds_write_b32 v0, v48
	s_trap 2
.LBB9_314:                              ;   in Loop: Header=BB9_274 Depth=3
	s_or_b64 exec, exec, s[60:61]
	;;#ASMSTART
	s_wakeup
	;;#ASMEND
.LBB9_315:                              ;   in Loop: Header=BB9_274 Depth=3
	s_or_b64 exec, exec, s[58:59]
.LBB9_316:                              ;   in Loop: Header=BB9_274 Depth=3
	s_andn2_saveexec_b64 vcc, s[56:57]
	s_cbranch_execz .LBB9_318
; %bb.317:                              ;   in Loop: Header=BB9_274 Depth=3
	s_waitcnt lgkmcnt(0)
	s_barrier
.LBB9_318:                              ;   in Loop: Header=BB9_274 Depth=3
	s_or_b64 exec, exec, vcc
.LBB9_319:                              ;   in Loop: Header=BB9_274 Depth=3
	s_or_b64 exec, exec, s[24:25]
	s_trap 2
	ds_read_b32 v4, v0
	v_and_b32_e32 v0, 0x4000, v62
	v_cmp_ne_u32_e32 vcc, 0, v0
	s_xor_b64 s[24:25], s[2:3], -1
	s_and_b64 vcc, s[24:25], vcc
	s_and_saveexec_b64 s[24:25], vcc
	s_cbranch_execz .LBB9_338
; %bb.320:                              ;   in Loop: Header=BB9_274 Depth=3
	s_and_saveexec_b64 vcc, s[38:39]
	s_xor_b64 s[56:57], exec, vcc
	s_cbranch_execz .LBB9_335
; %bb.321:                              ;   in Loop: Header=BB9_274 Depth=3
	s_and_saveexec_b64 s[58:59], s[12:13]
	s_cbranch_execz .LBB9_334
; %bb.322:                              ;   in Loop: Header=BB9_274 Depth=3
	s_mov_b64 s[62:63], exec
	v_mbcnt_lo_u32_b32 v0, s62, 0
	v_mbcnt_hi_u32_b32 v0, s63, v0
	v_cmp_eq_u32_e32 vcc, 0, v0
	s_waitcnt lgkmcnt(0)
	s_and_saveexec_b64 s[60:61], vcc
	s_cbranch_execz .LBB9_324
; %bb.323:                              ;   in Loop: Header=BB9_274 Depth=3
	s_bcnt1_i32_b64 vcc_lo, s[62:63]
	v_mov_b32_e32 v2, vcc_lo
	ds_add_u64 v0, v[2:3]
	s_trap 2
.LBB9_324:                              ;   in Loop: Header=BB9_274 Depth=3
	s_or_b64 exec, exec, s[60:61]
	s_trap 2
	ds_read_b64 v[14:15], v0
	v_lshl_add_u64 v[12:13], v[12:13], 0, v[34:35]
	s_waitcnt lgkmcnt(0)
	v_cmp_lt_u64_e32 vcc, v[14:15], v[12:13]
	s_and_saveexec_b64 s[60:61], vcc
	s_cbranch_execz .LBB9_333
; %bb.325:                              ;   in Loop: Header=BB9_274 Depth=3
	s_mov_b32 s89, 0
	s_mov_b64 s[62:63], 0
                                        ; implicit-def: $sgpr64_sgpr65
                                        ; implicit-def: $sgpr66_sgpr67
	s_branch .LBB9_327
.LBB9_326:                              ;   in Loop: Header=BB9_327 Depth=4
	s_or_b64 exec, exec, s[70:71]
	s_and_b64 vcc, exec, vcc
	s_or_b64 s[62:63], vcc, s[62:63]
	s_andn2_b64 vcc, s[64:65], exec
	s_and_b64 s[64:65], s[66:67], exec
	s_or_b64 s[64:65], vcc, s[64:65]
	s_andn2_b64 exec, exec, s[62:63]
	s_cbranch_execz .LBB9_331
.LBB9_327:                              ;   Parent Loop BB9_47 Depth=1
                                        ;     Parent Loop BB9_271 Depth=2
                                        ;       Parent Loop BB9_274 Depth=3
                                        ; =>      This Inner Loop Header: Depth=4
	s_add_i32 s89, s89, 1
	s_cmpk_lg_i32 s89, 0x2710
	s_cselect_b64 s[68:69], -1, 0
	s_and_b64 vcc, exec, s[68:69]
                                        ; implicit-def: $sgpr70_sgpr71
	s_cbranch_vccnz .LBB9_329
; %bb.328:                              ;   in Loop: Header=BB9_327 Depth=4
	s_trap 2
	ds_read_b64 v[14:15], v0
	s_andn2_b64 s[68:69], s[68:69], exec
	s_mov_b32 s89, 0
	s_mov_b64 s[70:71], -1
	s_waitcnt vmcnt(0) lgkmcnt(0)
	flat_load_dword v0, v[14:15] sc0 sc1
	s_waitcnt vmcnt(0) lgkmcnt(0)
	buffer_inv sc0 sc1
	v_cmp_eq_u32_e32 vcc, 0, v0
	s_and_b64 vcc, vcc, exec
	s_or_b64 s[68:69], s[68:69], vcc
.LBB9_329:                              ;   in Loop: Header=BB9_327 Depth=4
	s_andn2_b64 s[66:67], s[66:67], exec
	s_and_b64 s[70:71], s[70:71], exec
	s_mov_b64 vcc, -1
	s_or_b64 s[66:67], s[66:67], s[70:71]
	s_and_saveexec_b64 s[70:71], s[68:69]
	s_cbranch_execz .LBB9_326
; %bb.330:                              ;   in Loop: Header=BB9_327 Depth=4
	s_sleep 1
	s_trap 2
	ds_read_b64 v[14:15], v0
	s_andn2_b64 s[66:67], s[66:67], exec
	s_waitcnt lgkmcnt(0)
	v_cmp_ge_u64_e32 vcc, v[14:15], v[12:13]
	s_orn2_b64 vcc, vcc, exec
	s_branch .LBB9_326
.LBB9_331:                              ;   in Loop: Header=BB9_274 Depth=3
	s_or_b64 exec, exec, s[62:63]
	s_and_saveexec_b64 vcc, s[64:65]
	s_xor_b64 vcc, exec, vcc
	s_cbranch_execz .LBB9_333
; %bb.332:                              ;   in Loop: Header=BB9_274 Depth=3
	ds_write_b32 v0, v48
	s_trap 2
.LBB9_333:                              ;   in Loop: Header=BB9_274 Depth=3
	s_or_b64 exec, exec, s[60:61]
	;;#ASMSTART
	s_wakeup
	;;#ASMEND
.LBB9_334:                              ;   in Loop: Header=BB9_274 Depth=3
	s_or_b64 exec, exec, s[58:59]
.LBB9_335:                              ;   in Loop: Header=BB9_274 Depth=3
	s_andn2_saveexec_b64 vcc, s[56:57]
	s_cbranch_execz .LBB9_337
; %bb.336:                              ;   in Loop: Header=BB9_274 Depth=3
	s_waitcnt lgkmcnt(0)
	s_barrier
.LBB9_337:                              ;   in Loop: Header=BB9_274 Depth=3
	s_or_b64 exec, exec, vcc
.LBB9_338:                              ;   in Loop: Header=BB9_274 Depth=3
	s_or_b64 exec, exec, s[24:25]
	s_trap 2
	ds_read_b64 v[14:15], v0
	v_mov_b32_e32 v9, 0
	s_waitcnt lgkmcnt(0)
	v_readfirstlane_b32 s24, v14
	v_readfirstlane_b32 s25, v15
	s_cmp_eq_u64 s[24:25], 0
	s_cselect_b64 s[24:25], -1, 0
	s_or_b64 s[24:25], s[24:25], s[24:25]
	s_and_b64 vcc, exec, s[24:25]
	s_cbranch_vccnz .LBB9_358
; %bb.339:                              ;   in Loop: Header=BB9_274 Depth=3
	s_mov_b64 s[56:57], -1
	s_and_saveexec_b64 s[24:25], s[18:19]
	s_cbranch_execz .LBB9_341
; %bb.340:                              ;   in Loop: Header=BB9_274 Depth=3
	ds_read_b32 v0, v0 offset:720
	s_waitcnt lgkmcnt(0)
	v_and_b32_e32 v0, 15, v0
	v_cmp_eq_u32_e32 vcc, 0, v0
	s_orn2_b64 s[56:57], vcc, exec
.LBB9_341:                              ;   in Loop: Header=BB9_274 Depth=3
	s_or_b64 exec, exec, s[24:25]
	s_and_saveexec_b64 s[24:25], s[16:17]
	s_cbranch_execz .LBB9_343
; %bb.342:                              ;   in Loop: Header=BB9_274 Depth=3
	ds_read_b32 v0, v0 offset:784
	s_waitcnt lgkmcnt(0)
	v_and_b32_e32 v0, 15, v0
	v_cmp_eq_u32_e32 vcc, 0, v0
	s_and_b64 vcc, s[56:57], vcc
	s_andn2_b64 s[56:57], s[56:57], exec
	s_and_b64 vcc, vcc, exec
	s_or_b64 s[56:57], s[56:57], vcc
.LBB9_343:                              ;   in Loop: Header=BB9_274 Depth=3
	s_or_b64 exec, exec, s[24:25]
	v_cmp_eq_u32_e32 vcc, 0, v4
	v_mov_b32_e32 v11, 0
	s_mov_b64 s[24:25], -1
	v_cndmask_b32_e32 v9, 0, v8, vcc
	s_xor_b64 vcc, s[56:57], -1
	v_cndmask_b32_e64 v0, 0, 1, vcc
	v_lshlrev_b32_e32 v2, 1, v9
	;;#ASMSTART
	;;#ASMEND
	s_nop 0
	v_cmp_ne_u32_e32 vcc, 0, v0
	s_cbranch_vccz .LBB9_359
; %bb.344:                              ;   in Loop: Header=BB9_274 Depth=3
	v_mov_b32_e32 v36, v52
	v_mov_b32_e32 v4, v46
	s_and_saveexec_b64 s[56:57], s[24:25]
	s_cbranch_execz .LBB9_372
.LBB9_345:                              ;   in Loop: Header=BB9_274 Depth=3
	v_ashrrev_i32_e32 v0, 31, v2
	v_lshrrev_b32_e32 v0, 22, v0
	v_add_u32_e32 v0, v2, v0
	v_ashrrev_i32_e32 v39, 10, v0
	v_sub_u32_e32 v37, v39, v4
	v_ashrrev_i32_e32 v0, 31, v36
	v_cmp_lt_i32_e32 vcc, 0, v37
	v_lshrrev_b32_e32 v38, 26, v0
	s_and_saveexec_b64 s[58:59], vcc
	s_cbranch_execz .LBB9_349
; %bb.346:                              ;   in Loop: Header=BB9_274 Depth=3
	v_add_u32_e32 v0, v36, v38
	v_and_b32_e32 v0, 0x7fffffc0, v0
	v_sub_u32_e32 v0, v36, v0
	v_lshlrev_b32_e32 v0, 1, v0
	s_trap 2
	ds_read_b128 v[24:27], v0
	v_lshlrev_b32_e32 v14, 10, v4
	ds_read_b64 v[4:5], v0
	v_add3_u32 v28, v0, v11, v14
	v_ashrrev_i32_e32 v29, 31, v28
	v_accvgpr_write_b32 a24, v47
	v_accvgpr_write_b32 a3, v52
	s_waitcnt lgkmcnt(0)
	v_lshl_add_u64 v[4:5], v[4:5], 0, s[52:53]
	v_lshl_add_u64 v[14:15], v[24:25], 0, v[28:29]
	;; [unrolled: 1-line block ×4, first 2 shown]
	s_mov_b64 s[60:61], 0
.LBB9_347:                              ;   Parent Loop BB9_47 Depth=1
                                        ;     Parent Loop BB9_271 Depth=2
                                        ;       Parent Loop BB9_274 Depth=3
                                        ; =>      This Inner Loop Header: Depth=4
	flat_load_ushort v0, v[14:15] nt
	flat_load_ushort v45, v[14:15] offset:128 nt
	flat_load_ushort v46, v[14:15] offset:256 nt
	flat_load_ushort v58, v[14:15] offset:384 nt
	flat_load_ushort v59, v[14:15] offset:512 nt
	flat_load_ushort v60, v[14:15] offset:640 nt
	flat_load_ushort v61, v[14:15] offset:768 nt
	flat_load_ushort v44, v[14:15] offset:896 nt
	flat_load_ushort v6, v[18:19] nt
	flat_load_ushort v7, v[18:19] offset:128 nt
	flat_load_ushort v47, v[18:19] offset:256 nt
	;; [unrolled: 1-line block ×7, first 2 shown]
	v_add_co_u32_e32 v4, vcc, s84, v30
	v_sub_u32_e32 v37, v37, v34
	s_nop 0
	v_addc_co_u32_e32 v5, vcc, -1, v31, vcc
	v_add_co_u32_e32 v24, vcc, s85, v30
	v_cmp_gt_i32_e64 s[24:25], 1, v37
	s_nop 0
	v_addc_co_u32_e32 v25, vcc, -1, v31, vcc
	v_add_co_u32_e32 v26, vcc, s86, v30
	v_lshl_add_u64 v[14:15], v[14:15], 0, v[40:41]
	s_nop 0
	v_addc_co_u32_e32 v27, vcc, -1, v31, vcc
	v_add_co_u32_e32 v28, vcc, 0xfffffe00, v30
	v_lshl_add_u64 v[18:19], v[18:19], 0, v[40:41]
	s_nop 0
	v_addc_co_u32_e32 v29, vcc, -1, v31, vcc
	v_add_co_u32_e32 v48, vcc, 0xfffffe80, v30
	s_or_b64 s[60:61], s[24:25], s[60:61]
	s_nop 0
	v_addc_co_u32_e32 v49, vcc, -1, v31, vcc
	v_add_co_u32_e32 v50, vcc, 0xffffff00, v30
	s_waitcnt vmcnt(0) lgkmcnt(0)
	v_mul_f16_e32 v0, v0, v6
	v_addc_co_u32_e32 v51, vcc, -1, v31, vcc
	v_add_co_u32_e32 v56, vcc, 0xffffff80, v30
	v_mul_f16_e32 v6, v45, v7
	s_nop 0
	v_addc_co_u32_e32 v57, vcc, -1, v31, vcc
	v_mul_f16_e32 v7, v46, v47
	v_mul_f16_e32 v52, v58, v52
	;; [unrolled: 1-line block ×6, first 2 shown]
	flat_store_short v[4:5], v0 nt
	flat_store_short v[24:25], v6 nt
	flat_store_short v[26:27], v7 nt
	flat_store_short v[28:29], v52 nt
	flat_store_short v[48:49], v53 nt
	flat_store_short v[50:51], v16 nt
	flat_store_short v[56:57], v17 nt
	flat_store_short v[30:31], v1 nt
	v_lshl_add_u64 v[30:31], v[30:31], 0, v[40:41]
	s_andn2_b64 exec, exec, s[60:61]
	s_cbranch_execnz .LBB9_347
; %bb.348:                              ;   in Loop: Header=BB9_274 Depth=3
	s_or_b64 exec, exec, s[60:61]
	v_accvgpr_read_b32 v45, a13
	v_accvgpr_read_b32 v57, a17
	;; [unrolled: 1-line block ×19, first 2 shown]
	v_mov_b32_e32 v48, 1
	v_accvgpr_read_b32 v17, a43
	v_accvgpr_read_b32 v49, a44
.LBB9_349:                              ;   in Loop: Header=BB9_274 Depth=3
	s_or_b64 exec, exec, s[58:59]
	v_lshlrev_b32_e32 v4, 10, v39
	v_cmp_ne_u32_e32 vcc, v2, v4
	s_and_saveexec_b64 s[24:25], vcc
	s_cbranch_execz .LBB9_353
; %bb.350:                              ;   in Loop: Header=BB9_274 Depth=3
	v_add_u32_e32 v0, v36, v38
	v_and_b32_e32 v0, 0xffffffc0, v0
	v_sub_u32_e32 v0, v36, v0
	v_lshlrev_b32_e32 v1, 6, v37
	v_sub_u32_e32 v0, v0, v1
	v_ashrrev_i32_e32 v1, 31, v0
	v_lshrrev_b32_e32 v1, 26, v1
	v_add_u32_e32 v1, v0, v1
	v_and_b32_e32 v5, 0x7fffffc0, v1
	v_sub_u32_e32 v0, v0, v5
	v_lshlrev_b32_e32 v1, 1, v1
	v_and_b32_e32 v1, 0xffffff80, v1
	v_lshlrev_b32_e32 v0, 1, v0
	v_add3_u32 v4, v1, v0, v4
	v_sub_u32_e32 v2, v2, v4
	v_cmp_lt_i32_e32 vcc, 1, v2
	s_and_b64 exec, exec, vcc
	s_cbranch_execz .LBB9_353
; %bb.351:                              ;   in Loop: Header=BB9_274 Depth=3
	s_trap 2
	ds_read_b128 v[24:27], v0
	ds_read_b64 v[18:19], v0
	v_add_u32_e32 v28, v4, v11
	v_ashrrev_i32_e32 v29, 31, v28
	s_mov_b64 s[58:59], 0
	s_waitcnt lgkmcnt(0)
	v_lshl_add_u64 v[4:5], v[24:25], 0, v[28:29]
	v_lshl_add_u64 v[14:15], v[26:27], 0, v[28:29]
	;; [unrolled: 1-line block ×3, first 2 shown]
	v_accvgpr_read_b32 v28, a32
	v_accvgpr_read_b32 v29, a33
.LBB9_352:                              ;   Parent Loop BB9_47 Depth=1
                                        ;     Parent Loop BB9_271 Depth=2
                                        ;       Parent Loop BB9_274 Depth=3
                                        ; =>      This Inner Loop Header: Depth=4
	flat_load_ushort v0, v[4:5] nt
	flat_load_ushort v1, v[14:15] nt
	v_sub_u32_e32 v2, v2, v61
	v_cmp_gt_i32_e32 vcc, 2, v2
	v_lshl_add_u64 v[4:5], v[4:5], 0, v[42:43]
	v_lshl_add_u64 v[14:15], v[14:15], 0, v[42:43]
	s_or_b64 s[58:59], vcc, s[58:59]
	s_waitcnt vmcnt(0) lgkmcnt(0)
	v_mul_f16_e32 v0, v0, v1
	flat_store_short v[18:19], v0 nt
	v_lshl_add_u64 v[18:19], v[18:19], 0, v[42:43]
	s_andn2_b64 exec, exec, s[58:59]
	s_cbranch_execnz .LBB9_352
.LBB9_353:                              ;   in Loop: Header=BB9_274 Depth=3
	s_or_b64 exec, exec, s[24:25]
	s_or_b64 exec, exec, s[56:57]
	s_and_saveexec_b64 s[24:25], s[4:5]
	s_cbranch_execnz .LBB9_373
.LBB9_354:                              ;   in Loop: Header=BB9_274 Depth=3
	s_or_b64 exec, exec, s[24:25]
                                        ; implicit-def: $vgpr2
	s_and_saveexec_b64 s[24:25], s[20:21]
	s_xor_b64 s[56:57], exec, s[24:25]
	s_cbranch_execz .LBB9_391
.LBB9_355:                              ;   in Loop: Header=BB9_274 Depth=3
	v_and_b32_e32 v0, 16, v62
	v_cmp_lt_i32_e32 vcc, 0, v9
	v_cmp_ne_u32_e64 s[24:25], 0, v0
	v_and_b32_e32 v2, 16, v62
	s_and_b64 vcc, s[24:25], vcc
	s_and_saveexec_b64 s[24:25], vcc
	s_cbranch_execz .LBB9_357
; %bb.356:                              ;   in Loop: Header=BB9_274 Depth=3
	v_mov_b32_e32 v2, 1
	buffer_wbl2 sc1
	s_waitcnt vmcnt(0) lgkmcnt(0)
	buffer_inv sc1
.LBB9_357:                              ;   in Loop: Header=BB9_274 Depth=3
	s_or_b64 exec, exec, s[24:25]
	s_andn2_saveexec_b64 s[24:25], s[56:57]
	s_cbranch_execz .LBB9_410
	s_branch .LBB9_392
.LBB9_358:                              ;   in Loop: Header=BB9_274 Depth=3
	s_and_saveexec_b64 s[24:25], s[4:5]
	s_cbranch_execnz .LBB9_373
	s_branch .LBB9_354
.LBB9_359:                              ;   in Loop: Header=BB9_274 Depth=3
	v_ashrrev_i32_e32 v0, 31, v2
	v_lshrrev_b32_e32 v0, 21, v0
	v_add_u32_e32 v0, v2, v0
	v_ashrrev_i32_e32 v11, 11, v0
	v_sub_u32_e32 v30, v11, v46
	v_cmp_lt_i32_e32 vcc, 0, v30
	s_and_saveexec_b64 s[24:25], vcc
	s_cbranch_execz .LBB9_363
; %bb.360:                              ;   in Loop: Header=BB9_274 Depth=3
	s_trap 2
	ds_read_b128 v[36:39], v0
	ds_read_b64 v[18:19], v0
	v_accvgpr_read_b32 v0, a36
	v_accvgpr_read_b32 v1, a37
	s_mov_b64 s[56:57], 0
	s_waitcnt lgkmcnt(0)
	v_lshl_add_u64 v[4:5], v[36:37], 0, v[0:1]
	v_lshl_add_u64 v[14:15], v[38:39], 0, v[0:1]
	;; [unrolled: 1-line block ×3, first 2 shown]
.LBB9_361:                              ;   Parent Loop BB9_47 Depth=1
                                        ;     Parent Loop BB9_271 Depth=2
                                        ;       Parent Loop BB9_274 Depth=3
                                        ; =>      This Inner Loop Header: Depth=4
	global_load_dwordx4 v[36:39], v[14:15], off nt
	global_load_dwordx4 v[48:51], v[4:5], off nt
	global_load_dwordx4 v[56:59], v[4:5], off offset:1024 nt
	global_load_dwordx4 v[24:27], v[14:15], off offset:1024 nt
	v_sub_u32_e32 v30, v30, v34
	v_cmp_gt_i32_e32 vcc, 1, v30
	v_lshl_add_u64 v[4:5], v[4:5], 0, v[54:55]
	v_lshl_add_u64 v[14:15], v[14:15], 0, v[54:55]
	s_or_b64 s[56:57], vcc, s[56:57]
	s_waitcnt vmcnt(0)
	v_mul_f16_e32 v0, v48, v36
	v_mul_f16_sdwa v28, v48, v36 dst_sel:WORD_1 dst_unused:UNUSED_PAD src0_sel:WORD_1 src1_sel:WORD_1
	v_mul_f16_e32 v29, v49, v37
	v_mul_f16_sdwa v31, v49, v37 dst_sel:WORD_1 dst_unused:UNUSED_PAD src0_sel:WORD_1 src1_sel:WORD_1
	;; [unrolled: 2-line block ×8, first 2 shown]
	v_or_b32_e32 v25, v31, v29
	v_or_b32_e32 v24, v28, v0
	;; [unrolled: 1-line block ×8, first 2 shown]
	global_store_dwordx4 v[18:19], v[24:27], off nt
	global_store_dwordx4 v[18:19], v[36:39], off offset:1024 nt
	v_lshl_add_u64 v[18:19], v[18:19], 0, v[54:55]
	s_andn2_b64 exec, exec, s[56:57]
	s_cbranch_execnz .LBB9_361
; %bb.362:                              ;   in Loop: Header=BB9_274 Depth=3
	s_or_b64 exec, exec, s[56:57]
	v_accvgpr_read_b32 v45, a13
	v_accvgpr_read_b32 v57, a17
	v_accvgpr_read_b32 v59, a19
	v_accvgpr_read_b32 v51, a29
	v_accvgpr_read_b32 v28, a32
	v_accvgpr_read_b32 v44, a12
	v_accvgpr_read_b32 v56, a16
	v_accvgpr_read_b32 v58, a18
	v_accvgpr_read_b32 v53, a15
	v_accvgpr_read_b32 v50, a28
	v_accvgpr_read_b32 v46, a30
	v_accvgpr_read_b32 v29, a33
	v_mov_b32_e32 v48, 1
	v_accvgpr_read_b32 v49, a44
.LBB9_363:                              ;   in Loop: Header=BB9_274 Depth=3
	s_or_b64 exec, exec, s[24:25]
	v_lshlrev_b32_e32 v25, 11, v11
	v_cmp_ne_u32_e32 vcc, v2, v25
	s_mov_b64 s[24:25], 0
	v_mov_b32_e32 v11, 0
                                        ; implicit-def: $vgpr36
                                        ; implicit-def: $vgpr4
	s_and_saveexec_b64 s[56:57], vcc
	s_cbranch_execz .LBB9_371
; %bb.364:                              ;   in Loop: Header=BB9_274 Depth=3
	v_lshlrev_b32_e32 v4, 6, v30
	v_accvgpr_read_b32 v1, a31
	v_sub_u32_e32 v4, v1, v4
	v_ashrrev_i32_e32 v5, 31, v4
	v_lshrrev_b32_e32 v5, 26, v5
	v_add_u32_e32 v5, v4, v5
	v_sub_u32_e32 v0, v2, v25
	v_ashrrev_i32_e32 v14, 6, v5
	v_and_b32_e32 v5, 0xffffffc0, v5
	v_sub_u32_e32 v30, v4, v5
	v_ashrrev_i32_e32 v5, 31, v0
	v_lshrrev_b32_e32 v5, 22, v5
	v_add_u32_e32 v5, v0, v5
	v_and_b32_e32 v31, 0xfffffc00, v5
	v_lshlrev_b32_e32 v4, 4, v30
	v_sub_u32_e32 v38, v0, v31
	v_lshl_add_u32 v4, v14, 10, v4
	v_ashrrev_i32_e32 v15, 10, v5
	v_cmp_lt_i32_e32 vcc, 15, v38
	v_sub_u32_e32 v11, v0, v4
	s_nop 0
	v_addc_co_u32_e64 v0, s[24:25], 0, v15, vcc
	v_sub_u32_e32 v37, v0, v14
	v_cmp_lt_i32_e64 s[24:25], 15, v11
	s_and_saveexec_b64 s[58:59], s[24:25]
	s_cbranch_execz .LBB9_368
; %bb.365:                              ;   in Loop: Header=BB9_274 Depth=3
	s_trap 2
	ds_read_b128 v[26:29], v0
	ds_read_b64 v[18:19], v0
	v_add_u32_e32 v48, v4, v25
	v_ashrrev_i32_e32 v49, 31, v48
	s_mov_b64 s[60:61], 0
	s_waitcnt lgkmcnt(0)
	v_lshl_add_u64 v[4:5], v[26:27], 0, v[48:49]
	v_lshl_add_u64 v[14:15], v[28:29], 0, v[48:49]
	;; [unrolled: 1-line block ×3, first 2 shown]
.LBB9_366:                              ;   Parent Loop BB9_47 Depth=1
                                        ;     Parent Loop BB9_271 Depth=2
                                        ;       Parent Loop BB9_274 Depth=3
                                        ; =>      This Inner Loop Header: Depth=4
	global_load_dwordx4 v[26:29], v[4:5], off nt
	global_load_dwordx4 v[48:51], v[14:15], off nt
	v_sub_u32_e32 v11, v11, v47
	v_cmp_gt_i32_e64 s[24:25], 16, v11
	v_lshl_add_u64 v[4:5], v[4:5], 0, v[40:41]
	v_lshl_add_u64 v[14:15], v[14:15], 0, v[40:41]
	v_sub_u32_e32 v37, v37, v34
	s_or_b64 s[60:61], s[24:25], s[60:61]
	s_waitcnt vmcnt(0)
	v_mul_f16_e32 v0, v26, v48
	v_mul_f16_sdwa v24, v26, v48 dst_sel:WORD_1 dst_unused:UNUSED_PAD src0_sel:WORD_1 src1_sel:WORD_1
	v_mul_f16_e32 v26, v27, v49
	v_mul_f16_sdwa v27, v27, v49 dst_sel:WORD_1 dst_unused:UNUSED_PAD src0_sel:WORD_1 src1_sel:WORD_1
	;; [unrolled: 2-line block ×4, first 2 shown]
	v_or_b32_e32 v27, v27, v26
	v_or_b32_e32 v26, v24, v0
	;; [unrolled: 1-line block ×4, first 2 shown]
	global_store_dwordx4 v[18:19], v[26:29], off nt
	v_lshl_add_u64 v[18:19], v[18:19], 0, v[40:41]
	s_andn2_b64 exec, exec, s[60:61]
	s_cbranch_execnz .LBB9_366
; %bb.367:                              ;   in Loop: Header=BB9_274 Depth=3
	s_or_b64 exec, exec, s[60:61]
	v_accvgpr_read_b32 v51, a29
	v_accvgpr_read_b32 v28, a32
	;; [unrolled: 1-line block ×4, first 2 shown]
	v_mov_b32_e32 v48, 1
	v_accvgpr_read_b32 v49, a44
.LBB9_368:                              ;   in Loop: Header=BB9_274 Depth=3
	s_or_b64 exec, exec, s[58:59]
	v_and_b32_e32 v5, 14, v2
	v_cndmask_b32_e32 v2, v38, v5, vcc
	v_cmp_ne_u32_e64 s[24:25], 0, v2
	s_mov_b64 s[58:59], 0
	v_mov_b32_e32 v11, 0
                                        ; implicit-def: $vgpr36
                                        ; implicit-def: $vgpr4
	s_and_saveexec_b64 s[60:61], s[24:25]
	s_cbranch_execz .LBB9_370
; %bb.369:                              ;   in Loop: Header=BB9_274 Depth=3
	v_sub_u32_e32 v0, v38, v5
	v_cndmask_b32_e32 v0, 0, v0, vcc
	v_cmp_lt_i32_e32 vcc, 0, v37
	v_add3_u32 v11, v31, v25, v0
	s_mov_b64 s[58:59], exec
	v_cndmask_b32_e32 v0, 0, v34, vcc
	v_sub_u32_e32 v0, v0, v37
	v_lshl_add_u32 v36, v0, 6, v30
	v_ashrrev_i32_e32 v0, 31, v36
	v_lshrrev_b32_e32 v0, 26, v0
	v_add_u32_e32 v0, v36, v0
	v_ashrrev_i32_e32 v4, 6, v0
.LBB9_370:                              ;   in Loop: Header=BB9_274 Depth=3
	s_or_b64 exec, exec, s[60:61]
	s_and_b64 s[24:25], s[58:59], exec
.LBB9_371:                              ;   in Loop: Header=BB9_274 Depth=3
	s_or_b64 exec, exec, s[56:57]
	s_and_saveexec_b64 s[56:57], s[24:25]
	s_cbranch_execnz .LBB9_345
.LBB9_372:                              ;   in Loop: Header=BB9_274 Depth=3
	s_or_b64 exec, exec, s[56:57]
	s_and_saveexec_b64 s[24:25], s[4:5]
	s_cbranch_execz .LBB9_354
.LBB9_373:                              ;   in Loop: Header=BB9_274 Depth=3
	s_and_saveexec_b64 vcc, s[38:39]
	s_xor_b64 s[56:57], exec, vcc
	s_cbranch_execz .LBB9_388
; %bb.374:                              ;   in Loop: Header=BB9_274 Depth=3
	s_and_saveexec_b64 s[58:59], s[12:13]
	s_cbranch_execz .LBB9_387
; %bb.375:                              ;   in Loop: Header=BB9_274 Depth=3
	s_mov_b64 s[62:63], exec
	v_mbcnt_lo_u32_b32 v0, s62, 0
	v_mbcnt_hi_u32_b32 v0, s63, v0
	v_cmp_eq_u32_e32 vcc, 0, v0
	s_waitcnt lgkmcnt(0)
	s_and_saveexec_b64 s[60:61], vcc
	s_cbranch_execz .LBB9_377
; %bb.376:                              ;   in Loop: Header=BB9_274 Depth=3
	s_bcnt1_i32_b64 vcc_lo, s[62:63]
	v_mov_b32_e32 v2, vcc_lo
	ds_add_u64 v0, v[2:3]
	s_trap 2
.LBB9_377:                              ;   in Loop: Header=BB9_274 Depth=3
	s_or_b64 exec, exec, s[60:61]
	s_trap 2
	ds_read_b64 v[4:5], v0
	v_lshl_add_u64 v[12:13], v[12:13], 0, v[34:35]
	s_waitcnt lgkmcnt(0)
	v_cmp_lt_u64_e32 vcc, v[4:5], v[12:13]
	s_and_saveexec_b64 s[60:61], vcc
	s_cbranch_execz .LBB9_386
; %bb.378:                              ;   in Loop: Header=BB9_274 Depth=3
	s_mov_b32 s89, 0
	s_mov_b64 s[62:63], 0
                                        ; implicit-def: $sgpr64_sgpr65
                                        ; implicit-def: $sgpr66_sgpr67
	s_branch .LBB9_380
.LBB9_379:                              ;   in Loop: Header=BB9_380 Depth=4
	s_or_b64 exec, exec, s[70:71]
	s_and_b64 vcc, exec, vcc
	s_or_b64 s[62:63], vcc, s[62:63]
	s_andn2_b64 vcc, s[64:65], exec
	s_and_b64 s[64:65], s[66:67], exec
	s_or_b64 s[64:65], vcc, s[64:65]
	s_andn2_b64 exec, exec, s[62:63]
	s_cbranch_execz .LBB9_384
.LBB9_380:                              ;   Parent Loop BB9_47 Depth=1
                                        ;     Parent Loop BB9_271 Depth=2
                                        ;       Parent Loop BB9_274 Depth=3
                                        ; =>      This Inner Loop Header: Depth=4
	s_add_i32 s89, s89, 1
	s_cmpk_lg_i32 s89, 0x2710
	s_cselect_b64 s[68:69], -1, 0
	s_and_b64 vcc, exec, s[68:69]
                                        ; implicit-def: $sgpr70_sgpr71
	s_cbranch_vccnz .LBB9_382
; %bb.381:                              ;   in Loop: Header=BB9_380 Depth=4
	s_trap 2
	ds_read_b64 v[4:5], v0
	s_andn2_b64 s[68:69], s[68:69], exec
	s_mov_b32 s89, 0
	s_mov_b64 s[70:71], -1
	s_waitcnt vmcnt(0) lgkmcnt(0)
	flat_load_dword v0, v[4:5] sc0 sc1
	s_waitcnt vmcnt(0) lgkmcnt(0)
	buffer_inv sc0 sc1
	v_cmp_eq_u32_e32 vcc, 0, v0
	s_and_b64 vcc, vcc, exec
	s_or_b64 s[68:69], s[68:69], vcc
.LBB9_382:                              ;   in Loop: Header=BB9_380 Depth=4
	s_andn2_b64 s[66:67], s[66:67], exec
	s_and_b64 s[70:71], s[70:71], exec
	s_mov_b64 vcc, -1
	s_or_b64 s[66:67], s[66:67], s[70:71]
	s_and_saveexec_b64 s[70:71], s[68:69]
	s_cbranch_execz .LBB9_379
; %bb.383:                              ;   in Loop: Header=BB9_380 Depth=4
	s_sleep 1
	s_trap 2
	ds_read_b64 v[4:5], v0
	s_andn2_b64 s[66:67], s[66:67], exec
	s_waitcnt lgkmcnt(0)
	v_cmp_ge_u64_e32 vcc, v[4:5], v[12:13]
	s_orn2_b64 vcc, vcc, exec
	s_branch .LBB9_379
.LBB9_384:                              ;   in Loop: Header=BB9_274 Depth=3
	s_or_b64 exec, exec, s[62:63]
	s_and_saveexec_b64 vcc, s[64:65]
	s_xor_b64 vcc, exec, vcc
	s_cbranch_execz .LBB9_386
; %bb.385:                              ;   in Loop: Header=BB9_274 Depth=3
	ds_write_b32 v0, v48
	s_trap 2
.LBB9_386:                              ;   in Loop: Header=BB9_274 Depth=3
	s_or_b64 exec, exec, s[60:61]
	;;#ASMSTART
	s_wakeup
	;;#ASMEND
.LBB9_387:                              ;   in Loop: Header=BB9_274 Depth=3
	s_or_b64 exec, exec, s[58:59]
.LBB9_388:                              ;   in Loop: Header=BB9_274 Depth=3
	s_andn2_saveexec_b64 vcc, s[56:57]
	s_cbranch_execz .LBB9_390
; %bb.389:                              ;   in Loop: Header=BB9_274 Depth=3
	s_waitcnt lgkmcnt(0)
	s_barrier
.LBB9_390:                              ;   in Loop: Header=BB9_274 Depth=3
	s_or_b64 exec, exec, vcc
	s_or_b64 exec, exec, s[24:25]
                                        ; implicit-def: $vgpr2
	s_and_saveexec_b64 s[24:25], s[20:21]
	s_xor_b64 s[56:57], exec, s[24:25]
	s_cbranch_execnz .LBB9_355
.LBB9_391:                              ;   in Loop: Header=BB9_274 Depth=3
	s_andn2_saveexec_b64 s[24:25], s[56:57]
	s_cbranch_execz .LBB9_410
.LBB9_392:                              ;   in Loop: Header=BB9_274 Depth=3
	s_and_saveexec_b64 vcc, s[38:39]
	s_xor_b64 s[56:57], exec, vcc
	s_cbranch_execz .LBB9_407
; %bb.393:                              ;   in Loop: Header=BB9_274 Depth=3
	s_and_saveexec_b64 s[58:59], s[12:13]
	s_cbranch_execz .LBB9_406
; %bb.394:                              ;   in Loop: Header=BB9_274 Depth=3
	s_mov_b64 s[62:63], exec
	v_mbcnt_lo_u32_b32 v0, s62, 0
	v_mbcnt_hi_u32_b32 v0, s63, v0
	v_cmp_eq_u32_e32 vcc, 0, v0
	;;#ASMSTART
	s_waitcnt lgkmcnt(0) vmcnt(0)
	;;#ASMEND
	s_and_saveexec_b64 s[60:61], vcc
	s_cbranch_execz .LBB9_396
; %bb.395:                              ;   in Loop: Header=BB9_274 Depth=3
	s_bcnt1_i32_b64 vcc_lo, s[62:63]
	v_mov_b32_e32 v2, vcc_lo
	ds_add_u64 v0, v[2:3]
	s_trap 2
.LBB9_396:                              ;   in Loop: Header=BB9_274 Depth=3
	s_or_b64 exec, exec, s[60:61]
	s_trap 2
	ds_read_b64 v[4:5], v0
	v_lshl_add_u64 v[12:13], v[12:13], 0, v[34:35]
	s_waitcnt lgkmcnt(0)
	v_cmp_lt_u64_e32 vcc, v[4:5], v[12:13]
	s_and_saveexec_b64 s[60:61], vcc
	s_cbranch_execz .LBB9_405
; %bb.397:                              ;   in Loop: Header=BB9_274 Depth=3
	s_mov_b32 s89, 0
	s_mov_b64 s[62:63], 0
                                        ; implicit-def: $sgpr64_sgpr65
                                        ; implicit-def: $sgpr66_sgpr67
	s_branch .LBB9_399
.LBB9_398:                              ;   in Loop: Header=BB9_399 Depth=4
	s_or_b64 exec, exec, s[70:71]
	s_and_b64 vcc, exec, vcc
	s_or_b64 s[62:63], vcc, s[62:63]
	s_andn2_b64 vcc, s[64:65], exec
	s_and_b64 s[64:65], s[66:67], exec
	s_or_b64 s[64:65], vcc, s[64:65]
	s_andn2_b64 exec, exec, s[62:63]
	s_cbranch_execz .LBB9_403
.LBB9_399:                              ;   Parent Loop BB9_47 Depth=1
                                        ;     Parent Loop BB9_271 Depth=2
                                        ;       Parent Loop BB9_274 Depth=3
                                        ; =>      This Inner Loop Header: Depth=4
	s_add_i32 s89, s89, 1
	s_cmpk_lg_i32 s89, 0x2710
	s_cselect_b64 s[68:69], -1, 0
	s_and_b64 vcc, exec, s[68:69]
                                        ; implicit-def: $sgpr70_sgpr71
	s_cbranch_vccnz .LBB9_401
; %bb.400:                              ;   in Loop: Header=BB9_399 Depth=4
	s_trap 2
	ds_read_b64 v[4:5], v0
	s_andn2_b64 s[68:69], s[68:69], exec
	s_mov_b32 s89, 0
	s_mov_b64 s[70:71], -1
	s_waitcnt vmcnt(0) lgkmcnt(0)
	flat_load_dword v0, v[4:5] sc0 sc1
	s_waitcnt vmcnt(0) lgkmcnt(0)
	buffer_inv sc0 sc1
	v_cmp_eq_u32_e32 vcc, 0, v0
	s_and_b64 vcc, vcc, exec
	s_or_b64 s[68:69], s[68:69], vcc
.LBB9_401:                              ;   in Loop: Header=BB9_399 Depth=4
	s_andn2_b64 s[66:67], s[66:67], exec
	s_and_b64 s[70:71], s[70:71], exec
	s_mov_b64 vcc, -1
	s_or_b64 s[66:67], s[66:67], s[70:71]
	s_and_saveexec_b64 s[70:71], s[68:69]
	s_cbranch_execz .LBB9_398
; %bb.402:                              ;   in Loop: Header=BB9_399 Depth=4
	s_sleep 1
	s_trap 2
	ds_read_b64 v[4:5], v0
	s_andn2_b64 s[66:67], s[66:67], exec
	s_waitcnt lgkmcnt(0)
	v_cmp_ge_u64_e32 vcc, v[4:5], v[12:13]
	s_orn2_b64 vcc, vcc, exec
	s_branch .LBB9_398
.LBB9_403:                              ;   in Loop: Header=BB9_274 Depth=3
	s_or_b64 exec, exec, s[62:63]
	s_and_saveexec_b64 vcc, s[64:65]
	s_xor_b64 vcc, exec, vcc
	s_cbranch_execz .LBB9_405
; %bb.404:                              ;   in Loop: Header=BB9_274 Depth=3
	ds_write_b32 v0, v48
	s_trap 2
.LBB9_405:                              ;   in Loop: Header=BB9_274 Depth=3
	s_or_b64 exec, exec, s[60:61]
	;;#ASMSTART
	s_wakeup
	;;#ASMEND
.LBB9_406:                              ;   in Loop: Header=BB9_274 Depth=3
	s_or_b64 exec, exec, s[58:59]
.LBB9_407:                              ;   in Loop: Header=BB9_274 Depth=3
	s_andn2_saveexec_b64 vcc, s[56:57]
	s_cbranch_execz .LBB9_409
; %bb.408:                              ;   in Loop: Header=BB9_274 Depth=3
	;;#ASMSTART
	s_waitcnt lgkmcnt(0) vmcnt(0)
	;;#ASMEND
	s_barrier
.LBB9_409:                              ;   in Loop: Header=BB9_274 Depth=3
	s_or_b64 exec, exec, vcc
	v_and_b32_e32 v2, 16, v62
.LBB9_410:                              ;   in Loop: Header=BB9_274 Depth=3
	s_or_b64 exec, exec, s[24:25]
	v_cmp_ne_u32_e32 vcc, 0, v2
	s_xor_b64 s[24:25], s[6:7], -1
	s_and_b64 vcc, vcc, s[24:25]
	s_and_saveexec_b64 s[24:25], vcc
	s_cbranch_execz .LBB9_412
; %bb.411:                              ;   in Loop: Header=BB9_274 Depth=3
	flat_store_dword v[58:59], v48 sc0 sc1
.LBB9_412:                              ;   in Loop: Header=BB9_274 Depth=3
	s_or_b64 exec, exec, s[24:25]
	v_and_b32_e32 v0, 48, v62
	v_cmp_ne_u32_e32 vcc, 0, v0
	s_and_saveexec_b64 s[24:25], vcc
	s_cbranch_execz .LBB9_273
; %bb.413:                              ;   in Loop: Header=BB9_274 Depth=3
	v_lshl_add_u64 v[20:21], v[20:21], 0, 2
	flat_store_dwordx2 v[22:23], v[20:21] sc0 sc1
	s_branch .LBB9_273
.LBB9_414:                              ;   in Loop: Header=BB9_271 Depth=2
	s_or_b64 exec, exec, s[28:29]
.LBB9_415:                              ;   in Loop: Header=BB9_271 Depth=2
	s_or_b64 exec, exec, s[26:27]
	v_cmp_gt_i32_e32 vcc, 2, v2
	s_and_saveexec_b64 s[26:27], vcc
	s_cbranch_execz .LBB9_270
; %bb.416:                              ;   in Loop: Header=BB9_271 Depth=2
	v_cmp_eq_u32_e64 s[24:25], 0, v2
	s_mov_b64 s[28:29], 0
	s_branch .LBB9_418
.LBB9_417:                              ;   in Loop: Header=BB9_418 Depth=3
	s_or_b64 exec, exec, s[24:25]
	v_add_u32_e32 v10, v8, v10
	s_mov_b64 s[24:25], 0
	s_andn2_b64 exec, exec, s[28:29]
	s_cbranch_execz .LBB9_269
.LBB9_418:                              ;   Parent Loop BB9_47 Depth=1
                                        ;     Parent Loop BB9_271 Depth=2
                                        ; =>    This Loop Header: Depth=3
                                        ;         Child Loop BB9_424 Depth 4
                                        ;         Child Loop BB9_462 Depth 4
	;; [unrolled: 1-line block ×3, first 2 shown]
	v_and_b32_e32 v0, 12, v62
	s_mov_b64 s[56:57], -1
	v_cmp_ne_u32_e32 vcc, 0, v0
	s_and_saveexec_b64 s[54:55], vcc
	s_cbranch_execz .LBB9_430
; %bb.419:                              ;   in Loop: Header=BB9_418 Depth=3
	v_and_b32_e32 v2, 8, v62
	v_lshl_add_u64 v[14:15], v[32:33], 0, v[2:3]
	v_lshl_add_u64 v[4:5], v[20:21], 0, 2
	v_cmp_lt_u64_e32 vcc, v[14:15], v[4:5]
	v_mov_b32_e32 v9, 1
	s_and_saveexec_b64 s[56:57], vcc
	s_cbranch_execz .LBB9_429
; %bb.420:                              ;   in Loop: Header=BB9_418 Depth=3
	s_mov_b64 s[58:59], 0
	v_mov_b32_e32 v9, 0
                                        ; implicit-def: $sgpr60_sgpr61
	s_branch .LBB9_424
.LBB9_421:                              ;   in Loop: Header=BB9_424 Depth=4
	s_or_b64 exec, exec, s[68:69]
	v_mov_b32_e32 v11, 0
	s_orn2_b64 s[66:67], s[66:67], exec
.LBB9_422:                              ;   in Loop: Header=BB9_424 Depth=4
	s_or_b64 exec, exec, s[64:65]
	s_andn2_b64 vcc, s[60:61], exec
	s_and_b64 s[60:61], s[66:67], exec
	s_or_b64 s[60:61], vcc, s[60:61]
	v_mov_b32_e32 v9, v11
.LBB9_423:                              ;   in Loop: Header=BB9_424 Depth=4
	s_or_b64 exec, exec, s[62:63]
	s_waitcnt vmcnt(0) lgkmcnt(0)
	v_lshl_add_u64 v[14:15], v[32:33], 0, v[2:3]
	v_cmp_ge_u64_e32 vcc, v[14:15], v[4:5]
	s_xor_b64 s[62:63], s[60:61], -1
	s_or_b64 vcc, s[62:63], vcc
	s_and_b64 vcc, exec, vcc
	s_or_b64 s[58:59], vcc, s[58:59]
	s_andn2_b64 exec, exec, s[58:59]
	s_cbranch_execz .LBB9_428
.LBB9_424:                              ;   Parent Loop BB9_47 Depth=1
                                        ;     Parent Loop BB9_271 Depth=2
                                        ;       Parent Loop BB9_418 Depth=3
                                        ; =>      This Inner Loop Header: Depth=4
	s_sleep 1
	flat_load_dwordx2 v[32:33], v[22:23] sc0 sc1
	v_and_b32_e32 v0, 64, v62
	v_cmp_eq_u32_e32 vcc, 0, v0
	s_andn2_b64 s[60:61], s[60:61], exec
	s_and_saveexec_b64 s[62:63], vcc
	s_cbranch_execz .LBB9_423
; %bb.425:                              ;   in Loop: Header=BB9_424 Depth=4
	v_add_u32_e32 v11, 1, v9
	v_cmp_lt_i32_e32 vcc, s82, v9
	s_mov_b64 s[66:67], -1
	s_and_saveexec_b64 s[64:65], vcc
	s_cbranch_execz .LBB9_422
; %bb.426:                              ;   in Loop: Header=BB9_424 Depth=4
	s_trap 2
	ds_read_b64 v[14:15], v0
	s_waitcnt vmcnt(0) lgkmcnt(0)
	flat_load_dword v9, v[14:15] sc0 sc1
	s_waitcnt vmcnt(0) lgkmcnt(0)
	buffer_inv sc0 sc1
	v_cmp_ne_u32_e32 vcc, 0, v9
	s_and_saveexec_b64 s[68:69], vcc
	s_cbranch_execz .LBB9_421
; %bb.427:                              ;   in Loop: Header=BB9_424 Depth=4
	v_or_b32_e32 v62, 64, v62
	s_xor_b64 s[66:67], exec, -1
	ds_write_b32 v0, v9
	s_trap 2
	s_branch .LBB9_421
.LBB9_428:                              ;   in Loop: Header=BB9_418 Depth=3
	s_or_b64 exec, exec, s[58:59]
	v_and_b32_e32 v9, 12, v62
.LBB9_429:                              ;   in Loop: Header=BB9_418 Depth=3
	s_or_b64 exec, exec, s[56:57]
	v_cmp_eq_u32_e32 vcc, 0, v9
	s_orn2_b64 s[56:57], vcc, exec
	;;#ASMSTART
	s_wakeup
	;;#ASMEND
.LBB9_430:                              ;   in Loop: Header=BB9_418 Depth=3
	s_or_b64 exec, exec, s[54:55]
	s_xor_b64 s[24:25], s[24:25], -1
	s_and_b64 s[24:25], exec, s[24:25]
	s_or_b64 s[28:29], s[24:25], s[28:29]
	v_sub_u32_e32 v0, v49, v10
	s_xor_b64 s[24:25], s[56:57], -1
	v_min_i32_e32 v8, v8, v0
	s_and_saveexec_b64 s[54:55], s[24:25]
	s_cbranch_execz .LBB9_454
; %bb.431:                              ;   in Loop: Header=BB9_418 Depth=3
	v_and_b32_e32 v0, 0x108, v62
	v_cmp_ne_u32_e32 vcc, s83, v0
	v_and_b32_e32 v2, 7, v20
	s_and_saveexec_b64 s[24:25], vcc
	s_xor_b64 s[24:25], exec, s[24:25]
	s_andn2_saveexec_b64 s[24:25], s[24:25]
	s_cbranch_execz .LBB9_433
; %bb.432:                              ;   in Loop: Header=BB9_418 Depth=3
	v_ashrrev_i32_e32 v9, 31, v8
	v_mad_u64_u32 v[4:5], vcc, v2, 24, v[44:45]
	v_lshlrev_b64 v[14:15], 1, v[8:9]
	flat_store_dwordx2 v[4:5], v[14:15] offset:8
.LBB9_433:                              ;   in Loop: Header=BB9_418 Depth=3
	s_or_b64 exec, exec, s[24:25]
	v_and_b32_e32 v0, 0x100, v62
	v_cmp_ne_u32_e32 vcc, 0, v0
	s_mov_b64 s[24:25], -1
                                        ; implicit-def: $vgpr4_vgpr5
	s_and_saveexec_b64 s[56:57], vcc
	s_cbranch_execz .LBB9_437
; %bb.434:                              ;   in Loop: Header=BB9_418 Depth=3
	v_mad_u64_u32 v[14:15], s[24:25], v2, 24, v[44:45]
	v_mov_b32_e32 v4, v15
	v_mad_u64_u32 v[4:5], s[24:25], v3, 24, v[4:5]
	v_mov_b32_e32 v15, v4
	flat_load_dword v0, v[14:15]
                                        ; implicit-def: $vgpr4_vgpr5
	s_waitcnt vmcnt(0) lgkmcnt(0)
	v_cmp_ne_u32_e32 vcc, 1, v0
	v_cmp_eq_u32_e64 s[24:25], 1, v0
	s_and_saveexec_b64 s[58:59], s[24:25]
	s_cbranch_execz .LBB9_436
; %bb.435:                              ;   in Loop: Header=BB9_418 Depth=3
	flat_load_dword v4, v[14:15] offset:4 sc0 sc1
	s_waitcnt vmcnt(0) lgkmcnt(0)
	v_ashrrev_i32_e32 v5, 31, v4
	v_lshrrev_b64 v[4:5], 1, v[4:5]
.LBB9_436:                              ;   in Loop: Header=BB9_418 Depth=3
	s_or_b64 exec, exec, s[58:59]
	s_orn2_b64 s[24:25], vcc, exec
.LBB9_437:                              ;   in Loop: Header=BB9_418 Depth=3
	s_or_b64 exec, exec, s[56:57]
	s_and_saveexec_b64 vcc, s[24:25]
; %bb.438:                              ;   in Loop: Header=BB9_418 Depth=3
	v_mul_lo_u32 v0, v3, v60
	v_mul_lo_u32 v1, v2, v53
	v_mad_u64_u32 v[4:5], s[24:25], v2, v60, 0
	v_add3_u32 v5, v5, v1, v0
; %bb.439:                              ;   in Loop: Header=BB9_418 Depth=3
	s_or_b64 exec, exec, vcc
	v_lshl_add_u64 v[4:5], v[4:5], 1, v[56:57]
	s_trap 2
	ds_write_b64 v0, v[4:5]
	v_and_b32_e32 v0, 0x2000, v62
	v_cmp_ne_u32_e32 vcc, 0, v0
	s_and_saveexec_b64 s[24:25], vcc
	s_cbranch_execz .LBB9_441
; %bb.440:                              ;   in Loop: Header=BB9_418 Depth=3
	ds_read_b64 v[4:5], v0 offset:584
	s_waitcnt lgkmcnt(0)
	v_lshl_add_u64 v[4:5], v[4:5], 0, 1
	ds_write_b64 v0, v[4:5] offset:584
.LBB9_441:                              ;   in Loop: Header=BB9_418 Depth=3
	s_or_b64 exec, exec, s[24:25]
	v_lshl_add_u64 v[20:21], v[20:21], 0, 2
	s_or_b64 exec, exec, s[54:55]
	s_and_saveexec_b64 s[24:25], s[4:5]
	s_cbranch_execnz .LBB9_455
.LBB9_442:                              ;   in Loop: Header=BB9_418 Depth=3
	s_or_b64 exec, exec, s[24:25]
                                        ; implicit-def: $vgpr2
	s_and_saveexec_b64 s[24:25], s[48:49]
	s_xor_b64 s[24:25], exec, s[24:25]
	s_cbranch_execz .LBB9_480
.LBB9_443:                              ;   in Loop: Header=BB9_418 Depth=3
	s_and_saveexec_b64 vcc, s[38:39]
	s_xor_b64 s[54:55], exec, vcc
	s_cbranch_execz .LBB9_470
; %bb.444:                              ;   in Loop: Header=BB9_418 Depth=3
	s_and_saveexec_b64 s[56:57], s[12:13]
	s_cbranch_execz .LBB9_469
; %bb.445:                              ;   in Loop: Header=BB9_418 Depth=3
	s_mov_b64 s[60:61], exec
	v_mbcnt_lo_u32_b32 v0, s60, 0
	v_mbcnt_hi_u32_b32 v0, s61, v0
	v_cmp_eq_u32_e32 vcc, 0, v0
	;;#ASMSTART
	s_waitcnt lgkmcnt(0) vmcnt(0)
	;;#ASMEND
	s_and_saveexec_b64 s[58:59], vcc
	s_cbranch_execz .LBB9_447
; %bb.446:                              ;   in Loop: Header=BB9_418 Depth=3
	s_bcnt1_i32_b64 vcc_lo, s[60:61]
	v_mov_b32_e32 v2, vcc_lo
	ds_add_u64 v0, v[2:3]
	s_trap 2
.LBB9_447:                              ;   in Loop: Header=BB9_418 Depth=3
	s_or_b64 exec, exec, s[58:59]
	s_trap 2
	ds_read_b64 v[4:5], v0
	v_lshl_add_u64 v[12:13], v[12:13], 0, v[34:35]
	s_waitcnt lgkmcnt(0)
	v_cmp_lt_u64_e32 vcc, v[4:5], v[12:13]
	s_and_saveexec_b64 s[58:59], vcc
	s_cbranch_execz .LBB9_468
; %bb.448:                              ;   in Loop: Header=BB9_418 Depth=3
	s_mov_b32 s70, 0
	s_mov_b64 s[60:61], 0
                                        ; implicit-def: $sgpr62_sgpr63
                                        ; implicit-def: $sgpr64_sgpr65
	s_branch .LBB9_450
.LBB9_449:                              ;   in Loop: Header=BB9_450 Depth=4
	s_or_b64 exec, exec, s[68:69]
	s_and_b64 vcc, exec, vcc
	s_or_b64 s[60:61], vcc, s[60:61]
	s_andn2_b64 vcc, s[62:63], exec
	s_and_b64 s[62:63], s[64:65], exec
	s_or_b64 s[62:63], vcc, s[62:63]
	s_andn2_b64 exec, exec, s[60:61]
	s_cbranch_execz .LBB9_466
.LBB9_450:                              ;   Parent Loop BB9_47 Depth=1
                                        ;     Parent Loop BB9_271 Depth=2
                                        ;       Parent Loop BB9_418 Depth=3
                                        ; =>      This Inner Loop Header: Depth=4
	s_add_i32 s70, s70, 1
	s_cmpk_lg_i32 s70, 0x2710
	s_cselect_b64 s[66:67], -1, 0
	s_and_b64 vcc, exec, s[66:67]
                                        ; implicit-def: $sgpr68_sgpr69
	s_cbranch_vccnz .LBB9_452
; %bb.451:                              ;   in Loop: Header=BB9_450 Depth=4
	s_trap 2
	ds_read_b64 v[4:5], v0
	s_andn2_b64 s[66:67], s[66:67], exec
	s_mov_b32 s70, 0
	s_mov_b64 s[68:69], -1
	s_waitcnt vmcnt(0) lgkmcnt(0)
	flat_load_dword v0, v[4:5] sc0 sc1
	s_waitcnt vmcnt(0) lgkmcnt(0)
	buffer_inv sc0 sc1
	v_cmp_eq_u32_e32 vcc, 0, v0
	s_and_b64 vcc, vcc, exec
	s_or_b64 s[66:67], s[66:67], vcc
.LBB9_452:                              ;   in Loop: Header=BB9_450 Depth=4
	s_andn2_b64 s[64:65], s[64:65], exec
	s_and_b64 s[68:69], s[68:69], exec
	s_mov_b64 vcc, -1
	s_or_b64 s[64:65], s[64:65], s[68:69]
	s_and_saveexec_b64 s[68:69], s[66:67]
	s_cbranch_execz .LBB9_449
; %bb.453:                              ;   in Loop: Header=BB9_450 Depth=4
	s_sleep 1
	s_trap 2
	ds_read_b64 v[4:5], v0
	s_andn2_b64 s[64:65], s[64:65], exec
	s_waitcnt lgkmcnt(0)
	v_cmp_ge_u64_e32 vcc, v[4:5], v[12:13]
	s_orn2_b64 vcc, vcc, exec
	s_branch .LBB9_449
.LBB9_454:                              ;   in Loop: Header=BB9_418 Depth=3
	s_or_b64 exec, exec, s[54:55]
	s_and_saveexec_b64 s[24:25], s[4:5]
	s_cbranch_execz .LBB9_442
.LBB9_455:                              ;   in Loop: Header=BB9_418 Depth=3
	s_and_saveexec_b64 vcc, s[38:39]
	s_xor_b64 s[54:55], exec, vcc
	s_cbranch_execz .LBB9_477
; %bb.456:                              ;   in Loop: Header=BB9_418 Depth=3
	s_and_saveexec_b64 s[56:57], s[12:13]
	s_cbranch_execz .LBB9_476
; %bb.457:                              ;   in Loop: Header=BB9_418 Depth=3
	s_mov_b64 s[60:61], exec
	v_mbcnt_lo_u32_b32 v0, s60, 0
	v_mbcnt_hi_u32_b32 v0, s61, v0
	v_cmp_eq_u32_e32 vcc, 0, v0
	s_waitcnt lgkmcnt(0)
	s_and_saveexec_b64 s[58:59], vcc
	s_cbranch_execz .LBB9_459
; %bb.458:                              ;   in Loop: Header=BB9_418 Depth=3
	s_bcnt1_i32_b64 vcc_lo, s[60:61]
	v_mov_b32_e32 v2, vcc_lo
	ds_add_u64 v0, v[2:3]
	s_trap 2
.LBB9_459:                              ;   in Loop: Header=BB9_418 Depth=3
	s_or_b64 exec, exec, s[58:59]
	s_trap 2
	ds_read_b64 v[4:5], v0
	v_lshl_add_u64 v[12:13], v[12:13], 0, v[34:35]
	s_waitcnt lgkmcnt(0)
	v_cmp_lt_u64_e32 vcc, v[4:5], v[12:13]
	s_and_saveexec_b64 s[58:59], vcc
	s_cbranch_execz .LBB9_475
; %bb.460:                              ;   in Loop: Header=BB9_418 Depth=3
	s_mov_b32 s70, 0
	s_mov_b64 s[60:61], 0
                                        ; implicit-def: $sgpr62_sgpr63
                                        ; implicit-def: $sgpr64_sgpr65
	s_branch .LBB9_462
.LBB9_461:                              ;   in Loop: Header=BB9_462 Depth=4
	s_or_b64 exec, exec, s[68:69]
	s_and_b64 vcc, exec, vcc
	s_or_b64 s[60:61], vcc, s[60:61]
	s_andn2_b64 vcc, s[62:63], exec
	s_and_b64 s[62:63], s[64:65], exec
	s_or_b64 s[62:63], vcc, s[62:63]
	s_andn2_b64 exec, exec, s[60:61]
	s_cbranch_execz .LBB9_473
.LBB9_462:                              ;   Parent Loop BB9_47 Depth=1
                                        ;     Parent Loop BB9_271 Depth=2
                                        ;       Parent Loop BB9_418 Depth=3
                                        ; =>      This Inner Loop Header: Depth=4
	s_add_i32 s70, s70, 1
	s_cmpk_lg_i32 s70, 0x2710
	s_cselect_b64 s[66:67], -1, 0
	s_and_b64 vcc, exec, s[66:67]
                                        ; implicit-def: $sgpr68_sgpr69
	s_cbranch_vccnz .LBB9_464
; %bb.463:                              ;   in Loop: Header=BB9_462 Depth=4
	s_trap 2
	ds_read_b64 v[4:5], v0
	s_andn2_b64 s[66:67], s[66:67], exec
	s_mov_b32 s70, 0
	s_mov_b64 s[68:69], -1
	s_waitcnt vmcnt(0) lgkmcnt(0)
	flat_load_dword v0, v[4:5] sc0 sc1
	s_waitcnt vmcnt(0) lgkmcnt(0)
	buffer_inv sc0 sc1
	v_cmp_eq_u32_e32 vcc, 0, v0
	s_and_b64 vcc, vcc, exec
	s_or_b64 s[66:67], s[66:67], vcc
.LBB9_464:                              ;   in Loop: Header=BB9_462 Depth=4
	s_andn2_b64 s[64:65], s[64:65], exec
	s_and_b64 s[68:69], s[68:69], exec
	s_mov_b64 vcc, -1
	s_or_b64 s[64:65], s[64:65], s[68:69]
	s_and_saveexec_b64 s[68:69], s[66:67]
	s_cbranch_execz .LBB9_461
; %bb.465:                              ;   in Loop: Header=BB9_462 Depth=4
	s_sleep 1
	s_trap 2
	ds_read_b64 v[4:5], v0
	s_andn2_b64 s[64:65], s[64:65], exec
	s_waitcnt lgkmcnt(0)
	v_cmp_ge_u64_e32 vcc, v[4:5], v[12:13]
	s_orn2_b64 vcc, vcc, exec
	s_branch .LBB9_461
.LBB9_466:                              ;   in Loop: Header=BB9_418 Depth=3
	s_or_b64 exec, exec, s[60:61]
	s_and_saveexec_b64 vcc, s[62:63]
	s_xor_b64 vcc, exec, vcc
	s_cbranch_execz .LBB9_468
; %bb.467:                              ;   in Loop: Header=BB9_418 Depth=3
	ds_write_b32 v0, v48
	s_trap 2
.LBB9_468:                              ;   in Loop: Header=BB9_418 Depth=3
	s_or_b64 exec, exec, s[58:59]
	;;#ASMSTART
	s_wakeup
	;;#ASMEND
.LBB9_469:                              ;   in Loop: Header=BB9_418 Depth=3
	s_or_b64 exec, exec, s[56:57]
.LBB9_470:                              ;   in Loop: Header=BB9_418 Depth=3
	s_andn2_saveexec_b64 vcc, s[54:55]
	s_cbranch_execz .LBB9_472
; %bb.471:                              ;   in Loop: Header=BB9_418 Depth=3
	;;#ASMSTART
	s_waitcnt lgkmcnt(0) vmcnt(0)
	;;#ASMEND
	s_barrier
.LBB9_472:                              ;   in Loop: Header=BB9_418 Depth=3
	s_or_b64 exec, exec, vcc
	v_and_b32_e32 v2, 16, v62
	s_andn2_saveexec_b64 s[24:25], s[24:25]
	s_cbranch_execz .LBB9_484
	s_branch .LBB9_481
.LBB9_473:                              ;   in Loop: Header=BB9_418 Depth=3
	s_or_b64 exec, exec, s[60:61]
	s_and_saveexec_b64 vcc, s[62:63]
	s_xor_b64 vcc, exec, vcc
	s_cbranch_execz .LBB9_475
; %bb.474:                              ;   in Loop: Header=BB9_418 Depth=3
	ds_write_b32 v0, v48
	s_trap 2
.LBB9_475:                              ;   in Loop: Header=BB9_418 Depth=3
	s_or_b64 exec, exec, s[58:59]
	;;#ASMSTART
	s_wakeup
	;;#ASMEND
.LBB9_476:                              ;   in Loop: Header=BB9_418 Depth=3
	s_or_b64 exec, exec, s[56:57]
.LBB9_477:                              ;   in Loop: Header=BB9_418 Depth=3
	s_andn2_saveexec_b64 vcc, s[54:55]
	s_cbranch_execz .LBB9_479
; %bb.478:                              ;   in Loop: Header=BB9_418 Depth=3
	s_waitcnt lgkmcnt(0)
	s_barrier
.LBB9_479:                              ;   in Loop: Header=BB9_418 Depth=3
	s_or_b64 exec, exec, vcc
	s_or_b64 exec, exec, s[24:25]
                                        ; implicit-def: $vgpr2
	s_and_saveexec_b64 s[24:25], s[48:49]
	s_xor_b64 s[24:25], exec, s[24:25]
	s_cbranch_execnz .LBB9_443
.LBB9_480:                              ;   in Loop: Header=BB9_418 Depth=3
	s_andn2_saveexec_b64 s[24:25], s[24:25]
	s_cbranch_execz .LBB9_484
.LBB9_481:                              ;   in Loop: Header=BB9_418 Depth=3
	s_trap 2
	ds_read_b32 v0, v0
	v_cmp_lt_i32_e32 vcc, 0, v8
	v_and_b32_e32 v1, 16, v62
	v_and_b32_e32 v2, 16, v62
	s_waitcnt lgkmcnt(0)
	v_readfirstlane_b32 s54, v0
	s_cmp_eq_u32 s54, 0
	s_cselect_b64 s[54:55], -1, 0
	s_and_b64 s[54:55], vcc, s[54:55]
	v_cmp_ne_u32_e32 vcc, 0, v1
	s_and_b64 s[54:55], vcc, s[54:55]
	s_and_saveexec_b64 vcc, s[54:55]
	s_cbranch_execz .LBB9_483
; %bb.482:                              ;   in Loop: Header=BB9_418 Depth=3
	v_mov_b32_e32 v2, 1
	buffer_wbl2 sc1
	s_waitcnt vmcnt(0)
	buffer_inv sc1
.LBB9_483:                              ;   in Loop: Header=BB9_418 Depth=3
	s_or_b64 exec, exec, vcc
.LBB9_484:                              ;   in Loop: Header=BB9_418 Depth=3
	s_or_b64 exec, exec, s[24:25]
	v_cmp_ne_u32_e32 vcc, 0, v2
	s_xor_b64 s[24:25], s[6:7], -1
	s_and_b64 vcc, vcc, s[24:25]
	s_and_saveexec_b64 s[24:25], vcc
	s_cbranch_execz .LBB9_486
; %bb.485:                              ;   in Loop: Header=BB9_418 Depth=3
	flat_store_dword v[58:59], v48 sc0 sc1
.LBB9_486:                              ;   in Loop: Header=BB9_418 Depth=3
	s_or_b64 exec, exec, s[24:25]
	v_and_b32_e32 v0, 48, v62
	v_cmp_ne_u32_e32 vcc, 0, v0
	s_and_saveexec_b64 s[24:25], vcc
	s_cbranch_execz .LBB9_417
; %bb.487:                              ;   in Loop: Header=BB9_418 Depth=3
	v_lshl_add_u64 v[20:21], v[20:21], 0, 2
	flat_store_dwordx2 v[22:23], v[20:21] sc0 sc1
	s_branch .LBB9_417
.LBB9_488:                              ;   in Loop: Header=BB9_47 Depth=1
	v_accvgpr_read_b32 v10, a38
	v_accvgpr_read_b32 v11, a39
	v_mul_lo_u32 v1, v11, s72
	v_mul_lo_u32 v2, v10, s73
	v_mad_u64_u32 v[4:5], s[24:25], v10, s72, 0
	v_add3_u32 v5, v5, v2, v1
	v_accvgpr_read_b32 v0, a40
	v_accvgpr_read_b32 v1, a41
	v_sub_co_u32_e32 v8, vcc, v0, v4
	v_mov_b32_e32 v18, 0
	s_nop 0
	v_subb_co_u32_e32 v9, vcc, v1, v5, vcc
	v_cmp_lt_i64_e32 vcc, v[10:11], v[8:9]
	s_nop 1
	v_cndmask_b32_e32 v1, v8, v10, vcc
	v_max_i32_e32 v26, 0, v1
	v_add_u32_e32 v2, 31, v26
	v_ashrrev_i32_e32 v8, 31, v2
	v_lshrrev_b32_e32 v8, 27, v8
	v_add_u32_e32 v2, v2, v8
	v_ashrrev_i32_e32 v2, 5, v2
	v_lshlrev_b32_e32 v2, 4, v2
	v_cmp_lt_i32_e32 vcc, 0, v1
	v_max_i32_e32 v16, s78, v2
	s_and_b64 s[24:25], s[50:51], vcc
	v_mov_b32_e32 v1, 0
	s_and_saveexec_b64 s[54:55], s[24:25]
	s_cbranch_execz .LBB9_666
; %bb.489:                              ;   in Loop: Header=BB9_47 Depth=1
	v_accvgpr_read_b32 v0, a42
	v_accvgpr_read_b32 v1, a43
	v_lshl_add_u64 v[4:5], v[4:5], 0, v[0:1]
	v_lshlrev_b64 v[0:1], 1, v[4:5]
	v_accvgpr_write_b32 a45, v1
	s_mov_b32 s87, 1
	s_mov_b64 s[58:59], -1
	s_mov_b64 s[56:57], 0
	v_mov_b32_e32 v18, 0
	v_accvgpr_write_b32 a44, v0
	v_accvgpr_write_b32 a3, v26
	s_branch .LBB9_491
.LBB9_490:                              ;   in Loop: Header=BB9_491 Depth=2
	s_or_b64 exec, exec, s[24:25]
	v_add_u32_e32 v18, v16, v18
	v_cmp_ge_i32_e32 vcc, v18, v26
	s_xor_b64 s[24:25], s[58:59], -1
	s_or_b64 s[24:25], s[24:25], vcc
	s_and_b64 s[24:25], exec, s[24:25]
	s_or_b64 s[56:57], s[24:25], s[56:57]
	s_mov_b64 s[58:59], 0
	v_mov_b32_e32 v1, s87
	s_mov_b32 s87, 2
	s_andn2_b64 exec, exec, s[56:57]
	s_cbranch_execz .LBB9_739
.LBB9_491:                              ;   Parent Loop BB9_47 Depth=1
                                        ; =>  This Loop Header: Depth=2
                                        ;       Child Loop BB9_499 Depth 3
                                        ;       Child Loop BB9_525 Depth 3
	;; [unrolled: 1-line block ×9, first 2 shown]
                                        ;         Child Loop BB9_585 Depth 4
                                        ;       Child Loop BB9_594 Depth 3
                                        ;       Child Loop BB9_599 Depth 3
                                        ;         Child Loop BB9_600 Depth 4
                                        ;       Child Loop BB9_572 Depth 3
                                        ;       Child Loop BB9_651 Depth 3
	s_and_saveexec_b64 s[24:25], s[0:1]
	s_cbranch_execz .LBB9_493
; %bb.492:                              ;   in Loop: Header=BB9_491 Depth=2
	s_trap 2
	ds_read2_b64 v[8:11], v0 offset1:1
	ds_read_b64 v[4:5], v0
	v_accvgpr_read_b32 v0, a44
	v_ashrrev_i32_e32 v19, 31, v18
	v_accvgpr_read_b32 v1, a45
	v_lshlrev_b64 v[14:15], 1, v[18:19]
	s_waitcnt lgkmcnt(0)
	v_lshl_add_u64 v[8:9], v[8:9], 0, v[0:1]
	v_lshl_add_u64 v[8:9], v[8:9], 0, v[14:15]
	ds_write_b64 v0, v[8:9]
	v_lshl_add_u64 v[8:9], v[10:11], 0, v[0:1]
	v_lshl_add_u64 v[8:9], v[8:9], 0, v[14:15]
	ds_write_b64 v0, v[8:9]
	v_lshl_add_u64 v[8:9], v[4:5], 0, v[0:1]
	v_lshl_add_u64 v[8:9], v[8:9], 0, v[14:15]
	v_cmp_ne_u64_e32 vcc, 0, v[4:5]
	s_nop 1
	v_cndmask_b32_e32 v5, 0, v9, vcc
	v_cndmask_b32_e32 v4, 0, v8, vcc
	ds_write_b64 v0, v[4:5]
.LBB9_493:                              ;   in Loop: Header=BB9_491 Depth=2
	s_or_b64 exec, exec, s[24:25]
	v_and_b32_e32 v1, 12, v62
	v_cmp_ne_u32_e32 vcc, 0, v1
	s_mov_b64 s[26:27], -1
	s_and_saveexec_b64 s[24:25], vcc
	s_cbranch_execz .LBB9_505
; %bb.494:                              ;   in Loop: Header=BB9_491 Depth=2
	v_and_b32_e32 v2, 8, v62
	v_lshl_add_u64 v[8:9], v[32:33], 0, v[2:3]
	v_lshl_add_u64 v[4:5], v[20:21], 0, 2
	v_cmp_lt_u64_e32 vcc, v[8:9], v[4:5]
	v_mov_b32_e32 v1, 1
	s_and_saveexec_b64 s[26:27], vcc
	s_cbranch_execz .LBB9_504
; %bb.495:                              ;   in Loop: Header=BB9_491 Depth=2
	s_mov_b64 s[28:29], 0
	v_mov_b32_e32 v1, 0
                                        ; implicit-def: $sgpr60_sgpr61
	s_branch .LBB9_499
.LBB9_496:                              ;   in Loop: Header=BB9_499 Depth=3
	s_or_b64 exec, exec, s[68:69]
	v_mov_b32_e32 v8, 0
	s_orn2_b64 s[66:67], s[66:67], exec
.LBB9_497:                              ;   in Loop: Header=BB9_499 Depth=3
	s_or_b64 exec, exec, s[64:65]
	s_andn2_b64 vcc, s[60:61], exec
	s_and_b64 s[60:61], s[66:67], exec
	s_or_b64 s[60:61], vcc, s[60:61]
	v_mov_b32_e32 v1, v8
.LBB9_498:                              ;   in Loop: Header=BB9_499 Depth=3
	s_or_b64 exec, exec, s[62:63]
	s_waitcnt vmcnt(0) lgkmcnt(0)
	v_lshl_add_u64 v[8:9], v[32:33], 0, v[2:3]
	v_cmp_ge_u64_e32 vcc, v[8:9], v[4:5]
	s_xor_b64 s[62:63], s[60:61], -1
	s_or_b64 vcc, s[62:63], vcc
	s_and_b64 vcc, exec, vcc
	s_or_b64 s[28:29], vcc, s[28:29]
	s_andn2_b64 exec, exec, s[28:29]
	s_cbranch_execz .LBB9_503
.LBB9_499:                              ;   Parent Loop BB9_47 Depth=1
                                        ;     Parent Loop BB9_491 Depth=2
                                        ; =>    This Inner Loop Header: Depth=3
	s_sleep 1
	flat_load_dwordx2 v[32:33], v[22:23] sc0 sc1
	v_and_b32_e32 v8, 64, v62
	v_cmp_eq_u32_e32 vcc, 0, v8
	s_andn2_b64 s[60:61], s[60:61], exec
	s_and_saveexec_b64 s[62:63], vcc
	s_cbranch_execz .LBB9_498
; %bb.500:                              ;   in Loop: Header=BB9_499 Depth=3
	v_add_u32_e32 v8, 1, v1
	v_cmp_lt_i32_e32 vcc, s82, v1
	s_mov_b64 s[66:67], -1
	s_and_saveexec_b64 s[64:65], vcc
	s_cbranch_execz .LBB9_497
; %bb.501:                              ;   in Loop: Header=BB9_499 Depth=3
	s_trap 2
	ds_read_b64 v[8:9], v0
	s_waitcnt vmcnt(0) lgkmcnt(0)
	flat_load_dword v1, v[8:9] sc0 sc1
	s_waitcnt vmcnt(0) lgkmcnt(0)
	buffer_inv sc0 sc1
	v_cmp_ne_u32_e32 vcc, 0, v1
	s_and_saveexec_b64 s[68:69], vcc
	s_cbranch_execz .LBB9_496
; %bb.502:                              ;   in Loop: Header=BB9_499 Depth=3
	v_or_b32_e32 v62, 64, v62
	s_xor_b64 s[66:67], exec, -1
	ds_write_b32 v0, v1
	s_trap 2
	s_branch .LBB9_496
.LBB9_503:                              ;   in Loop: Header=BB9_491 Depth=2
	s_or_b64 exec, exec, s[28:29]
	v_and_b32_e32 v1, 12, v62
.LBB9_504:                              ;   in Loop: Header=BB9_491 Depth=2
	s_or_b64 exec, exec, s[26:27]
	v_cmp_eq_u32_e32 vcc, 0, v1
	s_orn2_b64 s[26:27], vcc, exec
	;;#ASMSTART
	s_wakeup
	;;#ASMEND
.LBB9_505:                              ;   in Loop: Header=BB9_491 Depth=2
	s_or_b64 exec, exec, s[24:25]
	v_sub_u32_e32 v1, v26, v18
	s_xor_b64 s[24:25], s[26:27], -1
	v_min_i32_e32 v16, v16, v1
	s_and_saveexec_b64 s[26:27], s[24:25]
	s_cbranch_execz .LBB9_517
; %bb.506:                              ;   in Loop: Header=BB9_491 Depth=2
	v_and_b32_e32 v1, 0x108, v62
	v_cmp_ne_u32_e32 vcc, s83, v1
	v_and_b32_e32 v2, 7, v20
	s_and_saveexec_b64 s[24:25], vcc
	s_xor_b64 s[24:25], exec, s[24:25]
	s_andn2_saveexec_b64 s[24:25], s[24:25]
	s_cbranch_execz .LBB9_508
; %bb.507:                              ;   in Loop: Header=BB9_491 Depth=2
	v_ashrrev_i32_e32 v17, 31, v16
	v_mad_u64_u32 v[4:5], s[28:29], v2, 24, v[44:45]
	v_lshlrev_b64 v[8:9], 1, v[16:17]
	flat_store_dwordx2 v[4:5], v[8:9] offset:8
.LBB9_508:                              ;   in Loop: Header=BB9_491 Depth=2
	s_or_b64 exec, exec, s[24:25]
	v_and_b32_e32 v1, 0x100, v62
	v_cmp_ne_u32_e32 vcc, 0, v1
	s_mov_b64 s[24:25], -1
                                        ; implicit-def: $vgpr4_vgpr5
	s_and_saveexec_b64 s[28:29], vcc
	s_cbranch_execz .LBB9_512
; %bb.509:                              ;   in Loop: Header=BB9_491 Depth=2
	v_mad_u64_u32 v[8:9], s[24:25], v2, 24, v[44:45]
	v_mov_b32_e32 v4, v9
	v_mad_u64_u32 v[4:5], s[24:25], v3, 24, v[4:5]
	v_mov_b32_e32 v9, v4
	flat_load_dword v1, v[8:9]
                                        ; implicit-def: $vgpr4_vgpr5
	s_waitcnt vmcnt(0) lgkmcnt(0)
	v_cmp_ne_u32_e32 vcc, 1, v1
	v_cmp_eq_u32_e64 s[24:25], 1, v1
	s_and_saveexec_b64 s[60:61], s[24:25]
	s_cbranch_execz .LBB9_511
; %bb.510:                              ;   in Loop: Header=BB9_491 Depth=2
	flat_load_dword v4, v[8:9] offset:4 sc0 sc1
	s_waitcnt vmcnt(0) lgkmcnt(0)
	v_ashrrev_i32_e32 v5, 31, v4
	v_lshrrev_b64 v[4:5], 1, v[4:5]
.LBB9_511:                              ;   in Loop: Header=BB9_491 Depth=2
	s_or_b64 exec, exec, s[60:61]
	s_orn2_b64 s[24:25], vcc, exec
.LBB9_512:                              ;   in Loop: Header=BB9_491 Depth=2
	s_or_b64 exec, exec, s[28:29]
	s_and_saveexec_b64 s[28:29], s[24:25]
; %bb.513:                              ;   in Loop: Header=BB9_491 Depth=2
	v_mul_lo_u32 v1, v3, v60
	v_mul_lo_u32 v8, v2, v53
	v_mad_u64_u32 v[4:5], s[24:25], v2, v60, 0
	v_add3_u32 v5, v5, v8, v1
; %bb.514:                              ;   in Loop: Header=BB9_491 Depth=2
	s_or_b64 exec, exec, s[28:29]
	v_and_b32_e32 v1, 0x2000, v62
	v_lshl_add_u64 v[4:5], v[4:5], 1, v[56:57]
	v_cmp_ne_u32_e32 vcc, 0, v1
	s_trap 2
	ds_write_b64 v0, v[4:5]
	s_and_saveexec_b64 s[24:25], vcc
	s_cbranch_execz .LBB9_516
; %bb.515:                              ;   in Loop: Header=BB9_491 Depth=2
	ds_read_b64 v[4:5], v0 offset:584
	s_waitcnt lgkmcnt(0)
	v_lshl_add_u64 v[4:5], v[4:5], 0, 1
	ds_write_b64 v0, v[4:5] offset:584
.LBB9_516:                              ;   in Loop: Header=BB9_491 Depth=2
	s_or_b64 exec, exec, s[24:25]
	v_lshl_add_u64 v[20:21], v[20:21], 0, 2
.LBB9_517:                              ;   in Loop: Header=BB9_491 Depth=2
	s_or_b64 exec, exec, s[26:27]
	s_and_saveexec_b64 s[24:25], s[4:5]
	s_cbranch_execz .LBB9_536
; %bb.518:                              ;   in Loop: Header=BB9_491 Depth=2
	s_and_saveexec_b64 s[26:27], s[38:39]
	s_xor_b64 s[26:27], exec, s[26:27]
	s_cbranch_execz .LBB9_533
; %bb.519:                              ;   in Loop: Header=BB9_491 Depth=2
	s_and_saveexec_b64 s[28:29], s[12:13]
	s_cbranch_execz .LBB9_532
; %bb.520:                              ;   in Loop: Header=BB9_491 Depth=2
	s_mov_b64 s[62:63], exec
	v_mbcnt_lo_u32_b32 v1, s62, 0
	v_mbcnt_hi_u32_b32 v1, s63, v1
	v_cmp_eq_u32_e32 vcc, 0, v1
	s_waitcnt lgkmcnt(0)
	s_and_saveexec_b64 s[60:61], vcc
	s_cbranch_execz .LBB9_522
; %bb.521:                              ;   in Loop: Header=BB9_491 Depth=2
	s_bcnt1_i32_b64 vcc_lo, s[62:63]
	v_mov_b32_e32 v2, vcc_lo
	ds_add_u64 v0, v[2:3]
	s_trap 2
.LBB9_522:                              ;   in Loop: Header=BB9_491 Depth=2
	s_or_b64 exec, exec, s[60:61]
	s_trap 2
	ds_read_b64 v[4:5], v0
	v_lshl_add_u64 v[12:13], v[12:13], 0, v[34:35]
	s_waitcnt lgkmcnt(0)
	v_cmp_lt_u64_e32 vcc, v[4:5], v[12:13]
	s_and_saveexec_b64 s[60:61], vcc
	s_cbranch_execz .LBB9_531
; %bb.523:                              ;   in Loop: Header=BB9_491 Depth=2
	s_mov_b32 s88, 0
	s_mov_b64 s[62:63], 0
                                        ; implicit-def: $sgpr64_sgpr65
                                        ; implicit-def: $sgpr66_sgpr67
	s_branch .LBB9_525
.LBB9_524:                              ;   in Loop: Header=BB9_525 Depth=3
	s_or_b64 exec, exec, s[70:71]
	s_and_b64 vcc, exec, vcc
	s_or_b64 s[62:63], vcc, s[62:63]
	s_andn2_b64 vcc, s[64:65], exec
	s_and_b64 s[64:65], s[66:67], exec
	s_or_b64 s[64:65], vcc, s[64:65]
	s_andn2_b64 exec, exec, s[62:63]
	s_cbranch_execz .LBB9_529
.LBB9_525:                              ;   Parent Loop BB9_47 Depth=1
                                        ;     Parent Loop BB9_491 Depth=2
                                        ; =>    This Inner Loop Header: Depth=3
	s_add_i32 s88, s88, 1
	s_cmpk_lg_i32 s88, 0x2710
	s_cselect_b64 s[68:69], -1, 0
	s_and_b64 vcc, exec, s[68:69]
                                        ; implicit-def: $sgpr70_sgpr71
	s_cbranch_vccnz .LBB9_527
; %bb.526:                              ;   in Loop: Header=BB9_525 Depth=3
	s_trap 2
	ds_read_b64 v[4:5], v0
	s_andn2_b64 s[68:69], s[68:69], exec
	s_mov_b32 s88, 0
	s_mov_b64 s[70:71], -1
	s_waitcnt vmcnt(0) lgkmcnt(0)
	flat_load_dword v1, v[4:5] sc0 sc1
	s_waitcnt vmcnt(0) lgkmcnt(0)
	buffer_inv sc0 sc1
	v_cmp_eq_u32_e32 vcc, 0, v1
	s_and_b64 vcc, vcc, exec
	s_or_b64 s[68:69], s[68:69], vcc
.LBB9_527:                              ;   in Loop: Header=BB9_525 Depth=3
	s_andn2_b64 s[66:67], s[66:67], exec
	s_and_b64 s[70:71], s[70:71], exec
	s_mov_b64 vcc, -1
	s_or_b64 s[66:67], s[66:67], s[70:71]
	s_and_saveexec_b64 s[70:71], s[68:69]
	s_cbranch_execz .LBB9_524
; %bb.528:                              ;   in Loop: Header=BB9_525 Depth=3
	s_sleep 1
	s_trap 2
	ds_read_b64 v[4:5], v0
	s_andn2_b64 s[66:67], s[66:67], exec
	s_waitcnt lgkmcnt(0)
	v_cmp_ge_u64_e32 vcc, v[4:5], v[12:13]
	s_orn2_b64 vcc, vcc, exec
	s_branch .LBB9_524
.LBB9_529:                              ;   in Loop: Header=BB9_491 Depth=2
	s_or_b64 exec, exec, s[62:63]
	s_and_saveexec_b64 vcc, s[64:65]
	s_xor_b64 vcc, exec, vcc
	s_cbranch_execz .LBB9_531
; %bb.530:                              ;   in Loop: Header=BB9_491 Depth=2
	ds_write_b32 v0, v48
	s_trap 2
.LBB9_531:                              ;   in Loop: Header=BB9_491 Depth=2
	s_or_b64 exec, exec, s[60:61]
	;;#ASMSTART
	s_wakeup
	;;#ASMEND
.LBB9_532:                              ;   in Loop: Header=BB9_491 Depth=2
	s_or_b64 exec, exec, s[28:29]
.LBB9_533:                              ;   in Loop: Header=BB9_491 Depth=2
	s_andn2_saveexec_b64 s[26:27], s[26:27]
	s_cbranch_execz .LBB9_535
; %bb.534:                              ;   in Loop: Header=BB9_491 Depth=2
	s_waitcnt lgkmcnt(0)
	s_barrier
.LBB9_535:                              ;   in Loop: Header=BB9_491 Depth=2
	s_or_b64 exec, exec, s[26:27]
.LBB9_536:                              ;   in Loop: Header=BB9_491 Depth=2
	s_or_b64 exec, exec, s[24:25]
	s_trap 2
	ds_read_b32 v4, v0
	v_and_b32_e32 v1, 0x4000, v62
	v_cmp_ne_u32_e32 vcc, 0, v1
	s_xor_b64 s[24:25], s[2:3], -1
	s_and_b64 s[26:27], s[24:25], vcc
	s_and_saveexec_b64 s[24:25], s[26:27]
	s_cbranch_execz .LBB9_555
; %bb.537:                              ;   in Loop: Header=BB9_491 Depth=2
	s_and_saveexec_b64 s[26:27], s[38:39]
	s_xor_b64 s[26:27], exec, s[26:27]
	s_cbranch_execz .LBB9_552
; %bb.538:                              ;   in Loop: Header=BB9_491 Depth=2
	s_and_saveexec_b64 s[28:29], s[12:13]
	s_cbranch_execz .LBB9_551
; %bb.539:                              ;   in Loop: Header=BB9_491 Depth=2
	s_mov_b64 s[62:63], exec
	v_mbcnt_lo_u32_b32 v1, s62, 0
	v_mbcnt_hi_u32_b32 v1, s63, v1
	v_cmp_eq_u32_e32 vcc, 0, v1
	s_waitcnt lgkmcnt(0)
	s_and_saveexec_b64 s[60:61], vcc
	s_cbranch_execz .LBB9_541
; %bb.540:                              ;   in Loop: Header=BB9_491 Depth=2
	s_bcnt1_i32_b64 vcc_lo, s[62:63]
	v_mov_b32_e32 v2, vcc_lo
	ds_add_u64 v0, v[2:3]
	s_trap 2
.LBB9_541:                              ;   in Loop: Header=BB9_491 Depth=2
	s_or_b64 exec, exec, s[60:61]
	s_trap 2
	ds_read_b64 v[8:9], v0
	v_lshl_add_u64 v[12:13], v[12:13], 0, v[34:35]
	s_waitcnt lgkmcnt(0)
	v_cmp_lt_u64_e32 vcc, v[8:9], v[12:13]
	s_and_saveexec_b64 s[60:61], vcc
	s_cbranch_execz .LBB9_550
; %bb.542:                              ;   in Loop: Header=BB9_491 Depth=2
	s_mov_b32 s88, 0
	s_mov_b64 s[62:63], 0
                                        ; implicit-def: $sgpr64_sgpr65
                                        ; implicit-def: $sgpr66_sgpr67
	s_branch .LBB9_544
.LBB9_543:                              ;   in Loop: Header=BB9_544 Depth=3
	s_or_b64 exec, exec, s[70:71]
	s_and_b64 vcc, exec, vcc
	s_or_b64 s[62:63], vcc, s[62:63]
	s_andn2_b64 vcc, s[64:65], exec
	s_and_b64 s[64:65], s[66:67], exec
	s_or_b64 s[64:65], vcc, s[64:65]
	s_andn2_b64 exec, exec, s[62:63]
	s_cbranch_execz .LBB9_548
.LBB9_544:                              ;   Parent Loop BB9_47 Depth=1
                                        ;     Parent Loop BB9_491 Depth=2
                                        ; =>    This Inner Loop Header: Depth=3
	s_add_i32 s88, s88, 1
	s_cmpk_lg_i32 s88, 0x2710
	s_cselect_b64 s[68:69], -1, 0
	s_and_b64 vcc, exec, s[68:69]
                                        ; implicit-def: $sgpr70_sgpr71
	s_cbranch_vccnz .LBB9_546
; %bb.545:                              ;   in Loop: Header=BB9_544 Depth=3
	s_trap 2
	ds_read_b64 v[8:9], v0
	s_andn2_b64 s[68:69], s[68:69], exec
	s_mov_b32 s88, 0
	s_mov_b64 s[70:71], -1
	s_waitcnt vmcnt(0) lgkmcnt(0)
	flat_load_dword v1, v[8:9] sc0 sc1
	s_waitcnt vmcnt(0) lgkmcnt(0)
	buffer_inv sc0 sc1
	v_cmp_eq_u32_e32 vcc, 0, v1
	s_and_b64 vcc, vcc, exec
	s_or_b64 s[68:69], s[68:69], vcc
.LBB9_546:                              ;   in Loop: Header=BB9_544 Depth=3
	s_andn2_b64 s[66:67], s[66:67], exec
	s_and_b64 s[70:71], s[70:71], exec
	s_mov_b64 vcc, -1
	s_or_b64 s[66:67], s[66:67], s[70:71]
	s_and_saveexec_b64 s[70:71], s[68:69]
	s_cbranch_execz .LBB9_543
; %bb.547:                              ;   in Loop: Header=BB9_544 Depth=3
	s_sleep 1
	s_trap 2
	ds_read_b64 v[8:9], v0
	s_andn2_b64 s[66:67], s[66:67], exec
	s_waitcnt lgkmcnt(0)
	v_cmp_ge_u64_e32 vcc, v[8:9], v[12:13]
	s_orn2_b64 vcc, vcc, exec
	s_branch .LBB9_543
.LBB9_548:                              ;   in Loop: Header=BB9_491 Depth=2
	s_or_b64 exec, exec, s[62:63]
	s_and_saveexec_b64 vcc, s[64:65]
	s_xor_b64 vcc, exec, vcc
	s_cbranch_execz .LBB9_550
; %bb.549:                              ;   in Loop: Header=BB9_491 Depth=2
	ds_write_b32 v0, v48
	s_trap 2
.LBB9_550:                              ;   in Loop: Header=BB9_491 Depth=2
	s_or_b64 exec, exec, s[60:61]
	;;#ASMSTART
	s_wakeup
	;;#ASMEND
.LBB9_551:                              ;   in Loop: Header=BB9_491 Depth=2
	s_or_b64 exec, exec, s[28:29]
.LBB9_552:                              ;   in Loop: Header=BB9_491 Depth=2
	s_andn2_saveexec_b64 s[26:27], s[26:27]
	s_cbranch_execz .LBB9_554
; %bb.553:                              ;   in Loop: Header=BB9_491 Depth=2
	s_waitcnt lgkmcnt(0)
	s_barrier
.LBB9_554:                              ;   in Loop: Header=BB9_491 Depth=2
	s_or_b64 exec, exec, s[26:27]
.LBB9_555:                              ;   in Loop: Header=BB9_491 Depth=2
	s_or_b64 exec, exec, s[24:25]
	s_trap 2
	ds_read_b64 v[8:9], v0
	v_mov_b32_e32 v17, 0
	s_waitcnt lgkmcnt(0)
	v_readfirstlane_b32 s24, v8
	v_readfirstlane_b32 s25, v9
	s_cmp_eq_u64 s[24:25], 0
	s_cselect_b64 s[24:25], -1, 0
	s_or_b64 s[24:25], s[24:25], s[24:25]
	s_and_b64 vcc, exec, s[24:25]
	s_cbranch_vccnz .LBB9_564
; %bb.556:                              ;   in Loop: Header=BB9_491 Depth=2
	s_trap 2
	ds_read_b64 v[8:9], v0
	v_cmp_eq_u32_e32 vcc, 0, v4
	s_nop 1
	v_cndmask_b32_e32 v17, 0, v16, vcc
	s_waitcnt lgkmcnt(0)
	v_cmp_ne_u64_e32 vcc, 0, v[8:9]
	v_lshlrev_b32_e32 v27, 1, v17
	s_cbranch_vccz .LBB9_576
; %bb.557:                              ;   in Loop: Header=BB9_491 Depth=2
	s_mov_b64 s[26:27], -1
	s_and_saveexec_b64 s[24:25], s[18:19]
	s_cbranch_execz .LBB9_559
; %bb.558:                              ;   in Loop: Header=BB9_491 Depth=2
	ds_read_b32 v0, v0 offset:720
	s_waitcnt lgkmcnt(0)
	v_and_b32_e32 v0, 15, v0
	v_cmp_eq_u32_e32 vcc, 0, v0
	s_orn2_b64 s[26:27], vcc, exec
.LBB9_559:                              ;   in Loop: Header=BB9_491 Depth=2
	s_or_b64 exec, exec, s[24:25]
	s_and_saveexec_b64 s[24:25], s[18:19]
	s_cbranch_execz .LBB9_561
; %bb.560:                              ;   in Loop: Header=BB9_491 Depth=2
	ds_read_b32 v0, v0 offset:784
	s_waitcnt lgkmcnt(0)
	v_and_b32_e32 v0, 15, v0
	v_cmp_eq_u32_e32 vcc, 0, v0
	s_and_b64 s[28:29], s[26:27], vcc
	s_andn2_b64 s[26:27], s[26:27], exec
	s_and_b64 s[28:29], s[28:29], exec
	s_or_b64 s[26:27], s[26:27], s[28:29]
.LBB9_561:                              ;   in Loop: Header=BB9_491 Depth=2
	s_or_b64 exec, exec, s[24:25]
	s_xor_b64 s[26:27], s[26:27], -1
	v_cndmask_b32_e64 v0, 0, 1, s[26:27]
	s_mov_b64 s[24:25], -1
	;;#ASMSTART
	;;#ASMEND
	v_mov_b32_e32 v19, 0
	v_cmp_ne_u32_e32 vcc, 0, v0
	v_mov_b32_e32 v36, v27
	v_mov_b32_e32 v31, v52
	v_mov_b32_e32 v4, v46
	s_cbranch_vccz .LBB9_577
; %bb.562:                              ;   in Loop: Header=BB9_491 Depth=2
	s_and_saveexec_b64 s[28:29], s[24:25]
	s_cbranch_execnz .LBB9_592
.LBB9_563:                              ;   in Loop: Header=BB9_491 Depth=2
	s_or_b64 exec, exec, s[28:29]
.LBB9_564:                              ;   in Loop: Header=BB9_491 Depth=2
	s_and_saveexec_b64 s[24:25], s[4:5]
	s_cbranch_execz .LBB9_610
.LBB9_565:                              ;   in Loop: Header=BB9_491 Depth=2
	s_and_saveexec_b64 s[26:27], s[38:39]
	s_xor_b64 s[26:27], exec, s[26:27]
	s_cbranch_execz .LBB9_640
; %bb.566:                              ;   in Loop: Header=BB9_491 Depth=2
	s_and_saveexec_b64 s[28:29], s[12:13]
	s_cbranch_execz .LBB9_639
; %bb.567:                              ;   in Loop: Header=BB9_491 Depth=2
	s_mov_b64 s[62:63], exec
	v_mbcnt_lo_u32_b32 v0, s62, 0
	v_mbcnt_hi_u32_b32 v0, s63, v0
	v_cmp_eq_u32_e32 vcc, 0, v0
	s_waitcnt lgkmcnt(0)
	s_and_saveexec_b64 s[60:61], vcc
	s_cbranch_execz .LBB9_569
; %bb.568:                              ;   in Loop: Header=BB9_491 Depth=2
	s_bcnt1_i32_b64 vcc_lo, s[62:63]
	v_mov_b32_e32 v2, vcc_lo
	ds_add_u64 v0, v[2:3]
	s_trap 2
.LBB9_569:                              ;   in Loop: Header=BB9_491 Depth=2
	s_or_b64 exec, exec, s[60:61]
	s_trap 2
	ds_read_b64 v[4:5], v0
	v_lshl_add_u64 v[12:13], v[12:13], 0, v[34:35]
	s_waitcnt lgkmcnt(0)
	v_cmp_lt_u64_e32 vcc, v[4:5], v[12:13]
	s_and_saveexec_b64 s[60:61], vcc
	s_cbranch_execz .LBB9_638
; %bb.570:                              ;   in Loop: Header=BB9_491 Depth=2
	s_mov_b32 s88, 0
	s_mov_b64 s[62:63], 0
                                        ; implicit-def: $sgpr64_sgpr65
                                        ; implicit-def: $sgpr66_sgpr67
	s_branch .LBB9_572
.LBB9_571:                              ;   in Loop: Header=BB9_572 Depth=3
	s_or_b64 exec, exec, s[70:71]
	s_and_b64 vcc, exec, vcc
	s_or_b64 s[62:63], vcc, s[62:63]
	s_andn2_b64 vcc, s[64:65], exec
	s_and_b64 s[64:65], s[66:67], exec
	s_or_b64 s[64:65], vcc, s[64:65]
	s_andn2_b64 exec, exec, s[62:63]
	s_cbranch_execz .LBB9_636
.LBB9_572:                              ;   Parent Loop BB9_47 Depth=1
                                        ;     Parent Loop BB9_491 Depth=2
                                        ; =>    This Inner Loop Header: Depth=3
	s_add_i32 s88, s88, 1
	s_cmpk_lg_i32 s88, 0x2710
	s_cselect_b64 s[68:69], -1, 0
	s_and_b64 vcc, exec, s[68:69]
                                        ; implicit-def: $sgpr70_sgpr71
	s_cbranch_vccnz .LBB9_574
; %bb.573:                              ;   in Loop: Header=BB9_572 Depth=3
	s_trap 2
	ds_read_b64 v[4:5], v0
	s_andn2_b64 s[68:69], s[68:69], exec
	s_mov_b32 s88, 0
	s_mov_b64 s[70:71], -1
	s_waitcnt vmcnt(0) lgkmcnt(0)
	flat_load_dword v0, v[4:5] sc0 sc1
	s_waitcnt vmcnt(0) lgkmcnt(0)
	buffer_inv sc0 sc1
	v_cmp_eq_u32_e32 vcc, 0, v0
	s_and_b64 vcc, vcc, exec
	s_or_b64 s[68:69], s[68:69], vcc
.LBB9_574:                              ;   in Loop: Header=BB9_572 Depth=3
	s_andn2_b64 s[66:67], s[66:67], exec
	s_and_b64 s[70:71], s[70:71], exec
	s_mov_b64 vcc, -1
	s_or_b64 s[66:67], s[66:67], s[70:71]
	s_and_saveexec_b64 s[70:71], s[68:69]
	s_cbranch_execz .LBB9_571
; %bb.575:                              ;   in Loop: Header=BB9_572 Depth=3
	s_sleep 1
	s_trap 2
	ds_read_b64 v[4:5], v0
	s_andn2_b64 s[66:67], s[66:67], exec
	s_waitcnt lgkmcnt(0)
	v_cmp_ge_u64_e32 vcc, v[4:5], v[12:13]
	s_orn2_b64 vcc, vcc, exec
	s_branch .LBB9_571
.LBB9_576:                              ;   in Loop: Header=BB9_491 Depth=2
	s_cbranch_execnz .LBB9_603
	s_branch .LBB9_564
.LBB9_577:                              ;   in Loop: Header=BB9_491 Depth=2
	v_ashrrev_i32_e32 v0, 31, v27
	v_lshrrev_b32_e32 v0, 21, v0
	v_add_u32_e32 v0, v27, v0
	v_ashrrev_i32_e32 v19, 11, v0
	v_sub_u32_e32 v1, v19, v46
	v_cmp_lt_i32_e32 vcc, 0, v1
	s_and_saveexec_b64 s[24:25], vcc
	s_cbranch_execz .LBB9_581
; %bb.578:                              ;   in Loop: Header=BB9_491 Depth=2
	s_trap 2
	ds_read_b128 v[8:11], v0
	v_accvgpr_read_b32 v14, a36
	v_accvgpr_read_b32 v15, a37
	v_accvgpr_write_b32 a46, v27
	v_accvgpr_write_b32 a24, v17
	s_waitcnt lgkmcnt(0)
	v_lshl_add_u64 v[4:5], v[8:9], 0, v[14:15]
	v_lshl_add_u64 v[14:15], v[10:11], 0, v[14:15]
	s_mov_b64 s[26:27], 0
	v_mov_b64_e32 v[36:37], v[4:5]
	v_mov_b64_e32 v[38:39], v[14:15]
.LBB9_579:                              ;   Parent Loop BB9_47 Depth=1
                                        ;     Parent Loop BB9_491 Depth=2
                                        ; =>    This Inner Loop Header: Depth=3
	global_load_dwordx4 v[28:31], v[14:15], off nt
	global_load_dwordx4 v[48:51], v[4:5], off nt
	global_load_dwordx4 v[8:11], v[4:5], off offset:1024 nt
	global_load_dwordx4 v[56:59], v[14:15], off offset:1024 nt
	v_sub_u32_e32 v1, v1, v34
	v_cmp_gt_i32_e32 vcc, 1, v1
	v_lshl_add_u64 v[4:5], v[4:5], 0, v[54:55]
	v_lshl_add_u64 v[14:15], v[14:15], 0, v[54:55]
	s_or_b64 s[26:27], vcc, s[26:27]
	s_waitcnt vmcnt(0)
	v_mul_f16_e32 v0, v48, v28
	v_mul_f16_sdwa v2, v48, v28 dst_sel:WORD_1 dst_unused:UNUSED_PAD src0_sel:WORD_1 src1_sel:WORD_1
	v_mul_f16_e32 v17, v49, v29
	v_mul_f16_sdwa v24, v49, v29 dst_sel:WORD_1 dst_unused:UNUSED_PAD src0_sel:WORD_1 src1_sel:WORD_1
	;; [unrolled: 2-line block ×8, first 2 shown]
	v_or_b32_e32 v9, v24, v17
	v_or_b32_e32 v8, v2, v0
	;; [unrolled: 1-line block ×8, first 2 shown]
	global_store_dwordx4 v[36:37], v[8:11], off nt
	global_store_dwordx4 v[36:37], v[28:31], off offset:1024 nt
	global_store_dwordx4 v[38:39], v[8:11], off nt
	global_store_dwordx4 v[38:39], v[28:31], off offset:1024 nt
	v_lshl_add_u64 v[36:37], v[36:37], 0, v[54:55]
	v_lshl_add_u64 v[38:39], v[38:39], 0, v[54:55]
	s_andn2_b64 exec, exec, s[26:27]
	s_cbranch_execnz .LBB9_579
; %bb.580:                              ;   in Loop: Header=BB9_491 Depth=2
	s_or_b64 exec, exec, s[26:27]
	v_accvgpr_read_b32 v45, a13
	v_accvgpr_read_b32 v57, a17
	;; [unrolled: 1-line block ×10, first 2 shown]
	v_mov_b32_e32 v48, 1
	v_accvgpr_read_b32 v26, a3
	v_accvgpr_read_b32 v17, a24
	;; [unrolled: 1-line block ×3, first 2 shown]
.LBB9_581:                              ;   in Loop: Header=BB9_491 Depth=2
	s_or_b64 exec, exec, s[24:25]
	v_lshlrev_b32_e32 v30, 11, v19
	v_cmp_ne_u32_e32 vcc, v27, v30
	s_mov_b64 s[24:25], 0
	v_mov_b32_e32 v19, 0
                                        ; implicit-def: $vgpr36
                                        ; implicit-def: $vgpr31
                                        ; implicit-def: $vgpr4
	s_and_saveexec_b64 s[60:61], vcc
	s_cbranch_execz .LBB9_591
; %bb.582:                              ;   in Loop: Header=BB9_491 Depth=2
	v_lshlrev_b32_e32 v1, 6, v1
	v_accvgpr_read_b32 v2, a31
	v_sub_u32_e32 v1, v2, v1
	v_ashrrev_i32_e32 v2, 31, v1
	v_lshrrev_b32_e32 v2, 26, v2
	v_add_u32_e32 v2, v1, v2
	v_ashrrev_i32_e32 v5, 6, v2
	v_and_b32_e32 v2, 0xffffffc0, v2
	v_sub_u32_e32 v8, v1, v2
	v_sub_u32_e32 v0, v27, v30
	v_lshlrev_b32_e32 v1, 4, v8
	v_lshl_add_u32 v4, v5, 10, v1
	v_ashrrev_i32_e32 v1, 31, v0
	v_lshrrev_b32_e32 v1, 22, v1
	v_add_u32_e32 v1, v0, v1
	v_and_b32_e32 v9, 0xfffffc00, v1
	v_sub_u32_e32 v10, v0, v9
	v_ashrrev_i32_e32 v2, 10, v1
	v_cmp_lt_i32_e64 s[24:25], 15, v10
	v_sub_u32_e32 v19, v0, v4
	s_nop 0
	v_addc_co_u32_e64 v0, vcc, 0, v2, s[24:25]
	v_sub_u32_e32 v1, v0, v5
	v_cmp_lt_i32_e32 vcc, 15, v19
	s_and_saveexec_b64 s[62:63], vcc
	s_cbranch_execz .LBB9_588
; %bb.583:                              ;   in Loop: Header=BB9_491 Depth=2
	v_accvgpr_write_b32 a47, v10
	v_accvgpr_write_b32 a46, v9
	;; [unrolled: 1-line block ×3, first 2 shown]
	s_trap 2
	ds_read_b128 v[8:11], v0
	v_add_u32_e32 v4, v4, v30
	v_ashrrev_i32_e32 v5, 31, v4
	v_mov_b32_e32 v31, v27
	v_mov_b32_e32 v27, v17
	s_waitcnt lgkmcnt(0)
	v_lshl_add_u64 v[14:15], v[8:9], 0, v[4:5]
	v_lshl_add_u64 v[38:39], v[10:11], 0, v[4:5]
	s_mov_b64 s[64:65], 0
	v_mov_b64_e32 v[4:5], v[14:15]
	v_mov_b64_e32 v[36:37], v[38:39]
.LBB9_584:                              ;   Parent Loop BB9_47 Depth=1
                                        ;     Parent Loop BB9_491 Depth=2
                                        ; =>    This Loop Header: Depth=3
                                        ;         Child Loop BB9_585 Depth 4
	global_load_dwordx4 v[8:11], v[4:5], off nt
	global_load_dwordx4 v[48:51], v[36:37], off nt
	s_mov_b64 s[68:69], -1
	s_mov_b64 s[66:67], 0
	s_waitcnt vmcnt(0)
	v_mul_f16_e32 v0, v8, v48
	v_mul_f16_sdwa v2, v8, v48 dst_sel:WORD_1 dst_unused:UNUSED_PAD src0_sel:WORD_1 src1_sel:WORD_1
	v_mul_f16_e32 v8, v9, v49
	v_mul_f16_sdwa v9, v9, v49 dst_sel:WORD_1 dst_unused:UNUSED_PAD src0_sel:WORD_1 src1_sel:WORD_1
	;; [unrolled: 2-line block ×4, first 2 shown]
	v_or_b32_e32 v9, v9, v8
	v_or_b32_e32 v8, v2, v0
	;; [unrolled: 1-line block ×4, first 2 shown]
.LBB9_585:                              ;   Parent Loop BB9_47 Depth=1
                                        ;     Parent Loop BB9_491 Depth=2
                                        ;       Parent Loop BB9_584 Depth=3
                                        ; =>      This Inner Loop Header: Depth=4
	s_cmp_eq_u32 s66, 0
	s_cselect_b64 s[26:27], -1, 0
	s_cmp_eq_u32 s66, 1
	s_cselect_b64 s[28:29], -1, 0
	v_cndmask_b32_e64 v0, 0, 1, s[68:69]
	v_cndmask_b32_e64 v25, v15, v39, s[28:29]
	;; [unrolled: 1-line block ×3, first 2 shown]
	v_cmp_ne_u32_e32 vcc, 1, v0
	global_store_dwordx4 v[24:25], v[8:11], off nt
	v_lshl_add_u64 v[24:25], v[24:25], 0, s[40:41]
	s_mov_b64 s[68:69], 0
	s_mov_b64 s[66:67], 1
	s_and_b64 vcc, exec, vcc
	v_cndmask_b32_e64 v39, v39, v25, s[28:29]
	v_cndmask_b32_e64 v38, v38, v24, s[28:29]
	;; [unrolled: 1-line block ×4, first 2 shown]
	s_cbranch_vccz .LBB9_585
; %bb.586:                              ;   in Loop: Header=BB9_584 Depth=3
	v_sub_u32_e32 v19, v19, v47
	v_cmp_gt_i32_e32 vcc, 16, v19
	v_lshl_add_u64 v[4:5], v[4:5], 0, v[40:41]
	v_lshl_add_u64 v[36:37], v[36:37], 0, v[40:41]
	;; [unrolled: 1-line block ×4, first 2 shown]
	s_or_b64 s[64:65], vcc, s[64:65]
	v_sub_u32_e32 v1, v1, v34
	s_andn2_b64 exec, exec, s[64:65]
	s_cbranch_execnz .LBB9_584
; %bb.587:                              ;   in Loop: Header=BB9_491 Depth=2
	s_or_b64 exec, exec, s[64:65]
	v_accvgpr_read_b32 v51, a29
	v_accvgpr_read_b32 v50, a28
	v_mov_b32_e32 v48, 1
	v_mov_b32_e32 v17, v27
	;; [unrolled: 1-line block ×3, first 2 shown]
	v_accvgpr_read_b32 v8, a24
	v_accvgpr_read_b32 v9, a46
	;; [unrolled: 1-line block ×3, first 2 shown]
.LBB9_588:                              ;   in Loop: Header=BB9_491 Depth=2
	s_or_b64 exec, exec, s[62:63]
	v_and_b32_e32 v5, 14, v27
	v_cndmask_b32_e64 v36, v10, v5, s[24:25]
	v_cmp_ne_u32_e32 vcc, 0, v36
	s_mov_b64 s[26:27], 0
	v_mov_b32_e32 v19, 0
                                        ; implicit-def: $vgpr31
                                        ; implicit-def: $vgpr4
	s_and_saveexec_b64 s[28:29], vcc
	s_cbranch_execz .LBB9_590
; %bb.589:                              ;   in Loop: Header=BB9_491 Depth=2
	v_sub_u32_e32 v0, v10, v5
	v_cndmask_b32_e64 v0, 0, v0, s[24:25]
	v_cmp_lt_i32_e32 vcc, 0, v1
	v_add3_u32 v19, v9, v30, v0
	s_mov_b64 s[26:27], exec
	v_cndmask_b32_e32 v0, 0, v34, vcc
	v_sub_u32_e32 v0, v0, v1
	v_lshl_add_u32 v31, v0, 6, v8
	v_ashrrev_i32_e32 v0, 31, v31
	v_lshrrev_b32_e32 v0, 26, v0
	v_add_u32_e32 v0, v31, v0
	v_ashrrev_i32_e32 v4, 6, v0
.LBB9_590:                              ;   in Loop: Header=BB9_491 Depth=2
	s_or_b64 exec, exec, s[28:29]
	s_and_b64 s[24:25], s[26:27], exec
.LBB9_591:                              ;   in Loop: Header=BB9_491 Depth=2
	s_or_b64 exec, exec, s[60:61]
	s_and_saveexec_b64 s[28:29], s[24:25]
	s_cbranch_execz .LBB9_563
.LBB9_592:                              ;   in Loop: Header=BB9_491 Depth=2
	v_ashrrev_i32_e32 v0, 31, v36
	v_lshrrev_b32_e32 v0, 22, v0
	v_add_u32_e32 v0, v36, v0
	v_ashrrev_i32_e32 v30, 10, v0
	v_sub_u32_e32 v1, v30, v4
	v_ashrrev_i32_e32 v0, 31, v31
	v_cmp_lt_i32_e32 vcc, 0, v1
	v_lshrrev_b32_e32 v25, 26, v0
	s_and_saveexec_b64 s[24:25], vcc
	s_cbranch_execz .LBB9_596
; %bb.593:                              ;   in Loop: Header=BB9_491 Depth=2
	v_add_u32_e32 v0, v31, v25
	v_and_b32_e32 v0, 0x7fffffc0, v0
	v_sub_u32_e32 v0, v31, v0
	s_trap 2
	ds_read_b128 v[8:11], v0
	v_lshlrev_b32_e32 v0, 1, v0
	v_lshlrev_b32_e32 v2, 10, v4
	v_add3_u32 v14, v0, v19, v2
	v_ashrrev_i32_e32 v15, 31, v14
	s_waitcnt lgkmcnt(0)
	v_lshl_add_u64 v[4:5], v[8:9], 0, v[14:15]
	v_lshl_add_u64 v[8:9], v[10:11], 0, v[14:15]
	v_accvgpr_write_b32 a46, v27
	v_accvgpr_write_b32 a24, v17
	s_mov_b64 s[26:27], 0
	v_mov_b64_e32 v[10:11], v[4:5]
	v_mov_b64_e32 v[14:15], v[8:9]
.LBB9_594:                              ;   Parent Loop BB9_47 Depth=1
                                        ;     Parent Loop BB9_491 Depth=2
                                        ; =>    This Inner Loop Header: Depth=3
	flat_load_ushort v0, v[4:5] nt
	flat_load_ushort v2, v[4:5] offset:128 nt
	flat_load_ushort v17, v[4:5] offset:256 nt
	;; [unrolled: 1-line block ×7, first 2 shown]
	flat_load_ushort v37, v[8:9] nt
	flat_load_ushort v38, v[8:9] offset:128 nt
	flat_load_ushort v39, v[8:9] offset:256 nt
	;; [unrolled: 1-line block ×7, first 2 shown]
	v_sub_u32_e32 v1, v1, v34
	v_cmp_gt_i32_e32 vcc, 1, v1
	v_lshl_add_u64 v[4:5], v[4:5], 0, v[40:41]
	v_lshl_add_u64 v[8:9], v[8:9], 0, v[40:41]
	s_or_b64 s[26:27], vcc, s[26:27]
	s_waitcnt vmcnt(0) lgkmcnt(0)
	v_mul_f16_e32 v0, v0, v37
	v_mul_f16_e32 v2, v2, v38
	;; [unrolled: 1-line block ×8, first 2 shown]
	flat_store_short v[10:11], v0 nt
	flat_store_short v[10:11], v2 offset:128 nt
	flat_store_short v[10:11], v17 offset:256 nt
	;; [unrolled: 1-line block ×7, first 2 shown]
	flat_store_short v[14:15], v0 nt
	flat_store_short v[14:15], v2 offset:128 nt
	flat_store_short v[14:15], v17 offset:256 nt
	;; [unrolled: 1-line block ×7, first 2 shown]
	v_lshl_add_u64 v[10:11], v[10:11], 0, v[40:41]
	v_lshl_add_u64 v[14:15], v[14:15], 0, v[40:41]
	s_andn2_b64 exec, exec, s[26:27]
	s_cbranch_execnz .LBB9_594
; %bb.595:                              ;   in Loop: Header=BB9_491 Depth=2
	s_or_b64 exec, exec, s[26:27]
	v_accvgpr_read_b32 v45, a13
	v_accvgpr_read_b32 v51, a29
	;; [unrolled: 1-line block ×6, first 2 shown]
	v_mov_b32_e32 v48, 1
	v_accvgpr_read_b32 v26, a3
	v_accvgpr_read_b32 v17, a24
	;; [unrolled: 1-line block ×3, first 2 shown]
.LBB9_596:                              ;   in Loop: Header=BB9_491 Depth=2
	s_or_b64 exec, exec, s[24:25]
	v_lshlrev_b32_e32 v4, 10, v30
	v_cmp_ne_u32_e32 vcc, v36, v4
	s_and_saveexec_b64 s[60:61], vcc
	s_cbranch_execz .LBB9_602
; %bb.597:                              ;   in Loop: Header=BB9_491 Depth=2
	v_add_u32_e32 v0, v31, v25
	v_and_b32_e32 v0, 0xffffffc0, v0
	v_sub_u32_e32 v0, v31, v0
	v_lshlrev_b32_e32 v1, 6, v1
	v_sub_u32_e32 v0, v0, v1
	v_ashrrev_i32_e32 v1, 31, v0
	v_lshrrev_b32_e32 v1, 26, v1
	v_add_u32_e32 v1, v0, v1
	v_and_b32_e32 v2, 0x7fffffc0, v1
	v_sub_u32_e32 v0, v0, v2
	v_lshlrev_b32_e32 v1, 1, v1
	v_and_b32_e32 v1, 0xffffff80, v1
	v_lshlrev_b32_e32 v0, 1, v0
	v_add3_u32 v4, v1, v0, v4
	v_sub_u32_e32 v1, v36, v4
	v_cmp_lt_i32_e32 vcc, 1, v1
	s_and_b64 exec, exec, vcc
	s_cbranch_execz .LBB9_602
; %bb.598:                              ;   in Loop: Header=BB9_491 Depth=2
	s_trap 2
	ds_read_b128 v[8:11], v0
	v_add_u32_e32 v14, v4, v19
	v_ashrrev_i32_e32 v15, 31, v14
	s_mov_b64 s[62:63], 0
	s_waitcnt lgkmcnt(0)
	v_lshl_add_u64 v[4:5], v[8:9], 0, v[14:15]
	v_lshl_add_u64 v[8:9], v[10:11], 0, v[14:15]
	v_mov_b64_e32 v[10:11], v[4:5]
	v_mov_b64_e32 v[14:15], v[8:9]
.LBB9_599:                              ;   Parent Loop BB9_47 Depth=1
                                        ;     Parent Loop BB9_491 Depth=2
                                        ; =>    This Loop Header: Depth=3
                                        ;         Child Loop BB9_600 Depth 4
	flat_load_ushort v0, v[10:11] nt
	flat_load_ushort v2, v[14:15] nt
	s_mov_b64 s[66:67], -1
	s_mov_b64 s[64:65], 0
	s_waitcnt vmcnt(0) lgkmcnt(0)
	v_mul_f16_e32 v19, v0, v2
.LBB9_600:                              ;   Parent Loop BB9_47 Depth=1
                                        ;     Parent Loop BB9_491 Depth=2
                                        ;       Parent Loop BB9_599 Depth=3
                                        ; =>      This Inner Loop Header: Depth=4
	s_cmp_eq_u32 s64, 0
	s_cselect_b64 s[24:25], -1, 0
	s_cmp_eq_u32 s64, 1
	s_cselect_b64 s[26:27], -1, 0
	v_cndmask_b32_e64 v0, 0, 1, s[66:67]
	v_cndmask_b32_e64 v25, v5, v9, s[26:27]
	;; [unrolled: 1-line block ×3, first 2 shown]
	v_cmp_ne_u32_e32 vcc, 1, v0
	flat_store_short v[24:25], v19 nt
	v_lshl_add_u64 v[24:25], v[24:25], 0, s[42:43]
	s_mov_b64 s[66:67], 0
	s_mov_b64 s[64:65], 1
	s_and_b64 vcc, exec, vcc
	v_cndmask_b32_e64 v9, v9, v25, s[26:27]
	v_cndmask_b32_e64 v8, v8, v24, s[26:27]
	;; [unrolled: 1-line block ×4, first 2 shown]
	s_cbranch_vccz .LBB9_600
; %bb.601:                              ;   in Loop: Header=BB9_599 Depth=3
	v_sub_u32_e32 v1, v1, v61
	v_cmp_gt_i32_e32 vcc, 2, v1
	v_lshl_add_u64 v[10:11], v[10:11], 0, v[42:43]
	v_lshl_add_u64 v[14:15], v[14:15], 0, v[42:43]
	;; [unrolled: 1-line block ×3, first 2 shown]
	s_or_b64 s[62:63], vcc, s[62:63]
	v_lshl_add_u64 v[8:9], v[8:9], 0, v[50:51]
	s_andn2_b64 exec, exec, s[62:63]
	s_cbranch_execnz .LBB9_599
.LBB9_602:                              ;   in Loop: Header=BB9_491 Depth=2
	s_or_b64 exec, exec, s[60:61]
	s_or_b64 exec, exec, s[28:29]
	s_branch .LBB9_564
.LBB9_603:                              ;   in Loop: Header=BB9_491 Depth=2
	s_mov_b64 s[26:27], -1
	s_and_saveexec_b64 s[24:25], s[18:19]
	s_cbranch_execz .LBB9_605
; %bb.604:                              ;   in Loop: Header=BB9_491 Depth=2
	ds_read_b32 v1, v0 offset:720
	s_waitcnt lgkmcnt(0)
	v_and_b32_e32 v1, 15, v1
	v_cmp_eq_u32_e32 vcc, 0, v1
	s_orn2_b64 s[26:27], vcc, exec
.LBB9_605:                              ;   in Loop: Header=BB9_491 Depth=2
	s_or_b64 exec, exec, s[24:25]
	s_and_saveexec_b64 s[24:25], s[14:15]
	s_cbranch_execz .LBB9_607
; %bb.606:                              ;   in Loop: Header=BB9_491 Depth=2
	ds_read_b32 v1, v0 offset:784
	s_waitcnt lgkmcnt(0)
	v_and_b32_e32 v1, 15, v1
	v_cmp_eq_u32_e32 vcc, 0, v1
	s_and_b64 s[28:29], s[26:27], vcc
	s_andn2_b64 s[26:27], s[26:27], exec
	s_and_b64 s[28:29], s[28:29], exec
	s_or_b64 s[26:27], s[26:27], s[28:29]
.LBB9_607:                              ;   in Loop: Header=BB9_491 Depth=2
	s_or_b64 exec, exec, s[24:25]
	s_xor_b64 s[26:27], s[26:27], -1
	v_cndmask_b32_e64 v1, 0, 1, s[26:27]
	s_mov_b64 s[24:25], -1
	;;#ASMSTART
	;;#ASMEND
	v_mov_b32_e32 v19, 0
	v_cmp_ne_u32_e32 vcc, 0, v1
	s_cbranch_vccz .LBB9_614
; %bb.608:                              ;   in Loop: Header=BB9_491 Depth=2
	v_mov_b32_e32 v2, v52
	v_mov_b32_e32 v4, v46
	s_and_saveexec_b64 s[26:27], s[24:25]
	s_cbranch_execnz .LBB9_627
.LBB9_609:                              ;   in Loop: Header=BB9_491 Depth=2
	s_or_b64 exec, exec, s[26:27]
	s_and_saveexec_b64 s[24:25], s[4:5]
	s_cbranch_execnz .LBB9_565
.LBB9_610:                              ;   in Loop: Header=BB9_491 Depth=2
	s_or_b64 exec, exec, s[24:25]
                                        ; implicit-def: $vgpr1
	s_and_saveexec_b64 s[24:25], s[20:21]
	s_xor_b64 s[26:27], exec, s[24:25]
	s_cbranch_execz .LBB9_643
.LBB9_611:                              ;   in Loop: Header=BB9_491 Depth=2
	v_and_b32_e32 v0, 16, v62
	v_cmp_lt_i32_e32 vcc, 0, v17
	v_cmp_ne_u32_e64 s[24:25], 0, v0
	v_and_b32_e32 v1, 16, v62
	s_and_b64 s[28:29], s[24:25], vcc
	s_and_saveexec_b64 s[24:25], s[28:29]
	s_cbranch_execz .LBB9_613
; %bb.612:                              ;   in Loop: Header=BB9_491 Depth=2
	v_mov_b32_e32 v1, 1
	buffer_wbl2 sc1
	s_waitcnt vmcnt(0) lgkmcnt(0)
	buffer_inv sc1
.LBB9_613:                              ;   in Loop: Header=BB9_491 Depth=2
	s_or_b64 exec, exec, s[24:25]
	s_andn2_saveexec_b64 s[24:25], s[26:27]
	s_cbranch_execz .LBB9_662
	s_branch .LBB9_644
.LBB9_614:                              ;   in Loop: Header=BB9_491 Depth=2
	v_ashrrev_i32_e32 v1, 31, v27
	v_lshrrev_b32_e32 v1, 21, v1
	v_add_u32_e32 v1, v27, v1
	v_ashrrev_i32_e32 v1, 11, v1
	v_sub_u32_e32 v14, v1, v46
	v_cmp_lt_i32_e32 vcc, 0, v14
	s_and_saveexec_b64 s[24:25], vcc
	s_cbranch_execz .LBB9_618
; %bb.615:                              ;   in Loop: Header=BB9_491 Depth=2
	v_mov_b32_e32 v0, v27
	s_trap 2
	ds_read_b128 v[8:11], v0
	ds_read_b64 v[24:25], v0
	v_accvgpr_read_b32 v26, a36
	v_accvgpr_read_b32 v27, a37
	s_mov_b64 s[26:27], 0
	s_waitcnt lgkmcnt(0)
	v_lshl_add_u64 v[4:5], v[8:9], 0, v[26:27]
	v_lshl_add_u64 v[8:9], v[10:11], 0, v[26:27]
	;; [unrolled: 1-line block ×3, first 2 shown]
.LBB9_616:                              ;   Parent Loop BB9_47 Depth=1
                                        ;     Parent Loop BB9_491 Depth=2
                                        ; =>    This Inner Loop Header: Depth=3
	global_load_dwordx4 v[28:31], v[8:9], off nt
	global_load_dwordx4 v[36:39], v[4:5], off nt
	global_load_dwordx4 v[48:51], v[4:5], off offset:1024 nt
	global_load_dwordx4 v[56:59], v[8:9], off offset:1024 nt
	v_sub_u32_e32 v14, v14, v34
	v_cmp_gt_i32_e32 vcc, 1, v14
	v_lshl_add_u64 v[4:5], v[4:5], 0, v[54:55]
	v_lshl_add_u64 v[8:9], v[8:9], 0, v[54:55]
	s_or_b64 s[26:27], vcc, s[26:27]
	s_waitcnt vmcnt(0)
	v_mul_f16_e32 v15, v36, v28
	v_mul_f16_sdwa v19, v36, v28 dst_sel:WORD_1 dst_unused:UNUSED_PAD src0_sel:WORD_1 src1_sel:WORD_1
	v_mul_f16_e32 v24, v37, v29
	v_mul_f16_sdwa v25, v37, v29 dst_sel:WORD_1 dst_unused:UNUSED_PAD src0_sel:WORD_1 src1_sel:WORD_1
	;; [unrolled: 2-line block ×8, first 2 shown]
	v_or_b32_e32 v29, v25, v24
	v_or_b32_e32 v28, v19, v15
	;; [unrolled: 1-line block ×8, first 2 shown]
	global_store_dwordx4 v[10:11], v[28:31], off nt
	global_store_dwordx4 v[10:11], v[36:39], off offset:1024 nt
	v_lshl_add_u64 v[10:11], v[10:11], 0, v[54:55]
	s_andn2_b64 exec, exec, s[26:27]
	s_cbranch_execnz .LBB9_616
; %bb.617:                              ;   in Loop: Header=BB9_491 Depth=2
	s_or_b64 exec, exec, s[26:27]
	v_accvgpr_read_b32 v57, a17
	v_accvgpr_read_b32 v59, a19
	v_accvgpr_read_b32 v51, a29
	v_accvgpr_read_b32 v28, a32
	v_accvgpr_read_b32 v56, a16
	v_accvgpr_read_b32 v58, a18
	v_accvgpr_read_b32 v50, a28
	v_accvgpr_read_b32 v29, a33
	v_mov_b32_e32 v48, 1
	v_accvgpr_read_b32 v26, a3
	v_mov_b32_e32 v27, v0
.LBB9_618:                              ;   in Loop: Header=BB9_491 Depth=2
	s_or_b64 exec, exec, s[24:25]
	v_lshlrev_b32_e32 v1, 11, v1
	v_cmp_ne_u32_e32 vcc, v27, v1
	s_mov_b64 s[24:25], 0
	v_mov_b32_e32 v19, 0
                                        ; implicit-def: $vgpr2
                                        ; implicit-def: $vgpr4
	s_and_saveexec_b64 s[26:27], vcc
	s_cbranch_execz .LBB9_626
; %bb.619:                              ;   in Loop: Header=BB9_491 Depth=2
	v_lshlrev_b32_e32 v4, 6, v14
	v_accvgpr_read_b32 v0, a31
	v_sub_u32_e32 v4, v0, v4
	v_ashrrev_i32_e32 v8, 31, v4
	v_lshrrev_b32_e32 v8, 26, v8
	v_add_u32_e32 v8, v4, v8
	v_sub_u32_e32 v5, v27, v1
	v_ashrrev_i32_e32 v9, 6, v8
	v_and_b32_e32 v8, 0xffffffc0, v8
	v_sub_u32_e32 v14, v4, v8
	v_ashrrev_i32_e32 v8, 31, v5
	v_lshrrev_b32_e32 v8, 22, v8
	v_add_u32_e32 v8, v5, v8
	v_and_b32_e32 v15, 0xfffffc00, v8
	v_lshlrev_b32_e32 v4, 4, v14
	v_sub_u32_e32 v30, v5, v15
	v_lshl_add_u32 v4, v9, 10, v4
	v_ashrrev_i32_e32 v10, 10, v8
	v_cmp_lt_i32_e32 vcc, 15, v30
	v_sub_u32_e32 v19, v5, v4
	s_nop 0
	v_addc_co_u32_e64 v5, s[24:25], 0, v10, vcc
	v_sub_u32_e32 v25, v5, v9
	v_cmp_lt_i32_e64 s[24:25], 15, v19
	s_and_saveexec_b64 s[28:29], s[24:25]
	s_cbranch_execz .LBB9_623
; %bb.620:                              ;   in Loop: Header=BB9_491 Depth=2
	v_mov_b32_e32 v0, v27
	s_trap 2
	ds_read_b128 v[8:11], v0
	ds_read_b64 v[26:27], v0
	v_add_u32_e32 v28, v4, v1
	v_ashrrev_i32_e32 v29, 31, v28
	s_mov_b64 s[60:61], 0
	s_waitcnt lgkmcnt(0)
	v_lshl_add_u64 v[4:5], v[8:9], 0, v[28:29]
	v_lshl_add_u64 v[8:9], v[10:11], 0, v[28:29]
	;; [unrolled: 1-line block ×3, first 2 shown]
.LBB9_621:                              ;   Parent Loop BB9_47 Depth=1
                                        ;     Parent Loop BB9_491 Depth=2
                                        ; =>    This Inner Loop Header: Depth=3
	global_load_dwordx4 v[36:39], v[4:5], off nt
	global_load_dwordx4 v[48:51], v[8:9], off nt
	v_sub_u32_e32 v19, v19, v47
	v_cmp_gt_i32_e64 s[24:25], 16, v19
	v_lshl_add_u64 v[4:5], v[4:5], 0, v[40:41]
	v_lshl_add_u64 v[8:9], v[8:9], 0, v[40:41]
	v_sub_u32_e32 v25, v25, v34
	s_or_b64 s[60:61], s[24:25], s[60:61]
	s_waitcnt vmcnt(0)
	v_mul_f16_e32 v24, v36, v48
	v_mul_f16_sdwa v26, v36, v48 dst_sel:WORD_1 dst_unused:UNUSED_PAD src0_sel:WORD_1 src1_sel:WORD_1
	v_mul_f16_e32 v27, v37, v49
	v_mul_f16_sdwa v28, v37, v49 dst_sel:WORD_1 dst_unused:UNUSED_PAD src0_sel:WORD_1 src1_sel:WORD_1
	;; [unrolled: 2-line block ×4, first 2 shown]
	v_or_b32_e32 v37, v28, v27
	v_or_b32_e32 v36, v26, v24
	v_or_b32_e32 v39, v39, v38
	v_or_b32_e32 v38, v31, v29
	global_store_dwordx4 v[10:11], v[36:39], off nt
	v_lshl_add_u64 v[10:11], v[10:11], 0, v[40:41]
	s_andn2_b64 exec, exec, s[60:61]
	s_cbranch_execnz .LBB9_621
; %bb.622:                              ;   in Loop: Header=BB9_491 Depth=2
	s_or_b64 exec, exec, s[60:61]
	v_accvgpr_read_b32 v51, a29
	v_accvgpr_read_b32 v28, a32
	;; [unrolled: 1-line block ×4, first 2 shown]
	v_mov_b32_e32 v48, 1
	v_accvgpr_read_b32 v26, a3
	v_mov_b32_e32 v27, v0
.LBB9_623:                              ;   in Loop: Header=BB9_491 Depth=2
	s_or_b64 exec, exec, s[28:29]
	v_and_b32_e32 v5, 14, v27
	v_cndmask_b32_e32 v27, v30, v5, vcc
	v_cmp_ne_u32_e64 s[24:25], 0, v27
	s_mov_b64 s[28:29], 0
	v_mov_b32_e32 v19, 0
                                        ; implicit-def: $vgpr2
                                        ; implicit-def: $vgpr4
	s_and_saveexec_b64 s[60:61], s[24:25]
	s_cbranch_execz .LBB9_625
; %bb.624:                              ;   in Loop: Header=BB9_491 Depth=2
	v_sub_u32_e32 v4, v30, v5
	v_cndmask_b32_e32 v4, 0, v4, vcc
	v_cmp_lt_i32_e32 vcc, 0, v25
	v_add3_u32 v19, v15, v1, v4
	s_mov_b64 s[28:29], exec
	v_cndmask_b32_e32 v1, 0, v34, vcc
	v_sub_u32_e32 v1, v1, v25
	v_lshl_add_u32 v2, v1, 6, v14
	v_ashrrev_i32_e32 v1, 31, v2
	v_lshrrev_b32_e32 v1, 26, v1
	v_add_u32_e32 v1, v2, v1
	v_ashrrev_i32_e32 v4, 6, v1
.LBB9_625:                              ;   in Loop: Header=BB9_491 Depth=2
	s_or_b64 exec, exec, s[60:61]
	s_and_b64 s[24:25], s[28:29], exec
.LBB9_626:                              ;   in Loop: Header=BB9_491 Depth=2
	s_or_b64 exec, exec, s[26:27]
	s_and_saveexec_b64 s[26:27], s[24:25]
	s_cbranch_execz .LBB9_609
.LBB9_627:                              ;   in Loop: Header=BB9_491 Depth=2
	v_ashrrev_i32_e32 v1, 31, v27
	v_lshrrev_b32_e32 v1, 22, v1
	v_add_u32_e32 v1, v27, v1
	v_ashrrev_i32_e32 v0, 10, v1
	v_sub_u32_e32 v1, v0, v4
	v_cmp_lt_i32_e32 vcc, 0, v1
	s_and_saveexec_b64 s[28:29], vcc
	s_cbranch_execz .LBB9_631
; %bb.628:                              ;   in Loop: Header=BB9_491 Depth=2
	v_ashrrev_i32_e32 v5, 31, v2
	v_lshrrev_b32_e32 v5, 26, v5
	v_add_u32_e32 v5, v2, v5
	v_and_b32_e32 v5, 0x7fffffc0, v5
	v_sub_u32_e32 v5, v2, v5
	s_trap 2
	v_lshlrev_b32_e32 v14, 1, v5
	ds_read_b128 v[8:11], v0
	v_lshlrev_b32_e32 v15, 10, v4
	ds_read_b64 v[4:5], v0
	v_add3_u32 v14, v14, v19, v15
	v_ashrrev_i32_e32 v15, 31, v14
	v_accvgpr_write_b32 a49, v0
	v_accvgpr_write_b32 a46, v27
	s_waitcnt lgkmcnt(0)
	v_lshl_add_u64 v[4:5], v[4:5], 0, s[52:53]
	v_accvgpr_write_b32 a24, v17
	v_accvgpr_write_b32 a48, v2
	;; [unrolled: 1-line block ×3, first 2 shown]
	v_lshl_add_u64 v[8:9], v[8:9], 0, v[14:15]
	v_lshl_add_u64 v[10:11], v[10:11], 0, v[14:15]
	;; [unrolled: 1-line block ×3, first 2 shown]
	s_mov_b64 s[60:61], 0
.LBB9_629:                              ;   Parent Loop BB9_47 Depth=1
                                        ;     Parent Loop BB9_491 Depth=2
                                        ; =>    This Inner Loop Header: Depth=3
	flat_load_ushort v31, v[8:9] nt
	flat_load_ushort v37, v[8:9] offset:128 nt
	flat_load_ushort v45, v[8:9] offset:256 nt
	flat_load_ushort v56, v[8:9] offset:384 nt
	flat_load_ushort v57, v[8:9] offset:512 nt
	flat_load_ushort v58, v[8:9] offset:640 nt
	flat_load_ushort v59, v[8:9] offset:768 nt
	flat_load_ushort v60, v[8:9] offset:896 nt
	flat_load_ushort v30, v[10:11] nt
	flat_load_ushort v61, v[10:11] offset:128 nt
	flat_load_ushort v0, v[10:11] offset:256 nt
	;; [unrolled: 1-line block ×7, first 2 shown]
	v_add_co_u32_e32 v4, vcc, s84, v14
	v_sub_u32_e32 v1, v1, v34
	s_nop 0
	v_addc_co_u32_e32 v5, vcc, -1, v15, vcc
	v_add_co_u32_e32 v24, vcc, s85, v14
	v_cmp_gt_i32_e64 s[24:25], 1, v1
	s_nop 0
	v_addc_co_u32_e32 v25, vcc, -1, v15, vcc
	v_add_co_u32_e32 v26, vcc, s86, v14
	v_lshl_add_u64 v[8:9], v[8:9], 0, v[40:41]
	s_nop 0
	v_addc_co_u32_e32 v27, vcc, -1, v15, vcc
	v_add_co_u32_e32 v28, vcc, 0xfffffe00, v14
	v_lshl_add_u64 v[10:11], v[10:11], 0, v[40:41]
	s_nop 0
	v_addc_co_u32_e32 v29, vcc, -1, v15, vcc
	v_add_co_u32_e32 v38, vcc, 0xfffffe80, v14
	s_or_b64 s[60:61], s[24:25], s[60:61]
	s_nop 0
	v_addc_co_u32_e32 v39, vcc, -1, v15, vcc
	v_add_co_u32_e32 v48, vcc, 0xffffff00, v14
	s_waitcnt vmcnt(0) lgkmcnt(0)
	v_mul_f16_e32 v30, v31, v30
	v_addc_co_u32_e32 v49, vcc, -1, v15, vcc
	v_add_co_u32_e32 v50, vcc, 0xffffff80, v14
	v_mul_f16_e32 v31, v37, v61
	s_nop 0
	v_addc_co_u32_e32 v51, vcc, -1, v15, vcc
	v_mul_f16_e32 v0, v45, v0
	v_mul_f16_e32 v19, v56, v19
	;; [unrolled: 1-line block ×6, first 2 shown]
	flat_store_short v[4:5], v30 nt
	flat_store_short v[24:25], v31 nt
	;; [unrolled: 1-line block ×8, first 2 shown]
	v_lshl_add_u64 v[14:15], v[14:15], 0, v[40:41]
	s_andn2_b64 exec, exec, s[60:61]
	s_cbranch_execnz .LBB9_629
; %bb.630:                              ;   in Loop: Header=BB9_491 Depth=2
	s_or_b64 exec, exec, s[60:61]
	v_accvgpr_read_b32 v45, a13
	v_accvgpr_read_b32 v57, a17
	;; [unrolled: 1-line block ×14, first 2 shown]
	v_mov_b32_e32 v48, 1
	v_accvgpr_read_b32 v26, a3
	v_accvgpr_read_b32 v17, a24
	;; [unrolled: 1-line block ×6, first 2 shown]
.LBB9_631:                              ;   in Loop: Header=BB9_491 Depth=2
	s_or_b64 exec, exec, s[28:29]
	v_lshlrev_b32_e32 v4, 10, v0
	v_cmp_ne_u32_e32 vcc, v27, v4
	s_and_saveexec_b64 s[24:25], vcc
	s_cbranch_execz .LBB9_635
; %bb.632:                              ;   in Loop: Header=BB9_491 Depth=2
	v_ashrrev_i32_e32 v0, 31, v2
	v_lshrrev_b32_e32 v0, 26, v0
	v_add_u32_e32 v0, v2, v0
	v_and_b32_e32 v0, 0xffffffc0, v0
	v_sub_u32_e32 v0, v2, v0
	v_lshlrev_b32_e32 v1, 6, v1
	v_sub_u32_e32 v0, v0, v1
	v_ashrrev_i32_e32 v1, 31, v0
	v_lshrrev_b32_e32 v1, 26, v1
	v_add_u32_e32 v1, v0, v1
	v_and_b32_e32 v2, 0x7fffffc0, v1
	v_sub_u32_e32 v0, v0, v2
	v_lshlrev_b32_e32 v1, 1, v1
	v_and_b32_e32 v1, 0xffffff80, v1
	v_lshlrev_b32_e32 v0, 1, v0
	v_add3_u32 v4, v1, v0, v4
	v_sub_u32_e32 v1, v27, v4
	v_cmp_lt_i32_e32 vcc, 1, v1
	s_and_b64 exec, exec, vcc
	s_cbranch_execz .LBB9_635
; %bb.633:                              ;   in Loop: Header=BB9_491 Depth=2
	s_trap 2
	ds_read_b128 v[8:11], v0
	ds_read_b64 v[14:15], v0
	v_add_u32_e32 v24, v4, v19
	v_ashrrev_i32_e32 v25, 31, v24
	s_mov_b64 s[28:29], 0
	s_waitcnt lgkmcnt(0)
	v_lshl_add_u64 v[4:5], v[8:9], 0, v[24:25]
	v_lshl_add_u64 v[8:9], v[10:11], 0, v[24:25]
	;; [unrolled: 1-line block ×3, first 2 shown]
.LBB9_634:                              ;   Parent Loop BB9_47 Depth=1
                                        ;     Parent Loop BB9_491 Depth=2
                                        ; =>    This Inner Loop Header: Depth=3
	flat_load_ushort v0, v[4:5] nt
	flat_load_ushort v2, v[8:9] nt
	v_sub_u32_e32 v1, v1, v61
	v_cmp_gt_i32_e32 vcc, 2, v1
	v_lshl_add_u64 v[4:5], v[4:5], 0, v[42:43]
	v_lshl_add_u64 v[8:9], v[8:9], 0, v[42:43]
	s_or_b64 s[28:29], vcc, s[28:29]
	s_waitcnt vmcnt(0) lgkmcnt(0)
	v_mul_f16_e32 v0, v0, v2
	flat_store_short v[10:11], v0 nt
	v_lshl_add_u64 v[10:11], v[10:11], 0, v[42:43]
	s_andn2_b64 exec, exec, s[28:29]
	s_cbranch_execnz .LBB9_634
.LBB9_635:                              ;   in Loop: Header=BB9_491 Depth=2
	s_or_b64 exec, exec, s[24:25]
	s_or_b64 exec, exec, s[26:27]
	s_and_saveexec_b64 s[24:25], s[4:5]
	s_cbranch_execnz .LBB9_565
	s_branch .LBB9_610
.LBB9_636:                              ;   in Loop: Header=BB9_491 Depth=2
	s_or_b64 exec, exec, s[62:63]
	s_and_saveexec_b64 vcc, s[64:65]
	s_xor_b64 vcc, exec, vcc
	s_cbranch_execz .LBB9_638
; %bb.637:                              ;   in Loop: Header=BB9_491 Depth=2
	ds_write_b32 v0, v48
	s_trap 2
.LBB9_638:                              ;   in Loop: Header=BB9_491 Depth=2
	s_or_b64 exec, exec, s[60:61]
	;;#ASMSTART
	s_wakeup
	;;#ASMEND
.LBB9_639:                              ;   in Loop: Header=BB9_491 Depth=2
	s_or_b64 exec, exec, s[28:29]
.LBB9_640:                              ;   in Loop: Header=BB9_491 Depth=2
	s_andn2_saveexec_b64 s[26:27], s[26:27]
	s_cbranch_execz .LBB9_642
; %bb.641:                              ;   in Loop: Header=BB9_491 Depth=2
	s_waitcnt lgkmcnt(0)
	s_barrier
.LBB9_642:                              ;   in Loop: Header=BB9_491 Depth=2
	s_or_b64 exec, exec, s[26:27]
	s_or_b64 exec, exec, s[24:25]
                                        ; implicit-def: $vgpr1
	s_and_saveexec_b64 s[24:25], s[20:21]
	s_xor_b64 s[26:27], exec, s[24:25]
	s_cbranch_execnz .LBB9_611
.LBB9_643:                              ;   in Loop: Header=BB9_491 Depth=2
	s_andn2_saveexec_b64 s[24:25], s[26:27]
	s_cbranch_execz .LBB9_662
.LBB9_644:                              ;   in Loop: Header=BB9_491 Depth=2
	s_and_saveexec_b64 s[26:27], s[38:39]
	s_xor_b64 s[26:27], exec, s[26:27]
	s_cbranch_execz .LBB9_659
; %bb.645:                              ;   in Loop: Header=BB9_491 Depth=2
	s_and_saveexec_b64 s[28:29], s[12:13]
	s_cbranch_execz .LBB9_658
; %bb.646:                              ;   in Loop: Header=BB9_491 Depth=2
	s_mov_b64 s[62:63], exec
	v_mbcnt_lo_u32_b32 v0, s62, 0
	v_mbcnt_hi_u32_b32 v0, s63, v0
	v_cmp_eq_u32_e32 vcc, 0, v0
	;;#ASMSTART
	s_waitcnt lgkmcnt(0) vmcnt(0)
	;;#ASMEND
	s_and_saveexec_b64 s[60:61], vcc
	s_cbranch_execz .LBB9_648
; %bb.647:                              ;   in Loop: Header=BB9_491 Depth=2
	s_bcnt1_i32_b64 vcc_lo, s[62:63]
	v_mov_b32_e32 v2, vcc_lo
	ds_add_u64 v0, v[2:3]
	s_trap 2
.LBB9_648:                              ;   in Loop: Header=BB9_491 Depth=2
	s_or_b64 exec, exec, s[60:61]
	s_trap 2
	ds_read_b64 v[4:5], v0
	v_lshl_add_u64 v[12:13], v[12:13], 0, v[34:35]
	s_waitcnt lgkmcnt(0)
	v_cmp_lt_u64_e32 vcc, v[4:5], v[12:13]
	s_and_saveexec_b64 s[60:61], vcc
	s_cbranch_execz .LBB9_657
; %bb.649:                              ;   in Loop: Header=BB9_491 Depth=2
	s_mov_b32 s88, 0
	s_mov_b64 s[62:63], 0
                                        ; implicit-def: $sgpr64_sgpr65
                                        ; implicit-def: $sgpr66_sgpr67
	s_branch .LBB9_651
.LBB9_650:                              ;   in Loop: Header=BB9_651 Depth=3
	s_or_b64 exec, exec, s[70:71]
	s_and_b64 vcc, exec, vcc
	s_or_b64 s[62:63], vcc, s[62:63]
	s_andn2_b64 vcc, s[64:65], exec
	s_and_b64 s[64:65], s[66:67], exec
	s_or_b64 s[64:65], vcc, s[64:65]
	s_andn2_b64 exec, exec, s[62:63]
	s_cbranch_execz .LBB9_655
.LBB9_651:                              ;   Parent Loop BB9_47 Depth=1
                                        ;     Parent Loop BB9_491 Depth=2
                                        ; =>    This Inner Loop Header: Depth=3
	s_add_i32 s88, s88, 1
	s_cmpk_lg_i32 s88, 0x2710
	s_cselect_b64 s[68:69], -1, 0
	s_and_b64 vcc, exec, s[68:69]
                                        ; implicit-def: $sgpr70_sgpr71
	s_cbranch_vccnz .LBB9_653
; %bb.652:                              ;   in Loop: Header=BB9_651 Depth=3
	s_trap 2
	ds_read_b64 v[4:5], v0
	s_andn2_b64 s[68:69], s[68:69], exec
	s_mov_b32 s88, 0
	s_mov_b64 s[70:71], -1
	s_waitcnt vmcnt(0) lgkmcnt(0)
	flat_load_dword v0, v[4:5] sc0 sc1
	s_waitcnt vmcnt(0) lgkmcnt(0)
	buffer_inv sc0 sc1
	v_cmp_eq_u32_e32 vcc, 0, v0
	s_and_b64 vcc, vcc, exec
	s_or_b64 s[68:69], s[68:69], vcc
.LBB9_653:                              ;   in Loop: Header=BB9_651 Depth=3
	s_andn2_b64 s[66:67], s[66:67], exec
	s_and_b64 s[70:71], s[70:71], exec
	s_mov_b64 vcc, -1
	s_or_b64 s[66:67], s[66:67], s[70:71]
	s_and_saveexec_b64 s[70:71], s[68:69]
	s_cbranch_execz .LBB9_650
; %bb.654:                              ;   in Loop: Header=BB9_651 Depth=3
	s_sleep 1
	s_trap 2
	ds_read_b64 v[4:5], v0
	s_andn2_b64 s[66:67], s[66:67], exec
	s_waitcnt lgkmcnt(0)
	v_cmp_ge_u64_e32 vcc, v[4:5], v[12:13]
	s_orn2_b64 vcc, vcc, exec
	s_branch .LBB9_650
.LBB9_655:                              ;   in Loop: Header=BB9_491 Depth=2
	s_or_b64 exec, exec, s[62:63]
	s_and_saveexec_b64 vcc, s[64:65]
	s_xor_b64 vcc, exec, vcc
	s_cbranch_execz .LBB9_657
; %bb.656:                              ;   in Loop: Header=BB9_491 Depth=2
	ds_write_b32 v0, v48
	s_trap 2
.LBB9_657:                              ;   in Loop: Header=BB9_491 Depth=2
	s_or_b64 exec, exec, s[60:61]
	;;#ASMSTART
	s_wakeup
	;;#ASMEND
.LBB9_658:                              ;   in Loop: Header=BB9_491 Depth=2
	s_or_b64 exec, exec, s[28:29]
.LBB9_659:                              ;   in Loop: Header=BB9_491 Depth=2
	s_andn2_saveexec_b64 s[26:27], s[26:27]
	s_cbranch_execz .LBB9_661
; %bb.660:                              ;   in Loop: Header=BB9_491 Depth=2
	;;#ASMSTART
	s_waitcnt lgkmcnt(0) vmcnt(0)
	;;#ASMEND
	s_barrier
.LBB9_661:                              ;   in Loop: Header=BB9_491 Depth=2
	s_or_b64 exec, exec, s[26:27]
	v_and_b32_e32 v1, 16, v62
.LBB9_662:                              ;   in Loop: Header=BB9_491 Depth=2
	s_or_b64 exec, exec, s[24:25]
	v_cmp_ne_u32_e32 vcc, 0, v1
	s_xor_b64 s[24:25], s[6:7], -1
	s_and_b64 s[26:27], vcc, s[24:25]
	s_and_saveexec_b64 s[24:25], s[26:27]
	s_cbranch_execz .LBB9_664
; %bb.663:                              ;   in Loop: Header=BB9_491 Depth=2
	flat_store_dword v[58:59], v48 sc0 sc1
.LBB9_664:                              ;   in Loop: Header=BB9_491 Depth=2
	s_or_b64 exec, exec, s[24:25]
	v_and_b32_e32 v0, 48, v62
	v_cmp_ne_u32_e32 vcc, 0, v0
	s_and_saveexec_b64 s[24:25], vcc
	s_cbranch_execz .LBB9_490
; %bb.665:                              ;   in Loop: Header=BB9_491 Depth=2
	v_lshl_add_u64 v[20:21], v[20:21], 0, 2
	flat_store_dwordx2 v[22:23], v[20:21] sc0 sc1
	s_branch .LBB9_490
.LBB9_666:                              ;   in Loop: Header=BB9_47 Depth=1
	s_or_b64 exec, exec, s[54:55]
	v_cmp_gt_i32_e32 vcc, 2, v1
	s_and_saveexec_b64 s[26:27], vcc
	s_cbranch_execz .LBB9_740
.LBB9_667:                              ;   in Loop: Header=BB9_47 Depth=1
	v_cmp_eq_u32_e64 s[24:25], 0, v1
	s_mov_b64 s[28:29], 0
	s_branch .LBB9_669
.LBB9_668:                              ;   in Loop: Header=BB9_669 Depth=2
	s_or_b64 exec, exec, s[24:25]
	v_add_u32_e32 v18, v16, v18
	s_mov_b64 s[24:25], 0
	s_andn2_b64 exec, exec, s[28:29]
	s_cbranch_execz .LBB9_741
.LBB9_669:                              ;   Parent Loop BB9_47 Depth=1
                                        ; =>  This Loop Header: Depth=2
                                        ;       Child Loop BB9_675 Depth 3
                                        ;       Child Loop BB9_705 Depth 3
	;; [unrolled: 1-line block ×3, first 2 shown]
	v_and_b32_e32 v0, 12, v62
	s_mov_b64 s[56:57], -1
	v_cmp_ne_u32_e32 vcc, 0, v0
	s_and_saveexec_b64 s[54:55], vcc
	s_cbranch_execz .LBB9_681
; %bb.670:                              ;   in Loop: Header=BB9_669 Depth=2
	v_and_b32_e32 v2, 8, v62
	v_lshl_add_u64 v[8:9], v[32:33], 0, v[2:3]
	v_lshl_add_u64 v[4:5], v[20:21], 0, 2
	v_cmp_lt_u64_e32 vcc, v[8:9], v[4:5]
	v_mov_b32_e32 v1, 1
	s_and_saveexec_b64 s[56:57], vcc
	s_cbranch_execz .LBB9_680
; %bb.671:                              ;   in Loop: Header=BB9_669 Depth=2
	s_mov_b64 s[58:59], 0
	v_mov_b32_e32 v1, 0
                                        ; implicit-def: $sgpr60_sgpr61
	s_branch .LBB9_675
.LBB9_672:                              ;   in Loop: Header=BB9_675 Depth=3
	s_or_b64 exec, exec, s[68:69]
	v_mov_b32_e32 v8, 0
	s_orn2_b64 s[66:67], s[66:67], exec
.LBB9_673:                              ;   in Loop: Header=BB9_675 Depth=3
	s_or_b64 exec, exec, s[64:65]
	s_andn2_b64 vcc, s[60:61], exec
	s_and_b64 s[60:61], s[66:67], exec
	s_or_b64 s[60:61], vcc, s[60:61]
	v_mov_b32_e32 v1, v8
.LBB9_674:                              ;   in Loop: Header=BB9_675 Depth=3
	s_or_b64 exec, exec, s[62:63]
	s_waitcnt vmcnt(0) lgkmcnt(0)
	v_lshl_add_u64 v[8:9], v[32:33], 0, v[2:3]
	v_cmp_ge_u64_e32 vcc, v[8:9], v[4:5]
	s_xor_b64 s[62:63], s[60:61], -1
	s_or_b64 vcc, s[62:63], vcc
	s_and_b64 vcc, exec, vcc
	s_or_b64 s[58:59], vcc, s[58:59]
	s_andn2_b64 exec, exec, s[58:59]
	s_cbranch_execz .LBB9_679
.LBB9_675:                              ;   Parent Loop BB9_47 Depth=1
                                        ;     Parent Loop BB9_669 Depth=2
                                        ; =>    This Inner Loop Header: Depth=3
	s_sleep 1
	flat_load_dwordx2 v[32:33], v[22:23] sc0 sc1
	v_and_b32_e32 v0, 64, v62
	v_cmp_eq_u32_e32 vcc, 0, v0
	s_andn2_b64 s[60:61], s[60:61], exec
	s_and_saveexec_b64 s[62:63], vcc
	s_cbranch_execz .LBB9_674
; %bb.676:                              ;   in Loop: Header=BB9_675 Depth=3
	v_add_u32_e32 v8, 1, v1
	v_cmp_lt_i32_e32 vcc, s82, v1
	s_mov_b64 s[66:67], -1
	s_and_saveexec_b64 s[64:65], vcc
	s_cbranch_execz .LBB9_673
; %bb.677:                              ;   in Loop: Header=BB9_675 Depth=3
	s_trap 2
	ds_read_b64 v[8:9], v0
	s_waitcnt vmcnt(0) lgkmcnt(0)
	flat_load_dword v1, v[8:9] sc0 sc1
	s_waitcnt vmcnt(0) lgkmcnt(0)
	buffer_inv sc0 sc1
	v_cmp_ne_u32_e32 vcc, 0, v1
	s_and_saveexec_b64 s[68:69], vcc
	s_cbranch_execz .LBB9_672
; %bb.678:                              ;   in Loop: Header=BB9_675 Depth=3
	v_or_b32_e32 v62, 64, v62
	s_xor_b64 s[66:67], exec, -1
	ds_write_b32 v0, v1
	s_trap 2
	s_branch .LBB9_672
.LBB9_679:                              ;   in Loop: Header=BB9_669 Depth=2
	s_or_b64 exec, exec, s[58:59]
	v_and_b32_e32 v1, 12, v62
.LBB9_680:                              ;   in Loop: Header=BB9_669 Depth=2
	s_or_b64 exec, exec, s[56:57]
	v_cmp_eq_u32_e32 vcc, 0, v1
	s_orn2_b64 s[56:57], vcc, exec
	;;#ASMSTART
	s_wakeup
	;;#ASMEND
.LBB9_681:                              ;   in Loop: Header=BB9_669 Depth=2
	s_or_b64 exec, exec, s[54:55]
	s_xor_b64 s[24:25], s[24:25], -1
	s_and_b64 s[24:25], exec, s[24:25]
	s_or_b64 s[28:29], s[24:25], s[28:29]
	v_sub_u32_e32 v0, v26, v18
	s_xor_b64 s[24:25], s[56:57], -1
	v_min_i32_e32 v16, v16, v0
	s_and_saveexec_b64 s[54:55], s[24:25]
	s_cbranch_execz .LBB9_697
; %bb.682:                              ;   in Loop: Header=BB9_669 Depth=2
	v_and_b32_e32 v0, 0x108, v62
	v_cmp_ne_u32_e32 vcc, s83, v0
	v_and_b32_e32 v2, 7, v20
	s_and_saveexec_b64 s[24:25], vcc
	s_xor_b64 s[24:25], exec, s[24:25]
	s_andn2_saveexec_b64 s[24:25], s[24:25]
	s_cbranch_execz .LBB9_684
; %bb.683:                              ;   in Loop: Header=BB9_669 Depth=2
	v_ashrrev_i32_e32 v17, 31, v16
	v_mad_u64_u32 v[4:5], vcc, v2, 24, v[44:45]
	v_lshlrev_b64 v[8:9], 1, v[16:17]
	flat_store_dwordx2 v[4:5], v[8:9] offset:8
.LBB9_684:                              ;   in Loop: Header=BB9_669 Depth=2
	s_or_b64 exec, exec, s[24:25]
	v_and_b32_e32 v0, 0x100, v62
	v_cmp_ne_u32_e32 vcc, 0, v0
	s_mov_b64 s[24:25], -1
                                        ; implicit-def: $vgpr4_vgpr5
	s_and_saveexec_b64 s[56:57], vcc
	s_cbranch_execz .LBB9_688
; %bb.685:                              ;   in Loop: Header=BB9_669 Depth=2
	v_mad_u64_u32 v[8:9], s[24:25], v2, 24, v[44:45]
	v_mov_b32_e32 v4, v9
	v_mad_u64_u32 v[4:5], s[24:25], v3, 24, v[4:5]
	v_mov_b32_e32 v9, v4
	flat_load_dword v0, v[8:9]
                                        ; implicit-def: $vgpr4_vgpr5
	s_waitcnt vmcnt(0) lgkmcnt(0)
	v_cmp_ne_u32_e32 vcc, 1, v0
	v_cmp_eq_u32_e64 s[24:25], 1, v0
	s_and_saveexec_b64 s[58:59], s[24:25]
	s_cbranch_execz .LBB9_687
; %bb.686:                              ;   in Loop: Header=BB9_669 Depth=2
	flat_load_dword v4, v[8:9] offset:4 sc0 sc1
	s_waitcnt vmcnt(0) lgkmcnt(0)
	v_ashrrev_i32_e32 v5, 31, v4
	v_lshrrev_b64 v[4:5], 1, v[4:5]
.LBB9_687:                              ;   in Loop: Header=BB9_669 Depth=2
	s_or_b64 exec, exec, s[58:59]
	s_orn2_b64 s[24:25], vcc, exec
.LBB9_688:                              ;   in Loop: Header=BB9_669 Depth=2
	s_or_b64 exec, exec, s[56:57]
	s_and_saveexec_b64 vcc, s[24:25]
; %bb.689:                              ;   in Loop: Header=BB9_669 Depth=2
	v_mul_lo_u32 v0, v3, v60
	v_mul_lo_u32 v1, v2, v53
	v_mad_u64_u32 v[4:5], s[24:25], v2, v60, 0
	v_add3_u32 v5, v5, v1, v0
; %bb.690:                              ;   in Loop: Header=BB9_669 Depth=2
	s_or_b64 exec, exec, vcc
	v_lshl_add_u64 v[4:5], v[4:5], 1, v[56:57]
	s_trap 2
	ds_write_b64 v0, v[4:5]
	v_and_b32_e32 v0, 0x2000, v62
	v_cmp_ne_u32_e32 vcc, 0, v0
	s_and_saveexec_b64 s[24:25], vcc
	s_cbranch_execz .LBB9_692
; %bb.691:                              ;   in Loop: Header=BB9_669 Depth=2
	ds_read_b64 v[4:5], v0 offset:584
	s_waitcnt lgkmcnt(0)
	v_lshl_add_u64 v[4:5], v[4:5], 0, 1
	ds_write_b64 v0, v[4:5] offset:584
.LBB9_692:                              ;   in Loop: Header=BB9_669 Depth=2
	s_or_b64 exec, exec, s[24:25]
	v_lshl_add_u64 v[20:21], v[20:21], 0, 2
	s_or_b64 exec, exec, s[54:55]
	s_and_saveexec_b64 s[24:25], s[4:5]
	s_cbranch_execnz .LBB9_698
.LBB9_693:                              ;   in Loop: Header=BB9_669 Depth=2
	s_or_b64 exec, exec, s[24:25]
                                        ; implicit-def: $vgpr1
	s_and_saveexec_b64 s[24:25], s[20:21]
	s_xor_b64 s[24:25], exec, s[24:25]
	s_cbranch_execz .LBB9_716
.LBB9_694:                              ;   in Loop: Header=BB9_669 Depth=2
	s_trap 2
	ds_read_b32 v0, v0
	v_cmp_lt_i32_e32 vcc, 0, v16
	v_and_b32_e32 v2, 16, v62
	v_and_b32_e32 v1, 16, v62
	s_waitcnt lgkmcnt(0)
	v_readfirstlane_b32 s54, v0
	s_cmp_eq_u32 s54, 0
	s_cselect_b64 s[54:55], -1, 0
	s_and_b64 s[54:55], vcc, s[54:55]
	v_cmp_ne_u32_e32 vcc, 0, v2
	s_and_b64 s[54:55], vcc, s[54:55]
	s_and_saveexec_b64 vcc, s[54:55]
	s_cbranch_execz .LBB9_696
; %bb.695:                              ;   in Loop: Header=BB9_669 Depth=2
	v_mov_b32_e32 v1, 1
	buffer_wbl2 sc1
	s_waitcnt vmcnt(0)
	buffer_inv sc1
.LBB9_696:                              ;   in Loop: Header=BB9_669 Depth=2
	s_or_b64 exec, exec, vcc
	s_andn2_saveexec_b64 s[24:25], s[24:25]
	s_cbranch_execz .LBB9_735
	s_branch .LBB9_717
.LBB9_697:                              ;   in Loop: Header=BB9_669 Depth=2
	s_or_b64 exec, exec, s[54:55]
	s_and_saveexec_b64 s[24:25], s[4:5]
	s_cbranch_execz .LBB9_693
.LBB9_698:                              ;   in Loop: Header=BB9_669 Depth=2
	s_and_saveexec_b64 vcc, s[38:39]
	s_xor_b64 s[54:55], exec, vcc
	s_cbranch_execz .LBB9_713
; %bb.699:                              ;   in Loop: Header=BB9_669 Depth=2
	s_and_saveexec_b64 s[56:57], s[12:13]
	s_cbranch_execz .LBB9_712
; %bb.700:                              ;   in Loop: Header=BB9_669 Depth=2
	s_mov_b64 s[60:61], exec
	v_mbcnt_lo_u32_b32 v0, s60, 0
	v_mbcnt_hi_u32_b32 v0, s61, v0
	v_cmp_eq_u32_e32 vcc, 0, v0
	s_waitcnt lgkmcnt(0)
	s_and_saveexec_b64 s[58:59], vcc
	s_cbranch_execz .LBB9_702
; %bb.701:                              ;   in Loop: Header=BB9_669 Depth=2
	s_bcnt1_i32_b64 vcc_lo, s[60:61]
	v_mov_b32_e32 v2, vcc_lo
	ds_add_u64 v0, v[2:3]
	s_trap 2
.LBB9_702:                              ;   in Loop: Header=BB9_669 Depth=2
	s_or_b64 exec, exec, s[58:59]
	s_trap 2
	ds_read_b64 v[4:5], v0
	v_lshl_add_u64 v[12:13], v[12:13], 0, v[34:35]
	s_waitcnt lgkmcnt(0)
	v_cmp_lt_u64_e32 vcc, v[4:5], v[12:13]
	s_and_saveexec_b64 s[58:59], vcc
	s_cbranch_execz .LBB9_711
; %bb.703:                              ;   in Loop: Header=BB9_669 Depth=2
	s_mov_b32 s70, 0
	s_mov_b64 s[60:61], 0
                                        ; implicit-def: $sgpr62_sgpr63
                                        ; implicit-def: $sgpr64_sgpr65
	s_branch .LBB9_705
.LBB9_704:                              ;   in Loop: Header=BB9_705 Depth=3
	s_or_b64 exec, exec, s[68:69]
	s_and_b64 vcc, exec, vcc
	s_or_b64 s[60:61], vcc, s[60:61]
	s_andn2_b64 vcc, s[62:63], exec
	s_and_b64 s[62:63], s[64:65], exec
	s_or_b64 s[62:63], vcc, s[62:63]
	s_andn2_b64 exec, exec, s[60:61]
	s_cbranch_execz .LBB9_709
.LBB9_705:                              ;   Parent Loop BB9_47 Depth=1
                                        ;     Parent Loop BB9_669 Depth=2
                                        ; =>    This Inner Loop Header: Depth=3
	s_add_i32 s70, s70, 1
	s_cmpk_lg_i32 s70, 0x2710
	s_cselect_b64 s[66:67], -1, 0
	s_and_b64 vcc, exec, s[66:67]
                                        ; implicit-def: $sgpr68_sgpr69
	s_cbranch_vccnz .LBB9_707
; %bb.706:                              ;   in Loop: Header=BB9_705 Depth=3
	s_trap 2
	ds_read_b64 v[4:5], v0
	s_andn2_b64 s[66:67], s[66:67], exec
	s_mov_b32 s70, 0
	s_mov_b64 s[68:69], -1
	s_waitcnt vmcnt(0) lgkmcnt(0)
	flat_load_dword v0, v[4:5] sc0 sc1
	s_waitcnt vmcnt(0) lgkmcnt(0)
	buffer_inv sc0 sc1
	v_cmp_eq_u32_e32 vcc, 0, v0
	s_and_b64 vcc, vcc, exec
	s_or_b64 s[66:67], s[66:67], vcc
.LBB9_707:                              ;   in Loop: Header=BB9_705 Depth=3
	s_andn2_b64 s[64:65], s[64:65], exec
	s_and_b64 s[68:69], s[68:69], exec
	s_mov_b64 vcc, -1
	s_or_b64 s[64:65], s[64:65], s[68:69]
	s_and_saveexec_b64 s[68:69], s[66:67]
	s_cbranch_execz .LBB9_704
; %bb.708:                              ;   in Loop: Header=BB9_705 Depth=3
	s_sleep 1
	s_trap 2
	ds_read_b64 v[4:5], v0
	s_andn2_b64 s[64:65], s[64:65], exec
	s_waitcnt lgkmcnt(0)
	v_cmp_ge_u64_e32 vcc, v[4:5], v[12:13]
	s_orn2_b64 vcc, vcc, exec
	s_branch .LBB9_704
.LBB9_709:                              ;   in Loop: Header=BB9_669 Depth=2
	s_or_b64 exec, exec, s[60:61]
	s_and_saveexec_b64 vcc, s[62:63]
	s_xor_b64 vcc, exec, vcc
	s_cbranch_execz .LBB9_711
; %bb.710:                              ;   in Loop: Header=BB9_669 Depth=2
	ds_write_b32 v0, v48
	s_trap 2
.LBB9_711:                              ;   in Loop: Header=BB9_669 Depth=2
	s_or_b64 exec, exec, s[58:59]
	;;#ASMSTART
	s_wakeup
	;;#ASMEND
.LBB9_712:                              ;   in Loop: Header=BB9_669 Depth=2
	s_or_b64 exec, exec, s[56:57]
.LBB9_713:                              ;   in Loop: Header=BB9_669 Depth=2
	s_andn2_saveexec_b64 vcc, s[54:55]
	s_cbranch_execz .LBB9_715
; %bb.714:                              ;   in Loop: Header=BB9_669 Depth=2
	s_waitcnt lgkmcnt(0)
	s_barrier
.LBB9_715:                              ;   in Loop: Header=BB9_669 Depth=2
	s_or_b64 exec, exec, vcc
	s_or_b64 exec, exec, s[24:25]
                                        ; implicit-def: $vgpr1
	s_and_saveexec_b64 s[24:25], s[20:21]
	s_xor_b64 s[24:25], exec, s[24:25]
	s_cbranch_execnz .LBB9_694
.LBB9_716:                              ;   in Loop: Header=BB9_669 Depth=2
	s_andn2_saveexec_b64 s[24:25], s[24:25]
	s_cbranch_execz .LBB9_735
.LBB9_717:                              ;   in Loop: Header=BB9_669 Depth=2
	s_and_saveexec_b64 vcc, s[38:39]
	s_xor_b64 s[54:55], exec, vcc
	s_cbranch_execz .LBB9_732
; %bb.718:                              ;   in Loop: Header=BB9_669 Depth=2
	s_and_saveexec_b64 s[56:57], s[12:13]
	s_cbranch_execz .LBB9_731
; %bb.719:                              ;   in Loop: Header=BB9_669 Depth=2
	s_mov_b64 s[60:61], exec
	v_mbcnt_lo_u32_b32 v0, s60, 0
	v_mbcnt_hi_u32_b32 v0, s61, v0
	v_cmp_eq_u32_e32 vcc, 0, v0
	;;#ASMSTART
	s_waitcnt lgkmcnt(0) vmcnt(0)
	;;#ASMEND
	s_and_saveexec_b64 s[58:59], vcc
	s_cbranch_execz .LBB9_721
; %bb.720:                              ;   in Loop: Header=BB9_669 Depth=2
	s_bcnt1_i32_b64 vcc_lo, s[60:61]
	v_mov_b32_e32 v2, vcc_lo
	ds_add_u64 v0, v[2:3]
	s_trap 2
.LBB9_721:                              ;   in Loop: Header=BB9_669 Depth=2
	s_or_b64 exec, exec, s[58:59]
	s_trap 2
	ds_read_b64 v[4:5], v0
	v_lshl_add_u64 v[12:13], v[12:13], 0, v[34:35]
	s_waitcnt lgkmcnt(0)
	v_cmp_lt_u64_e32 vcc, v[4:5], v[12:13]
	s_and_saveexec_b64 s[58:59], vcc
	s_cbranch_execz .LBB9_730
; %bb.722:                              ;   in Loop: Header=BB9_669 Depth=2
	s_mov_b32 s70, 0
	s_mov_b64 s[60:61], 0
                                        ; implicit-def: $sgpr62_sgpr63
                                        ; implicit-def: $sgpr64_sgpr65
	s_branch .LBB9_724
.LBB9_723:                              ;   in Loop: Header=BB9_724 Depth=3
	s_or_b64 exec, exec, s[68:69]
	s_and_b64 vcc, exec, vcc
	s_or_b64 s[60:61], vcc, s[60:61]
	s_andn2_b64 vcc, s[62:63], exec
	s_and_b64 s[62:63], s[64:65], exec
	s_or_b64 s[62:63], vcc, s[62:63]
	s_andn2_b64 exec, exec, s[60:61]
	s_cbranch_execz .LBB9_728
.LBB9_724:                              ;   Parent Loop BB9_47 Depth=1
                                        ;     Parent Loop BB9_669 Depth=2
                                        ; =>    This Inner Loop Header: Depth=3
	s_add_i32 s70, s70, 1
	s_cmpk_lg_i32 s70, 0x2710
	s_cselect_b64 s[66:67], -1, 0
	s_and_b64 vcc, exec, s[66:67]
                                        ; implicit-def: $sgpr68_sgpr69
	s_cbranch_vccnz .LBB9_726
; %bb.725:                              ;   in Loop: Header=BB9_724 Depth=3
	s_trap 2
	ds_read_b64 v[4:5], v0
	s_andn2_b64 s[66:67], s[66:67], exec
	s_mov_b32 s70, 0
	s_mov_b64 s[68:69], -1
	s_waitcnt vmcnt(0) lgkmcnt(0)
	flat_load_dword v0, v[4:5] sc0 sc1
	s_waitcnt vmcnt(0) lgkmcnt(0)
	buffer_inv sc0 sc1
	v_cmp_eq_u32_e32 vcc, 0, v0
	s_and_b64 vcc, vcc, exec
	s_or_b64 s[66:67], s[66:67], vcc
.LBB9_726:                              ;   in Loop: Header=BB9_724 Depth=3
	s_andn2_b64 s[64:65], s[64:65], exec
	s_and_b64 s[68:69], s[68:69], exec
	s_mov_b64 vcc, -1
	s_or_b64 s[64:65], s[64:65], s[68:69]
	s_and_saveexec_b64 s[68:69], s[66:67]
	s_cbranch_execz .LBB9_723
; %bb.727:                              ;   in Loop: Header=BB9_724 Depth=3
	s_sleep 1
	s_trap 2
	ds_read_b64 v[4:5], v0
	s_andn2_b64 s[64:65], s[64:65], exec
	s_waitcnt lgkmcnt(0)
	v_cmp_ge_u64_e32 vcc, v[4:5], v[12:13]
	s_orn2_b64 vcc, vcc, exec
	s_branch .LBB9_723
.LBB9_728:                              ;   in Loop: Header=BB9_669 Depth=2
	s_or_b64 exec, exec, s[60:61]
	s_and_saveexec_b64 vcc, s[62:63]
	s_xor_b64 vcc, exec, vcc
	s_cbranch_execz .LBB9_730
; %bb.729:                              ;   in Loop: Header=BB9_669 Depth=2
	ds_write_b32 v0, v48
	s_trap 2
.LBB9_730:                              ;   in Loop: Header=BB9_669 Depth=2
	s_or_b64 exec, exec, s[58:59]
	;;#ASMSTART
	s_wakeup
	;;#ASMEND
.LBB9_731:                              ;   in Loop: Header=BB9_669 Depth=2
	s_or_b64 exec, exec, s[56:57]
.LBB9_732:                              ;   in Loop: Header=BB9_669 Depth=2
	s_andn2_saveexec_b64 vcc, s[54:55]
	s_cbranch_execz .LBB9_734
; %bb.733:                              ;   in Loop: Header=BB9_669 Depth=2
	;;#ASMSTART
	s_waitcnt lgkmcnt(0) vmcnt(0)
	;;#ASMEND
	s_barrier
.LBB9_734:                              ;   in Loop: Header=BB9_669 Depth=2
	s_or_b64 exec, exec, vcc
	v_and_b32_e32 v1, 16, v62
.LBB9_735:                              ;   in Loop: Header=BB9_669 Depth=2
	s_or_b64 exec, exec, s[24:25]
	v_cmp_ne_u32_e32 vcc, 0, v1
	s_xor_b64 s[24:25], s[6:7], -1
	s_and_b64 vcc, vcc, s[24:25]
	s_and_saveexec_b64 s[24:25], vcc
	s_cbranch_execz .LBB9_737
; %bb.736:                              ;   in Loop: Header=BB9_669 Depth=2
	flat_store_dword v[58:59], v48 sc0 sc1
.LBB9_737:                              ;   in Loop: Header=BB9_669 Depth=2
	s_or_b64 exec, exec, s[24:25]
	v_and_b32_e32 v0, 48, v62
	v_cmp_ne_u32_e32 vcc, 0, v0
	s_and_saveexec_b64 s[24:25], vcc
	s_cbranch_execz .LBB9_668
; %bb.738:                              ;   in Loop: Header=BB9_669 Depth=2
	v_lshl_add_u64 v[20:21], v[20:21], 0, 2
	flat_store_dwordx2 v[22:23], v[20:21] sc0 sc1
	s_branch .LBB9_668
.LBB9_739:                              ;   in Loop: Header=BB9_47 Depth=1
	s_or_b64 exec, exec, s[56:57]
	s_or_b64 exec, exec, s[54:55]
	v_cmp_gt_i32_e32 vcc, 2, v1
	s_and_saveexec_b64 s[26:27], vcc
	s_cbranch_execnz .LBB9_667
.LBB9_740:                              ;   in Loop: Header=BB9_47 Depth=1
	s_or_b64 exec, exec, s[26:27]
	s_and_b64 vcc, exec, s[22:23]
	s_cbranch_vccz .LBB9_742
	s_branch .LBB9_998
.LBB9_741:                              ;   in Loop: Header=BB9_47 Depth=1
	s_or_b64 exec, exec, s[28:29]
	s_or_b64 exec, exec, s[26:27]
	s_and_b64 vcc, exec, s[22:23]
	s_cbranch_vccnz .LBB9_998
.LBB9_742:                              ;   in Loop: Header=BB9_47 Depth=1
	s_mov_b32 s70, 1
.LBB9_743:                              ;   Parent Loop BB9_47 Depth=1
                                        ; =>  This Loop Header: Depth=2
                                        ;       Child Loop BB9_746 Depth 3
                                        ;         Child Loop BB9_754 Depth 4
                                        ;         Child Loop BB9_780 Depth 4
	;; [unrolled: 1-line block ×9, first 2 shown]
                                        ;           Child Loop BB9_840 Depth 5
                                        ;         Child Loop BB9_849 Depth 4
                                        ;         Child Loop BB9_854 Depth 4
                                        ;           Child Loop BB9_855 Depth 5
                                        ;         Child Loop BB9_827 Depth 4
                                        ;         Child Loop BB9_906 Depth 4
                                        ;       Child Loop BB9_924 Depth 3
                                        ;         Child Loop BB9_930 Depth 4
                                        ;         Child Loop BB9_960 Depth 4
	;; [unrolled: 1-line block ×3, first 2 shown]
	s_sub_i32 s22, s75, s70
	s_cmp_le_i32 s72, s22
	s_cselect_b32 s23, s72, 0
	s_sub_i32 s22, s22, s23
	v_accvgpr_read_b32 v6, a38
	s_ashr_i32 s23, s22, 31
	v_accvgpr_read_b32 v7, a39
	v_mul_lo_u32 v0, v6, s23
	v_mul_lo_u32 v1, v7, s22
	v_mad_u64_u32 v[4:5], s[22:23], v6, s22, 0
	v_add3_u32 v5, v5, v0, v1
	v_accvgpr_read_b32 v0, a40
	v_accvgpr_read_b32 v1, a41
	v_sub_co_u32_e32 v8, vcc, v0, v4
	v_mov_b32_e32 v18, 0
	s_nop 0
	v_subb_co_u32_e32 v9, vcc, v1, v5, vcc
	v_cmp_lt_i64_e32 vcc, v[6:7], v[8:9]
	s_nop 1
	v_cndmask_b32_e32 v0, v8, v6, vcc
	v_max_i32_e32 v1, 0, v0
	v_add_u32_e32 v2, 31, v1
	v_ashrrev_i32_e32 v6, 31, v2
	v_lshrrev_b32_e32 v6, 27, v6
	v_add_u32_e32 v2, v2, v6
	v_ashrrev_i32_e32 v2, 5, v2
	v_lshlrev_b32_e32 v2, 4, v2
	v_max_i32_e32 v16, s78, v2
	v_cmp_lt_i32_e32 vcc, 0, v0
	v_mov_b32_e32 v2, 0
	s_and_b64 s[22:23], s[50:51], vcc
	s_mov_b64 s[28:29], exec
	v_accvgpr_read_b32 v6, a34
	s_and_b64 s[22:23], s[28:29], s[22:23]
	v_accvgpr_read_b32 v7, a35
	s_mov_b64 exec, s[22:23]
	s_cbranch_execz .LBB9_921
; %bb.744:                              ;   in Loop: Header=BB9_743 Depth=2
	v_accvgpr_read_b32 v8, a42
	v_accvgpr_read_b32 v9, a43
	v_lshl_add_u64 v[4:5], v[4:5], 0, v[8:9]
	s_mov_b32 s71, 1
	s_mov_b64 s[56:57], -1
	s_mov_b64 s[54:55], 0
	v_mov_b32_e32 v18, 0
	v_lshlrev_b64 v[30:31], 1, v[4:5]
	s_branch .LBB9_746
.LBB9_745:                              ;   in Loop: Header=BB9_746 Depth=3
	s_or_b64 exec, exec, s[22:23]
	v_add_u32_e32 v18, v16, v18
	v_cmp_ge_i32_e32 vcc, v18, v1
	s_xor_b64 s[22:23], s[56:57], -1
	s_or_b64 s[22:23], s[22:23], vcc
	s_and_b64 s[22:23], exec, s[22:23]
	s_or_b64 s[54:55], s[22:23], s[54:55]
	s_mov_b64 s[56:57], 0
	v_mov_b32_e32 v2, s71
	s_mov_b32 s71, 2
	s_andn2_b64 exec, exec, s[54:55]
	s_cbranch_execz .LBB9_994
.LBB9_746:                              ;   Parent Loop BB9_47 Depth=1
                                        ;     Parent Loop BB9_743 Depth=2
                                        ; =>    This Loop Header: Depth=3
                                        ;         Child Loop BB9_754 Depth 4
                                        ;         Child Loop BB9_780 Depth 4
	;; [unrolled: 1-line block ×9, first 2 shown]
                                        ;           Child Loop BB9_840 Depth 5
                                        ;         Child Loop BB9_849 Depth 4
                                        ;         Child Loop BB9_854 Depth 4
                                        ;           Child Loop BB9_855 Depth 5
                                        ;         Child Loop BB9_827 Depth 4
                                        ;         Child Loop BB9_906 Depth 4
	s_and_saveexec_b64 s[22:23], s[0:1]
	s_cbranch_execz .LBB9_748
; %bb.747:                              ;   in Loop: Header=BB9_746 Depth=3
	s_trap 2
	ds_read_b128 v[8:11], v0
	v_ashrrev_i32_e32 v19, 31, v18
	v_lshlrev_b64 v[4:5], 1, v[18:19]
	s_waitcnt lgkmcnt(0)
	v_lshl_add_u64 v[8:9], v[8:9], 0, v[30:31]
	v_lshl_add_u64 v[14:15], v[10:11], 0, v[30:31]
	;; [unrolled: 1-line block ×4, first 2 shown]
	v_cmp_ne_u64_e32 vcc, 0, v[10:11]
	ds_write_b64 v0, v[8:9]
	s_nop 0
	v_cndmask_b32_e32 v5, 0, v5, vcc
	v_cndmask_b32_e32 v4, 0, v4, vcc
	ds_write_b64 v0, v[4:5]
.LBB9_748:                              ;   in Loop: Header=BB9_746 Depth=3
	s_or_b64 exec, exec, s[22:23]
	v_and_b32_e32 v0, 12, v62
	v_cmp_ne_u32_e32 vcc, 0, v0
	s_mov_b64 s[24:25], -1
	s_and_saveexec_b64 s[22:23], vcc
	s_cbranch_execz .LBB9_760
; %bb.749:                              ;   in Loop: Header=BB9_746 Depth=3
	v_and_b32_e32 v2, 8, v62
	v_lshl_add_u64 v[8:9], v[32:33], 0, v[2:3]
	v_lshl_add_u64 v[4:5], v[20:21], 0, 2
	v_cmp_lt_u64_e32 vcc, v[8:9], v[4:5]
	v_mov_b32_e32 v8, 1
	s_and_saveexec_b64 s[24:25], vcc
	s_cbranch_execz .LBB9_759
; %bb.750:                              ;   in Loop: Header=BB9_746 Depth=3
	s_mov_b64 s[26:27], 0
	v_mov_b32_e32 v8, 0
                                        ; implicit-def: $sgpr58_sgpr59
	s_branch .LBB9_754
.LBB9_751:                              ;   in Loop: Header=BB9_754 Depth=4
	s_or_b64 exec, exec, s[66:67]
	v_mov_b32_e32 v9, 0
	s_orn2_b64 s[64:65], s[64:65], exec
.LBB9_752:                              ;   in Loop: Header=BB9_754 Depth=4
	s_or_b64 exec, exec, s[62:63]
	s_andn2_b64 vcc, s[58:59], exec
	s_and_b64 s[58:59], s[64:65], exec
	s_or_b64 s[58:59], vcc, s[58:59]
	v_mov_b32_e32 v8, v9
.LBB9_753:                              ;   in Loop: Header=BB9_754 Depth=4
	s_or_b64 exec, exec, s[60:61]
	s_waitcnt vmcnt(0) lgkmcnt(0)
	v_lshl_add_u64 v[10:11], v[32:33], 0, v[2:3]
	v_cmp_ge_u64_e32 vcc, v[10:11], v[4:5]
	s_xor_b64 s[60:61], s[58:59], -1
	s_or_b64 vcc, s[60:61], vcc
	s_and_b64 vcc, exec, vcc
	s_or_b64 s[26:27], vcc, s[26:27]
	s_andn2_b64 exec, exec, s[26:27]
	s_cbranch_execz .LBB9_758
.LBB9_754:                              ;   Parent Loop BB9_47 Depth=1
                                        ;     Parent Loop BB9_743 Depth=2
                                        ;       Parent Loop BB9_746 Depth=3
                                        ; =>      This Inner Loop Header: Depth=4
	s_sleep 1
	flat_load_dwordx2 v[32:33], v[22:23] sc0 sc1
	v_and_b32_e32 v0, 64, v62
	v_cmp_eq_u32_e32 vcc, 0, v0
	s_andn2_b64 s[58:59], s[58:59], exec
	s_and_saveexec_b64 s[60:61], vcc
	s_cbranch_execz .LBB9_753
; %bb.755:                              ;   in Loop: Header=BB9_754 Depth=4
	v_add_u32_e32 v9, 1, v8
	v_cmp_lt_i32_e32 vcc, s82, v8
	s_mov_b64 s[64:65], -1
	s_and_saveexec_b64 s[62:63], vcc
	s_cbranch_execz .LBB9_752
; %bb.756:                              ;   in Loop: Header=BB9_754 Depth=4
	s_trap 2
	ds_read_b64 v[8:9], v0
	s_waitcnt vmcnt(0) lgkmcnt(0)
	flat_load_dword v8, v[8:9] sc0 sc1
	s_waitcnt vmcnt(0) lgkmcnt(0)
	buffer_inv sc0 sc1
	v_cmp_ne_u32_e32 vcc, 0, v8
	s_and_saveexec_b64 s[66:67], vcc
	s_cbranch_execz .LBB9_751
; %bb.757:                              ;   in Loop: Header=BB9_754 Depth=4
	v_or_b32_e32 v62, 64, v62
	s_xor_b64 s[64:65], exec, -1
	ds_write_b32 v0, v8
	s_trap 2
	s_branch .LBB9_751
.LBB9_758:                              ;   in Loop: Header=BB9_746 Depth=3
	s_or_b64 exec, exec, s[26:27]
	v_and_b32_e32 v8, 12, v62
.LBB9_759:                              ;   in Loop: Header=BB9_746 Depth=3
	s_or_b64 exec, exec, s[24:25]
	v_cmp_eq_u32_e32 vcc, 0, v8
	s_orn2_b64 s[24:25], vcc, exec
	;;#ASMSTART
	s_wakeup
	;;#ASMEND
.LBB9_760:                              ;   in Loop: Header=BB9_746 Depth=3
	s_or_b64 exec, exec, s[22:23]
	v_sub_u32_e32 v0, v1, v18
	s_xor_b64 s[22:23], s[24:25], -1
	v_min_i32_e32 v16, v16, v0
	s_and_saveexec_b64 s[24:25], s[22:23]
	s_cbranch_execz .LBB9_772
; %bb.761:                              ;   in Loop: Header=BB9_746 Depth=3
	v_and_b32_e32 v0, 0x108, v62
	v_cmp_ne_u32_e32 vcc, s83, v0
	v_and_b32_e32 v2, 7, v20
	s_and_saveexec_b64 s[22:23], vcc
	s_xor_b64 s[22:23], exec, s[22:23]
	s_andn2_saveexec_b64 s[22:23], s[22:23]
	s_cbranch_execz .LBB9_763
; %bb.762:                              ;   in Loop: Header=BB9_746 Depth=3
	v_ashrrev_i32_e32 v17, 31, v16
	v_mad_u64_u32 v[4:5], s[26:27], v2, 24, v[44:45]
	v_lshlrev_b64 v[8:9], 1, v[16:17]
	flat_store_dwordx2 v[4:5], v[8:9] offset:8
.LBB9_763:                              ;   in Loop: Header=BB9_746 Depth=3
	s_or_b64 exec, exec, s[22:23]
	v_and_b32_e32 v0, 0x100, v62
	v_cmp_ne_u32_e32 vcc, 0, v0
	s_mov_b64 s[22:23], -1
                                        ; implicit-def: $vgpr4_vgpr5
	s_and_saveexec_b64 s[26:27], vcc
	s_cbranch_execz .LBB9_767
; %bb.764:                              ;   in Loop: Header=BB9_746 Depth=3
	v_mad_u64_u32 v[8:9], s[22:23], v2, 24, v[44:45]
	v_mov_b32_e32 v4, v9
	v_mad_u64_u32 v[4:5], s[22:23], v3, 24, v[4:5]
	v_mov_b32_e32 v9, v4
	flat_load_dword v0, v[8:9]
                                        ; implicit-def: $vgpr4_vgpr5
	s_waitcnt vmcnt(0) lgkmcnt(0)
	v_cmp_ne_u32_e32 vcc, 1, v0
	v_cmp_eq_u32_e64 s[22:23], 1, v0
	s_and_saveexec_b64 s[58:59], s[22:23]
	s_cbranch_execz .LBB9_766
; %bb.765:                              ;   in Loop: Header=BB9_746 Depth=3
	flat_load_dword v4, v[8:9] offset:4 sc0 sc1
	s_waitcnt vmcnt(0) lgkmcnt(0)
	v_ashrrev_i32_e32 v5, 31, v4
	v_lshrrev_b64 v[4:5], 1, v[4:5]
.LBB9_766:                              ;   in Loop: Header=BB9_746 Depth=3
	s_or_b64 exec, exec, s[58:59]
	s_orn2_b64 s[22:23], vcc, exec
.LBB9_767:                              ;   in Loop: Header=BB9_746 Depth=3
	s_or_b64 exec, exec, s[26:27]
	s_and_saveexec_b64 s[26:27], s[22:23]
; %bb.768:                              ;   in Loop: Header=BB9_746 Depth=3
	v_mul_lo_u32 v0, v3, v60
	v_mul_lo_u32 v6, v2, v53
	v_mad_u64_u32 v[4:5], s[22:23], v2, v60, 0
	v_add3_u32 v5, v5, v6, v0
	v_accvgpr_read_b32 v6, a34
	v_accvgpr_read_b32 v7, a35
; %bb.769:                              ;   in Loop: Header=BB9_746 Depth=3
	s_or_b64 exec, exec, s[26:27]
	v_lshl_add_u64 v[4:5], v[4:5], 1, v[56:57]
	s_trap 2
	ds_write_b64 v0, v[4:5]
	v_and_b32_e32 v0, 0x2000, v62
	v_cmp_ne_u32_e32 vcc, 0, v0
	s_and_saveexec_b64 s[22:23], vcc
	s_cbranch_execz .LBB9_771
; %bb.770:                              ;   in Loop: Header=BB9_746 Depth=3
	ds_read_b64 v[4:5], v0 offset:584
	s_waitcnt lgkmcnt(0)
	v_lshl_add_u64 v[4:5], v[4:5], 0, 1
	ds_write_b64 v0, v[4:5] offset:584
.LBB9_771:                              ;   in Loop: Header=BB9_746 Depth=3
	s_or_b64 exec, exec, s[22:23]
	v_lshl_add_u64 v[20:21], v[20:21], 0, 2
.LBB9_772:                              ;   in Loop: Header=BB9_746 Depth=3
	s_or_b64 exec, exec, s[24:25]
	s_and_saveexec_b64 s[22:23], s[4:5]
	s_cbranch_execz .LBB9_791
; %bb.773:                              ;   in Loop: Header=BB9_746 Depth=3
	s_and_saveexec_b64 s[24:25], s[38:39]
	s_xor_b64 s[24:25], exec, s[24:25]
	s_cbranch_execz .LBB9_788
; %bb.774:                              ;   in Loop: Header=BB9_746 Depth=3
	s_and_saveexec_b64 s[26:27], s[12:13]
	s_cbranch_execz .LBB9_787
; %bb.775:                              ;   in Loop: Header=BB9_746 Depth=3
	s_mov_b64 s[60:61], exec
	v_mbcnt_lo_u32_b32 v0, s60, 0
	v_mbcnt_hi_u32_b32 v0, s61, v0
	v_cmp_eq_u32_e32 vcc, 0, v0
	s_waitcnt lgkmcnt(0)
	s_and_saveexec_b64 s[58:59], vcc
	s_cbranch_execz .LBB9_777
; %bb.776:                              ;   in Loop: Header=BB9_746 Depth=3
	s_bcnt1_i32_b64 vcc_lo, s[60:61]
	v_mov_b32_e32 v2, vcc_lo
	ds_add_u64 v0, v[2:3]
	s_trap 2
.LBB9_777:                              ;   in Loop: Header=BB9_746 Depth=3
	s_or_b64 exec, exec, s[58:59]
	s_trap 2
	ds_read_b64 v[4:5], v0
	v_lshl_add_u64 v[12:13], v[12:13], 0, v[34:35]
	s_waitcnt lgkmcnt(0)
	v_cmp_lt_u64_e32 vcc, v[4:5], v[12:13]
	s_and_saveexec_b64 s[58:59], vcc
	s_cbranch_execz .LBB9_786
; %bb.778:                              ;   in Loop: Header=BB9_746 Depth=3
	s_mov_b32 s87, 0
	s_mov_b64 s[60:61], 0
                                        ; implicit-def: $sgpr62_sgpr63
                                        ; implicit-def: $sgpr64_sgpr65
	s_branch .LBB9_780
.LBB9_779:                              ;   in Loop: Header=BB9_780 Depth=4
	s_or_b64 exec, exec, s[68:69]
	s_and_b64 vcc, exec, vcc
	s_or_b64 s[60:61], vcc, s[60:61]
	s_andn2_b64 vcc, s[62:63], exec
	s_and_b64 s[62:63], s[64:65], exec
	s_or_b64 s[62:63], vcc, s[62:63]
	s_andn2_b64 exec, exec, s[60:61]
	s_cbranch_execz .LBB9_784
.LBB9_780:                              ;   Parent Loop BB9_47 Depth=1
                                        ;     Parent Loop BB9_743 Depth=2
                                        ;       Parent Loop BB9_746 Depth=3
                                        ; =>      This Inner Loop Header: Depth=4
	s_add_i32 s87, s87, 1
	s_cmpk_lg_i32 s87, 0x2710
	s_cselect_b64 s[66:67], -1, 0
	s_and_b64 vcc, exec, s[66:67]
                                        ; implicit-def: $sgpr68_sgpr69
	s_cbranch_vccnz .LBB9_782
; %bb.781:                              ;   in Loop: Header=BB9_780 Depth=4
	s_trap 2
	ds_read_b64 v[4:5], v0
	s_andn2_b64 s[66:67], s[66:67], exec
	s_mov_b32 s87, 0
	s_mov_b64 s[68:69], -1
	s_waitcnt vmcnt(0) lgkmcnt(0)
	flat_load_dword v0, v[4:5] sc0 sc1
	s_waitcnt vmcnt(0) lgkmcnt(0)
	buffer_inv sc0 sc1
	v_cmp_eq_u32_e32 vcc, 0, v0
	s_and_b64 vcc, vcc, exec
	s_or_b64 s[66:67], s[66:67], vcc
.LBB9_782:                              ;   in Loop: Header=BB9_780 Depth=4
	s_andn2_b64 s[64:65], s[64:65], exec
	s_and_b64 s[68:69], s[68:69], exec
	s_mov_b64 vcc, -1
	s_or_b64 s[64:65], s[64:65], s[68:69]
	s_and_saveexec_b64 s[68:69], s[66:67]
	s_cbranch_execz .LBB9_779
; %bb.783:                              ;   in Loop: Header=BB9_780 Depth=4
	s_sleep 1
	s_trap 2
	ds_read_b64 v[4:5], v0
	s_andn2_b64 s[64:65], s[64:65], exec
	s_waitcnt lgkmcnt(0)
	v_cmp_ge_u64_e32 vcc, v[4:5], v[12:13]
	s_orn2_b64 vcc, vcc, exec
	s_branch .LBB9_779
.LBB9_784:                              ;   in Loop: Header=BB9_746 Depth=3
	s_or_b64 exec, exec, s[60:61]
	s_and_saveexec_b64 vcc, s[62:63]
	s_xor_b64 vcc, exec, vcc
	s_cbranch_execz .LBB9_786
; %bb.785:                              ;   in Loop: Header=BB9_746 Depth=3
	ds_write_b32 v0, v48
	s_trap 2
.LBB9_786:                              ;   in Loop: Header=BB9_746 Depth=3
	s_or_b64 exec, exec, s[58:59]
	;;#ASMSTART
	s_wakeup
	;;#ASMEND
.LBB9_787:                              ;   in Loop: Header=BB9_746 Depth=3
	s_or_b64 exec, exec, s[26:27]
.LBB9_788:                              ;   in Loop: Header=BB9_746 Depth=3
	s_andn2_saveexec_b64 s[24:25], s[24:25]
	s_cbranch_execz .LBB9_790
; %bb.789:                              ;   in Loop: Header=BB9_746 Depth=3
	s_waitcnt lgkmcnt(0)
	s_barrier
.LBB9_790:                              ;   in Loop: Header=BB9_746 Depth=3
	s_or_b64 exec, exec, s[24:25]
.LBB9_791:                              ;   in Loop: Header=BB9_746 Depth=3
	s_or_b64 exec, exec, s[22:23]
	s_trap 2
	ds_read_b32 v4, v0
	v_and_b32_e32 v0, 0x4000, v62
	v_cmp_ne_u32_e32 vcc, 0, v0
	s_xor_b64 s[22:23], s[2:3], -1
	s_and_b64 s[24:25], s[22:23], vcc
	s_and_saveexec_b64 s[22:23], s[24:25]
	s_cbranch_execz .LBB9_810
; %bb.792:                              ;   in Loop: Header=BB9_746 Depth=3
	s_and_saveexec_b64 s[24:25], s[38:39]
	s_xor_b64 s[24:25], exec, s[24:25]
	s_cbranch_execz .LBB9_807
; %bb.793:                              ;   in Loop: Header=BB9_746 Depth=3
	s_and_saveexec_b64 s[26:27], s[12:13]
	s_cbranch_execz .LBB9_806
; %bb.794:                              ;   in Loop: Header=BB9_746 Depth=3
	s_mov_b64 s[60:61], exec
	v_mbcnt_lo_u32_b32 v0, s60, 0
	v_mbcnt_hi_u32_b32 v0, s61, v0
	v_cmp_eq_u32_e32 vcc, 0, v0
	s_waitcnt lgkmcnt(0)
	s_and_saveexec_b64 s[58:59], vcc
	s_cbranch_execz .LBB9_796
; %bb.795:                              ;   in Loop: Header=BB9_746 Depth=3
	s_bcnt1_i32_b64 vcc_lo, s[60:61]
	v_mov_b32_e32 v2, vcc_lo
	ds_add_u64 v0, v[2:3]
	s_trap 2
.LBB9_796:                              ;   in Loop: Header=BB9_746 Depth=3
	s_or_b64 exec, exec, s[58:59]
	s_trap 2
	ds_read_b64 v[8:9], v0
	v_lshl_add_u64 v[12:13], v[12:13], 0, v[34:35]
	s_waitcnt lgkmcnt(0)
	v_cmp_lt_u64_e32 vcc, v[8:9], v[12:13]
	s_and_saveexec_b64 s[58:59], vcc
	s_cbranch_execz .LBB9_805
; %bb.797:                              ;   in Loop: Header=BB9_746 Depth=3
	s_mov_b32 s87, 0
	s_mov_b64 s[60:61], 0
                                        ; implicit-def: $sgpr62_sgpr63
                                        ; implicit-def: $sgpr64_sgpr65
	s_branch .LBB9_799
.LBB9_798:                              ;   in Loop: Header=BB9_799 Depth=4
	s_or_b64 exec, exec, s[68:69]
	s_and_b64 vcc, exec, vcc
	s_or_b64 s[60:61], vcc, s[60:61]
	s_andn2_b64 vcc, s[62:63], exec
	s_and_b64 s[62:63], s[64:65], exec
	s_or_b64 s[62:63], vcc, s[62:63]
	s_andn2_b64 exec, exec, s[60:61]
	s_cbranch_execz .LBB9_803
.LBB9_799:                              ;   Parent Loop BB9_47 Depth=1
                                        ;     Parent Loop BB9_743 Depth=2
                                        ;       Parent Loop BB9_746 Depth=3
                                        ; =>      This Inner Loop Header: Depth=4
	s_add_i32 s87, s87, 1
	s_cmpk_lg_i32 s87, 0x2710
	s_cselect_b64 s[66:67], -1, 0
	s_and_b64 vcc, exec, s[66:67]
                                        ; implicit-def: $sgpr68_sgpr69
	s_cbranch_vccnz .LBB9_801
; %bb.800:                              ;   in Loop: Header=BB9_799 Depth=4
	s_trap 2
	ds_read_b64 v[8:9], v0
	s_andn2_b64 s[66:67], s[66:67], exec
	s_mov_b32 s87, 0
	s_mov_b64 s[68:69], -1
	s_waitcnt vmcnt(0) lgkmcnt(0)
	flat_load_dword v0, v[8:9] sc0 sc1
	s_waitcnt vmcnt(0) lgkmcnt(0)
	buffer_inv sc0 sc1
	v_cmp_eq_u32_e32 vcc, 0, v0
	s_and_b64 vcc, vcc, exec
	s_or_b64 s[66:67], s[66:67], vcc
.LBB9_801:                              ;   in Loop: Header=BB9_799 Depth=4
	s_andn2_b64 s[64:65], s[64:65], exec
	s_and_b64 s[68:69], s[68:69], exec
	s_mov_b64 vcc, -1
	s_or_b64 s[64:65], s[64:65], s[68:69]
	s_and_saveexec_b64 s[68:69], s[66:67]
	s_cbranch_execz .LBB9_798
; %bb.802:                              ;   in Loop: Header=BB9_799 Depth=4
	s_sleep 1
	s_trap 2
	ds_read_b64 v[8:9], v0
	s_andn2_b64 s[64:65], s[64:65], exec
	s_waitcnt lgkmcnt(0)
	v_cmp_ge_u64_e32 vcc, v[8:9], v[12:13]
	s_orn2_b64 vcc, vcc, exec
	s_branch .LBB9_798
.LBB9_803:                              ;   in Loop: Header=BB9_746 Depth=3
	s_or_b64 exec, exec, s[60:61]
	s_and_saveexec_b64 vcc, s[62:63]
	s_xor_b64 vcc, exec, vcc
	s_cbranch_execz .LBB9_805
; %bb.804:                              ;   in Loop: Header=BB9_746 Depth=3
	ds_write_b32 v0, v48
	s_trap 2
.LBB9_805:                              ;   in Loop: Header=BB9_746 Depth=3
	s_or_b64 exec, exec, s[58:59]
	;;#ASMSTART
	s_wakeup
	;;#ASMEND
.LBB9_806:                              ;   in Loop: Header=BB9_746 Depth=3
	s_or_b64 exec, exec, s[26:27]
.LBB9_807:                              ;   in Loop: Header=BB9_746 Depth=3
	s_andn2_saveexec_b64 s[24:25], s[24:25]
	s_cbranch_execz .LBB9_809
; %bb.808:                              ;   in Loop: Header=BB9_746 Depth=3
	s_waitcnt lgkmcnt(0)
	s_barrier
.LBB9_809:                              ;   in Loop: Header=BB9_746 Depth=3
	s_or_b64 exec, exec, s[24:25]
.LBB9_810:                              ;   in Loop: Header=BB9_746 Depth=3
	s_or_b64 exec, exec, s[22:23]
	s_trap 2
	ds_read_b64 v[8:9], v0
	v_mov_b32_e32 v17, 0
	s_waitcnt lgkmcnt(0)
	v_readfirstlane_b32 s22, v8
	v_readfirstlane_b32 s23, v9
	s_cmp_eq_u64 s[22:23], 0
	s_cselect_b64 s[22:23], -1, 0
	s_or_b64 s[22:23], s[22:23], s[22:23]
	s_and_b64 vcc, exec, s[22:23]
	s_cbranch_vccnz .LBB9_819
; %bb.811:                              ;   in Loop: Header=BB9_746 Depth=3
	s_trap 2
	ds_read_b64 v[8:9], v0
	v_cmp_eq_u32_e32 vcc, 0, v4
	s_nop 1
	v_cndmask_b32_e32 v17, 0, v16, vcc
	s_waitcnt lgkmcnt(0)
	v_cmp_ne_u64_e32 vcc, 0, v[8:9]
	v_lshlrev_b32_e32 v2, 1, v17
	s_cbranch_vccz .LBB9_831
; %bb.812:                              ;   in Loop: Header=BB9_746 Depth=3
	s_mov_b64 s[24:25], -1
	s_and_saveexec_b64 s[22:23], s[16:17]
	s_cbranch_execz .LBB9_814
; %bb.813:                              ;   in Loop: Header=BB9_746 Depth=3
	ds_read_b32 v0, v0 offset:720
	s_waitcnt lgkmcnt(0)
	v_and_b32_e32 v0, 15, v0
	v_cmp_eq_u32_e32 vcc, 0, v0
	s_orn2_b64 s[24:25], vcc, exec
.LBB9_814:                              ;   in Loop: Header=BB9_746 Depth=3
	s_or_b64 exec, exec, s[22:23]
	s_and_saveexec_b64 s[22:23], s[18:19]
	s_cbranch_execz .LBB9_816
; %bb.815:                              ;   in Loop: Header=BB9_746 Depth=3
	ds_read_b32 v0, v0 offset:784
	s_waitcnt lgkmcnt(0)
	v_and_b32_e32 v0, 15, v0
	v_cmp_eq_u32_e32 vcc, 0, v0
	s_and_b64 s[26:27], s[24:25], vcc
	s_andn2_b64 s[24:25], s[24:25], exec
	s_and_b64 s[26:27], s[26:27], exec
	s_or_b64 s[24:25], s[24:25], s[26:27]
.LBB9_816:                              ;   in Loop: Header=BB9_746 Depth=3
	s_or_b64 exec, exec, s[22:23]
	s_xor_b64 s[24:25], s[24:25], -1
	v_cndmask_b32_e64 v0, 0, 1, s[24:25]
	s_mov_b64 s[22:23], -1
	;;#ASMSTART
	;;#ASMEND
	v_mov_b32_e32 v4, 0
	v_cmp_ne_u32_e32 vcc, 0, v0
	v_mov_b32_e32 v5, v2
	v_mov_b32_e32 v19, v52
	;; [unrolled: 1-line block ×3, first 2 shown]
	s_cbranch_vccz .LBB9_832
; %bb.817:                              ;   in Loop: Header=BB9_746 Depth=3
	s_and_saveexec_b64 s[26:27], s[22:23]
	s_cbranch_execnz .LBB9_847
.LBB9_818:                              ;   in Loop: Header=BB9_746 Depth=3
	s_or_b64 exec, exec, s[26:27]
.LBB9_819:                              ;   in Loop: Header=BB9_746 Depth=3
	s_and_saveexec_b64 s[22:23], s[4:5]
	s_cbranch_execz .LBB9_865
.LBB9_820:                              ;   in Loop: Header=BB9_746 Depth=3
	s_and_saveexec_b64 s[24:25], s[38:39]
	s_xor_b64 s[24:25], exec, s[24:25]
	s_cbranch_execz .LBB9_895
; %bb.821:                              ;   in Loop: Header=BB9_746 Depth=3
	s_and_saveexec_b64 s[26:27], s[12:13]
	s_cbranch_execz .LBB9_894
; %bb.822:                              ;   in Loop: Header=BB9_746 Depth=3
	s_mov_b64 s[60:61], exec
	v_mbcnt_lo_u32_b32 v0, s60, 0
	v_mbcnt_hi_u32_b32 v0, s61, v0
	v_cmp_eq_u32_e32 vcc, 0, v0
	s_waitcnt lgkmcnt(0)
	s_and_saveexec_b64 s[58:59], vcc
	s_cbranch_execz .LBB9_824
; %bb.823:                              ;   in Loop: Header=BB9_746 Depth=3
	s_bcnt1_i32_b64 vcc_lo, s[60:61]
	v_mov_b32_e32 v2, vcc_lo
	ds_add_u64 v0, v[2:3]
	s_trap 2
.LBB9_824:                              ;   in Loop: Header=BB9_746 Depth=3
	s_or_b64 exec, exec, s[58:59]
	s_trap 2
	ds_read_b64 v[4:5], v0
	v_lshl_add_u64 v[12:13], v[12:13], 0, v[34:35]
	s_waitcnt lgkmcnt(0)
	v_cmp_lt_u64_e32 vcc, v[4:5], v[12:13]
	s_and_saveexec_b64 s[58:59], vcc
	s_cbranch_execz .LBB9_893
; %bb.825:                              ;   in Loop: Header=BB9_746 Depth=3
	s_mov_b32 s87, 0
	s_mov_b64 s[60:61], 0
                                        ; implicit-def: $sgpr62_sgpr63
                                        ; implicit-def: $sgpr64_sgpr65
	s_branch .LBB9_827
.LBB9_826:                              ;   in Loop: Header=BB9_827 Depth=4
	s_or_b64 exec, exec, s[68:69]
	s_and_b64 vcc, exec, vcc
	s_or_b64 s[60:61], vcc, s[60:61]
	s_andn2_b64 vcc, s[62:63], exec
	s_and_b64 s[62:63], s[64:65], exec
	s_or_b64 s[62:63], vcc, s[62:63]
	s_andn2_b64 exec, exec, s[60:61]
	s_cbranch_execz .LBB9_891
.LBB9_827:                              ;   Parent Loop BB9_47 Depth=1
                                        ;     Parent Loop BB9_743 Depth=2
                                        ;       Parent Loop BB9_746 Depth=3
                                        ; =>      This Inner Loop Header: Depth=4
	s_add_i32 s87, s87, 1
	s_cmpk_lg_i32 s87, 0x2710
	s_cselect_b64 s[66:67], -1, 0
	s_and_b64 vcc, exec, s[66:67]
                                        ; implicit-def: $sgpr68_sgpr69
	s_cbranch_vccnz .LBB9_829
; %bb.828:                              ;   in Loop: Header=BB9_827 Depth=4
	s_trap 2
	ds_read_b64 v[4:5], v0
	s_andn2_b64 s[66:67], s[66:67], exec
	s_mov_b32 s87, 0
	s_mov_b64 s[68:69], -1
	s_waitcnt vmcnt(0) lgkmcnt(0)
	flat_load_dword v0, v[4:5] sc0 sc1
	s_waitcnt vmcnt(0) lgkmcnt(0)
	buffer_inv sc0 sc1
	v_cmp_eq_u32_e32 vcc, 0, v0
	s_and_b64 vcc, vcc, exec
	s_or_b64 s[66:67], s[66:67], vcc
.LBB9_829:                              ;   in Loop: Header=BB9_827 Depth=4
	s_andn2_b64 s[64:65], s[64:65], exec
	s_and_b64 s[68:69], s[68:69], exec
	s_mov_b64 vcc, -1
	s_or_b64 s[64:65], s[64:65], s[68:69]
	s_and_saveexec_b64 s[68:69], s[66:67]
	s_cbranch_execz .LBB9_826
; %bb.830:                              ;   in Loop: Header=BB9_827 Depth=4
	s_sleep 1
	s_trap 2
	ds_read_b64 v[4:5], v0
	s_andn2_b64 s[64:65], s[64:65], exec
	s_waitcnt lgkmcnt(0)
	v_cmp_ge_u64_e32 vcc, v[4:5], v[12:13]
	s_orn2_b64 vcc, vcc, exec
	s_branch .LBB9_826
.LBB9_831:                              ;   in Loop: Header=BB9_746 Depth=3
	s_cbranch_execnz .LBB9_858
	s_branch .LBB9_819
.LBB9_832:                              ;   in Loop: Header=BB9_746 Depth=3
	v_ashrrev_i32_e32 v0, 31, v2
	v_lshrrev_b32_e32 v0, 21, v0
	v_add_u32_e32 v0, v2, v0
	v_ashrrev_i32_e32 v15, 11, v0
	v_sub_u32_e32 v14, v15, v46
	v_cmp_lt_i32_e32 vcc, 0, v14
	s_and_saveexec_b64 s[22:23], vcc
	s_cbranch_execz .LBB9_836
; %bb.833:                              ;   in Loop: Header=BB9_746 Depth=3
	s_trap 2
	ds_read_b64 v[4:5], v0
	ds_read_b128 v[8:11], v0
	v_accvgpr_read_b32 v24, a36
	v_accvgpr_read_b32 v25, a37
	s_mov_b64 s[24:25], 0
	s_waitcnt lgkmcnt(0)
	v_lshl_add_u64 v[4:5], v[4:5], 0, v[24:25]
	v_lshl_add_u64 v[8:9], v[8:9], 0, v[24:25]
	;; [unrolled: 1-line block ×3, first 2 shown]
.LBB9_834:                              ;   Parent Loop BB9_47 Depth=1
                                        ;     Parent Loop BB9_743 Depth=2
                                        ;       Parent Loop BB9_746 Depth=3
                                        ; =>      This Inner Loop Header: Depth=4
	global_load_dwordx4 v[24:27], v[4:5], off nt
	global_load_dwordx4 v[36:39], v[4:5], off offset:1024 nt
	v_sub_u32_e32 v14, v14, v34
	v_cmp_gt_i32_e32 vcc, 1, v14
	v_lshl_add_u64 v[4:5], v[4:5], 0, v[54:55]
	s_or_b64 s[24:25], vcc, s[24:25]
	s_waitcnt vmcnt(0)
	global_store_dwordx4 v[8:9], v[24:27], off nt
	global_store_dwordx4 v[8:9], v[36:39], off offset:1024 nt
	global_store_dwordx4 v[10:11], v[24:27], off nt
	global_store_dwordx4 v[10:11], v[36:39], off offset:1024 nt
	v_lshl_add_u64 v[8:9], v[8:9], 0, v[54:55]
	v_lshl_add_u64 v[10:11], v[10:11], 0, v[54:55]
	s_andn2_b64 exec, exec, s[24:25]
	s_cbranch_execnz .LBB9_834
; %bb.835:                              ;   in Loop: Header=BB9_746 Depth=3
	s_or_b64 exec, exec, s[24:25]
.LBB9_836:                              ;   in Loop: Header=BB9_746 Depth=3
	s_or_b64 exec, exec, s[22:23]
	v_lshlrev_b32_e32 v38, 11, v15
	v_cmp_ne_u32_e32 vcc, v2, v38
	s_mov_b64 s[22:23], 0
	v_mov_b32_e32 v4, 0
                                        ; implicit-def: $vgpr5
                                        ; implicit-def: $vgpr19
                                        ; implicit-def: $vgpr8
	s_and_saveexec_b64 s[58:59], vcc
	s_cbranch_execz .LBB9_846
; %bb.837:                              ;   in Loop: Header=BB9_746 Depth=3
	v_lshlrev_b32_e32 v4, 6, v14
	v_accvgpr_read_b32 v5, a31
	v_sub_u32_e32 v4, v5, v4
	v_ashrrev_i32_e32 v5, 31, v4
	v_lshrrev_b32_e32 v5, 26, v5
	v_add_u32_e32 v5, v4, v5
	v_sub_u32_e32 v0, v2, v38
	v_ashrrev_i32_e32 v6, 6, v5
	v_and_b32_e32 v5, 0xffffffc0, v5
	v_sub_u32_e32 v39, v4, v5
	v_ashrrev_i32_e32 v5, 31, v0
	v_lshrrev_b32_e32 v5, 22, v5
	v_add_u32_e32 v5, v0, v5
	v_and_b32_e32 v25, 0xfffffc00, v5
	v_lshlrev_b32_e32 v4, 4, v39
	v_sub_u32_e32 v60, v0, v25
	v_lshl_add_u32 v4, v6, 10, v4
	v_ashrrev_i32_e32 v7, 10, v5
	v_cmp_lt_i32_e64 s[22:23], 15, v60
	v_sub_u32_e32 v19, v0, v4
	s_nop 0
	v_addc_co_u32_e64 v0, vcc, 0, v7, s[22:23]
	v_sub_u32_e32 v58, v0, v6
	v_cmp_lt_i32_e32 vcc, 15, v19
	s_mov_b64 s[60:61], exec
	v_accvgpr_read_b32 v6, a26
	s_and_b64 s[24:25], s[60:61], vcc
	v_accvgpr_read_b32 v7, a27
	s_mov_b64 exec, s[24:25]
	s_cbranch_execz .LBB9_843
; %bb.838:                              ;   in Loop: Header=BB9_746 Depth=3
	s_trap 2
	ds_read_b64 v[14:15], v0
	ds_read_b128 v[8:11], v0
	v_add_u32_e32 v26, v4, v38
	v_ashrrev_i32_e32 v27, 31, v26
	s_mov_b64 s[62:63], 0
	s_waitcnt lgkmcnt(0)
	v_lshl_add_u64 v[4:5], v[14:15], 0, v[26:27]
	v_lshl_add_u64 v[14:15], v[8:9], 0, v[26:27]
	;; [unrolled: 1-line block ×3, first 2 shown]
.LBB9_839:                              ;   Parent Loop BB9_47 Depth=1
                                        ;     Parent Loop BB9_743 Depth=2
                                        ;       Parent Loop BB9_746 Depth=3
                                        ; =>      This Loop Header: Depth=4
                                        ;           Child Loop BB9_840 Depth 5
	global_load_dwordx4 v[8:11], v[4:5], off nt
	s_mov_b64 s[66:67], -1
	s_mov_b64 s[64:65], 0
	s_waitcnt vmcnt(0)
.LBB9_840:                              ;   Parent Loop BB9_47 Depth=1
                                        ;     Parent Loop BB9_743 Depth=2
                                        ;       Parent Loop BB9_746 Depth=3
                                        ;         Parent Loop BB9_839 Depth=4
                                        ; =>        This Inner Loop Header: Depth=5
	s_cmp_eq_u32 s64, 0
	s_cselect_b64 s[24:25], -1, 0
	s_cmp_eq_u32 s64, 1
	s_cselect_b64 s[26:27], -1, 0
	v_cndmask_b32_e64 v0, 0, 1, s[66:67]
	v_cndmask_b32_e64 v27, v15, v37, s[26:27]
	;; [unrolled: 1-line block ×3, first 2 shown]
	v_cmp_ne_u32_e32 vcc, 1, v0
	global_store_dwordx4 v[26:27], v[8:11], off nt
	v_lshl_add_u64 v[26:27], v[26:27], 0, s[40:41]
	s_mov_b64 s[66:67], 0
	s_mov_b64 s[64:65], 1
	s_and_b64 vcc, exec, vcc
	v_cndmask_b32_e64 v37, v37, v27, s[26:27]
	v_cndmask_b32_e64 v36, v36, v26, s[26:27]
	;; [unrolled: 1-line block ×4, first 2 shown]
	s_cbranch_vccz .LBB9_840
; %bb.841:                              ;   in Loop: Header=BB9_839 Depth=4
	v_sub_u32_e32 v19, v19, v47
	v_cmp_gt_i32_e32 vcc, 16, v19
	v_lshl_add_u64 v[14:15], v[14:15], 0, v[6:7]
	v_lshl_add_u64 v[36:37], v[36:37], 0, v[6:7]
	;; [unrolled: 1-line block ×3, first 2 shown]
	s_or_b64 s[62:63], vcc, s[62:63]
	v_sub_u32_e32 v58, v58, v34
	s_andn2_b64 exec, exec, s[62:63]
	s_cbranch_execnz .LBB9_839
; %bb.842:                              ;   in Loop: Header=BB9_746 Depth=3
	s_or_b64 exec, exec, s[62:63]
.LBB9_843:                              ;   in Loop: Header=BB9_746 Depth=3
	s_or_b64 exec, exec, s[60:61]
	v_and_b32_e32 v9, 14, v2
	v_cndmask_b32_e64 v5, v60, v9, s[22:23]
	s_mov_b64 s[24:25], 0
	v_mov_b32_e32 v4, 0
	v_cmp_ne_u32_e32 vcc, 0, v5
                                        ; implicit-def: $vgpr19
                                        ; implicit-def: $vgpr8
	s_mov_b64 s[26:27], exec
	v_accvgpr_read_b32 v6, a34
	s_and_b64 vcc, s[26:27], vcc
	v_accvgpr_read_b32 v7, a35
	s_mov_b64 exec, vcc
	s_cbranch_execz .LBB9_845
; %bb.844:                              ;   in Loop: Header=BB9_746 Depth=3
	v_sub_u32_e32 v0, v60, v9
	v_cndmask_b32_e64 v0, 0, v0, s[22:23]
	v_cmp_lt_i32_e32 vcc, 0, v58
	v_add3_u32 v4, v25, v38, v0
	s_mov_b64 s[24:25], exec
	v_cndmask_b32_e32 v0, 0, v34, vcc
	v_sub_u32_e32 v0, v0, v58
	v_lshl_add_u32 v19, v0, 6, v39
	v_ashrrev_i32_e32 v0, 31, v19
	v_lshrrev_b32_e32 v0, 26, v0
	v_add_u32_e32 v0, v19, v0
	v_ashrrev_i32_e32 v8, 6, v0
.LBB9_845:                              ;   in Loop: Header=BB9_746 Depth=3
	s_or_b64 exec, exec, s[26:27]
	v_accvgpr_read_b32 v59, a19
	s_and_b64 s[22:23], s[24:25], exec
	v_accvgpr_read_b32 v60, a14
	v_accvgpr_read_b32 v58, a18
.LBB9_846:                              ;   in Loop: Header=BB9_746 Depth=3
	s_or_b64 exec, exec, s[58:59]
	s_and_saveexec_b64 s[26:27], s[22:23]
	s_cbranch_execz .LBB9_818
.LBB9_847:                              ;   in Loop: Header=BB9_746 Depth=3
	v_ashrrev_i32_e32 v0, 31, v5
	v_lshrrev_b32_e32 v0, 22, v0
	v_add_u32_e32 v0, v5, v0
	v_ashrrev_i32_e32 v38, 10, v0
	v_sub_u32_e32 v36, v38, v8
	v_ashrrev_i32_e32 v0, 31, v19
	v_cmp_lt_i32_e32 vcc, 0, v36
	v_lshrrev_b32_e32 v37, 26, v0
	s_and_saveexec_b64 s[22:23], vcc
	s_cbranch_execz .LBB9_851
; %bb.848:                              ;   in Loop: Header=BB9_746 Depth=3
	v_add_u32_e32 v0, v19, v37
	v_and_b32_e32 v0, 0x7fffffc0, v0
	v_sub_u32_e32 v0, v19, v0
	s_trap 2
	ds_read_b64 v[14:15], v0
	ds_read_b128 v[24:27], v0
	v_lshlrev_b32_e32 v0, 1, v0
	v_lshlrev_b32_e32 v6, 10, v8
	v_add3_u32 v28, v0, v4, v6
	v_ashrrev_i32_e32 v29, 31, v28
	s_waitcnt lgkmcnt(0)
	v_lshl_add_u64 v[14:15], v[14:15], 0, s[52:53]
	v_lshl_add_u64 v[8:9], v[24:25], 0, v[28:29]
	;; [unrolled: 1-line block ×4, first 2 shown]
	s_mov_b64 s[24:25], 0
.LBB9_849:                              ;   Parent Loop BB9_47 Depth=1
                                        ;     Parent Loop BB9_743 Depth=2
                                        ;       Parent Loop BB9_746 Depth=3
                                        ; =>      This Inner Loop Header: Depth=4
	v_add_co_u32_e32 v24, vcc, 0xfffffc80, v14
	flat_load_ushort v0, v[14:15] nt
	s_nop 0
	v_addc_co_u32_e32 v25, vcc, -1, v15, vcc
	v_add_co_u32_e32 v26, vcc, 0xfffffd00, v14
	flat_load_ushort v6, v[24:25] nt
	s_nop 0
	v_addc_co_u32_e32 v27, vcc, -1, v15, vcc
	;; [unrolled: 4-line block ×7, first 2 shown]
	flat_load_ushort v24, v[24:25] nt
	v_sub_u32_e32 v36, v36, v34
	v_cmp_gt_i32_e32 vcc, 1, v36
	s_or_b64 s[24:25], vcc, s[24:25]
	v_lshl_add_u64 v[14:15], v[14:15], 0, v[40:41]
	s_waitcnt vmcnt(0) lgkmcnt(0)
	flat_store_short v[8:9], v0 offset:896 nt
	flat_store_short v[8:9], v6 nt
	flat_store_short v[8:9], v7 offset:128 nt
	flat_store_short v[8:9], v28 offset:256 nt
	;; [unrolled: 1-line block ×6, first 2 shown]
	flat_store_short v[10:11], v6 nt
	flat_store_short v[10:11], v7 offset:128 nt
	flat_store_short v[10:11], v28 offset:256 nt
	;; [unrolled: 1-line block ×7, first 2 shown]
	v_lshl_add_u64 v[8:9], v[8:9], 0, v[40:41]
	v_lshl_add_u64 v[10:11], v[10:11], 0, v[40:41]
	s_andn2_b64 exec, exec, s[24:25]
	s_cbranch_execnz .LBB9_849
; %bb.850:                              ;   in Loop: Header=BB9_746 Depth=3
	s_or_b64 exec, exec, s[24:25]
	v_accvgpr_read_b32 v28, a32
	v_accvgpr_read_b32 v6, a34
	;; [unrolled: 1-line block ×4, first 2 shown]
.LBB9_851:                              ;   in Loop: Header=BB9_746 Depth=3
	s_or_b64 exec, exec, s[22:23]
	v_lshlrev_b32_e32 v8, 10, v38
	v_cmp_ne_u32_e32 vcc, v5, v8
	s_and_saveexec_b64 s[58:59], vcc
	s_cbranch_execz .LBB9_857
; %bb.852:                              ;   in Loop: Header=BB9_746 Depth=3
	v_add_u32_e32 v0, v19, v37
	v_and_b32_e32 v0, 0xffffffc0, v0
	v_sub_u32_e32 v0, v19, v0
	v_lshlrev_b32_e32 v6, 6, v36
	v_sub_u32_e32 v0, v0, v6
	v_ashrrev_i32_e32 v6, 31, v0
	v_lshrrev_b32_e32 v6, 26, v6
	v_add_u32_e32 v6, v0, v6
	v_and_b32_e32 v7, 0x7fffffc0, v6
	v_sub_u32_e32 v0, v0, v7
	v_lshlrev_b32_e32 v6, 1, v6
	v_and_b32_e32 v6, 0xffffff80, v6
	v_lshlrev_b32_e32 v0, 1, v0
	v_add3_u32 v8, v6, v0, v8
	v_accvgpr_read_b32 v6, a34
	v_sub_u32_e32 v14, v5, v8
	v_accvgpr_read_b32 v7, a35
	v_cmp_lt_i32_e32 vcc, 1, v14
	s_and_b64 exec, exec, vcc
	s_cbranch_execz .LBB9_857
; %bb.853:                              ;   in Loop: Header=BB9_746 Depth=3
	s_trap 2
	ds_read_b64 v[10:11], v0
	ds_read_b128 v[24:27], v0
	v_add_u32_e32 v28, v8, v4
	v_ashrrev_i32_e32 v29, 31, v28
	s_mov_b64 s[60:61], 0
	s_waitcnt lgkmcnt(0)
	v_lshl_add_u64 v[4:5], v[10:11], 0, v[28:29]
	v_lshl_add_u64 v[8:9], v[24:25], 0, v[28:29]
	;; [unrolled: 1-line block ×3, first 2 shown]
	v_accvgpr_read_b32 v28, a32
	v_accvgpr_read_b32 v29, a33
.LBB9_854:                              ;   Parent Loop BB9_47 Depth=1
                                        ;     Parent Loop BB9_743 Depth=2
                                        ;       Parent Loop BB9_746 Depth=3
                                        ; =>      This Loop Header: Depth=4
                                        ;           Child Loop BB9_855 Depth 5
	flat_load_ushort v15, v[4:5] nt
	s_mov_b64 s[64:65], -1
	s_mov_b64 s[62:63], 0
	s_waitcnt vmcnt(0)
.LBB9_855:                              ;   Parent Loop BB9_47 Depth=1
                                        ;     Parent Loop BB9_743 Depth=2
                                        ;       Parent Loop BB9_746 Depth=3
                                        ;         Parent Loop BB9_854 Depth=4
                                        ; =>        This Inner Loop Header: Depth=5
	s_cmp_eq_u32 s62, 0
	s_cselect_b64 s[22:23], -1, 0
	s_cmp_eq_u32 s62, 1
	s_cselect_b64 s[24:25], -1, 0
	v_cndmask_b32_e64 v0, 0, 1, s[64:65]
	v_cndmask_b32_e64 v25, v9, v11, s[24:25]
	;; [unrolled: 1-line block ×3, first 2 shown]
	v_cmp_ne_u32_e32 vcc, 1, v0
	s_waitcnt lgkmcnt(0)
	flat_store_short v[24:25], v15 nt
	v_lshl_add_u64 v[24:25], v[24:25], 0, s[42:43]
	s_mov_b64 s[64:65], 0
	s_mov_b64 s[62:63], 1
	s_and_b64 vcc, exec, vcc
	v_cndmask_b32_e64 v11, v11, v25, s[24:25]
	v_cndmask_b32_e64 v10, v10, v24, s[24:25]
	;; [unrolled: 1-line block ×4, first 2 shown]
	s_cbranch_vccz .LBB9_855
; %bb.856:                              ;   in Loop: Header=BB9_854 Depth=4
	v_sub_u32_e32 v14, v14, v61
	v_cmp_gt_i32_e32 vcc, 2, v14
	v_lshl_add_u64 v[8:9], v[8:9], 0, v[50:51]
	v_lshl_add_u64 v[10:11], v[10:11], 0, v[50:51]
	s_or_b64 s[60:61], vcc, s[60:61]
	v_lshl_add_u64 v[4:5], v[42:43], 0, v[4:5]
	s_andn2_b64 exec, exec, s[60:61]
	s_cbranch_execnz .LBB9_854
.LBB9_857:                              ;   in Loop: Header=BB9_746 Depth=3
	s_or_b64 exec, exec, s[58:59]
	s_or_b64 exec, exec, s[26:27]
	s_branch .LBB9_819
.LBB9_858:                              ;   in Loop: Header=BB9_746 Depth=3
	s_mov_b64 s[22:23], -1
	s_and_saveexec_b64 s[24:25], s[16:17]
	s_cbranch_execz .LBB9_860
; %bb.859:                              ;   in Loop: Header=BB9_746 Depth=3
	ds_read_b32 v0, v0 offset:720
	s_waitcnt lgkmcnt(0)
	v_and_b32_e32 v0, 15, v0
	v_cmp_eq_u32_e32 vcc, 0, v0
	s_orn2_b64 s[22:23], vcc, exec
.LBB9_860:                              ;   in Loop: Header=BB9_746 Depth=3
	s_or_b64 exec, exec, s[24:25]
	s_and_saveexec_b64 s[24:25], s[14:15]
	s_cbranch_execz .LBB9_862
; %bb.861:                              ;   in Loop: Header=BB9_746 Depth=3
	ds_read_b32 v0, v0 offset:784
	s_waitcnt lgkmcnt(0)
	v_and_b32_e32 v0, 15, v0
	v_cmp_eq_u32_e32 vcc, 0, v0
	s_and_b64 s[26:27], s[22:23], vcc
	s_andn2_b64 s[22:23], s[22:23], exec
	s_and_b64 s[26:27], s[26:27], exec
	s_or_b64 s[22:23], s[22:23], s[26:27]
.LBB9_862:                              ;   in Loop: Header=BB9_746 Depth=3
	s_or_b64 exec, exec, s[24:25]
	s_xor_b64 s[22:23], s[22:23], -1
	v_cndmask_b32_e64 v0, 0, 1, s[22:23]
	s_mov_b64 s[26:27], -1
	;;#ASMSTART
	;;#ASMEND
	v_mov_b32_e32 v14, 0
	v_cmp_ne_u32_e32 vcc, 0, v0
	s_cbranch_vccz .LBB9_869
; %bb.863:                              ;   in Loop: Header=BB9_746 Depth=3
	v_mov_b32_e32 v15, v52
	v_mov_b32_e32 v8, v46
	s_and_saveexec_b64 s[22:23], s[26:27]
	s_cbranch_execnz .LBB9_882
.LBB9_864:                              ;   in Loop: Header=BB9_746 Depth=3
	s_or_b64 exec, exec, s[22:23]
	s_and_saveexec_b64 s[22:23], s[4:5]
	s_cbranch_execnz .LBB9_820
.LBB9_865:                              ;   in Loop: Header=BB9_746 Depth=3
	s_or_b64 exec, exec, s[22:23]
                                        ; implicit-def: $vgpr2
	s_and_saveexec_b64 s[22:23], s[20:21]
	s_xor_b64 s[24:25], exec, s[22:23]
	s_cbranch_execz .LBB9_898
.LBB9_866:                              ;   in Loop: Header=BB9_746 Depth=3
	v_and_b32_e32 v0, 16, v62
	v_cmp_lt_i32_e32 vcc, 0, v17
	v_cmp_ne_u32_e64 s[22:23], 0, v0
	v_and_b32_e32 v2, 16, v62
	s_and_b64 s[26:27], s[22:23], vcc
	s_and_saveexec_b64 s[22:23], s[26:27]
	s_cbranch_execz .LBB9_868
; %bb.867:                              ;   in Loop: Header=BB9_746 Depth=3
	v_mov_b32_e32 v2, 1
	buffer_wbl2 sc1
	s_waitcnt vmcnt(0) lgkmcnt(0)
	buffer_inv sc1
.LBB9_868:                              ;   in Loop: Header=BB9_746 Depth=3
	s_or_b64 exec, exec, s[22:23]
	s_andn2_saveexec_b64 s[22:23], s[24:25]
	s_cbranch_execz .LBB9_917
	s_branch .LBB9_899
.LBB9_869:                              ;   in Loop: Header=BB9_746 Depth=3
	v_ashrrev_i32_e32 v0, 31, v2
	v_lshrrev_b32_e32 v0, 20, v0
	v_add_u32_e32 v0, v2, v0
	v_ashrrev_i32_e32 v10, 12, v0
	v_sub_u32_e32 v11, v10, v46
	v_cmp_lt_i32_e32 vcc, 0, v11
	s_and_saveexec_b64 s[22:23], vcc
	s_cbranch_execz .LBB9_873
; %bb.870:                              ;   in Loop: Header=BB9_746 Depth=3
	s_trap 2
	ds_read_b64 v[4:5], v0
	s_mov_b64 s[24:25], 0
	s_waitcnt lgkmcnt(0)
	v_mov_b64_e32 v[8:9], v[4:5]
.LBB9_871:                              ;   Parent Loop BB9_47 Depth=1
                                        ;     Parent Loop BB9_743 Depth=2
                                        ;       Parent Loop BB9_746 Depth=3
                                        ; =>      This Inner Loop Header: Depth=4
	v_lshl_add_u64 v[14:15], v[6:7], 0, v[8:9]
	global_load_dwordx4 v[24:27], v[14:15], off nt
	global_load_dwordx4 v[36:39], v[14:15], off offset:1024 nt
	global_load_dwordx4 v[48:51], v[14:15], off offset:2048 nt
	;; [unrolled: 1-line block ×3, first 2 shown]
	v_sub_u32_e32 v11, v11, v34
	v_cmp_gt_i32_e32 vcc, 1, v11
	v_lshl_add_u64 v[14:15], v[6:7], 0, v[4:5]
	v_lshl_add_u64 v[8:9], v[8:9], 0, v[28:29]
	;; [unrolled: 1-line block ×3, first 2 shown]
	s_or_b64 s[24:25], vcc, s[24:25]
	s_waitcnt vmcnt(0)
	global_store_dwordx4 v[14:15], v[24:27], off nt
	global_store_dwordx4 v[14:15], v[36:39], off offset:1024 nt
	global_store_dwordx4 v[14:15], v[48:51], off offset:2048 nt
	;; [unrolled: 1-line block ×3, first 2 shown]
	s_andn2_b64 exec, exec, s[24:25]
	s_cbranch_execnz .LBB9_871
; %bb.872:                              ;   in Loop: Header=BB9_746 Depth=3
	s_or_b64 exec, exec, s[24:25]
	v_accvgpr_read_b32 v57, a17
	v_accvgpr_read_b32 v59, a19
	;; [unrolled: 1-line block ×6, first 2 shown]
	v_mov_b32_e32 v48, 1
.LBB9_873:                              ;   in Loop: Header=BB9_746 Depth=3
	s_or_b64 exec, exec, s[22:23]
	v_lshlrev_b32_e32 v10, 12, v10
	v_cmp_ne_u32_e32 vcc, v2, v10
	s_mov_b64 s[26:27], 0
	v_mov_b32_e32 v14, 0
                                        ; implicit-def: $vgpr15
                                        ; implicit-def: $vgpr8
	s_and_saveexec_b64 s[24:25], vcc
	s_cbranch_execz .LBB9_881
; %bb.874:                              ;   in Loop: Header=BB9_746 Depth=3
	v_lshlrev_b32_e32 v4, 6, v11
	v_accvgpr_read_b32 v5, a31
	v_sub_u32_e32 v4, v5, v4
	v_ashrrev_i32_e32 v5, 31, v4
	v_lshrrev_b32_e32 v5, 26, v5
	v_add_u32_e32 v5, v4, v5
	v_ashrrev_i32_e32 v6, 6, v5
	v_and_b32_e32 v5, 0xffffffc0, v5
	v_sub_u32_e32 v11, v4, v5
	v_sub_u32_e32 v0, v2, v10
	v_lshlrev_b32_e32 v4, 4, v11
	v_lshl_add_u32 v8, v6, 10, v4
	v_ashrrev_i32_e32 v4, 31, v0
	v_lshrrev_b32_e32 v4, 22, v4
	v_add_u32_e32 v4, v0, v4
	v_and_b32_e32 v19, 0xfffffc00, v4
	v_sub_u32_e32 v36, v0, v19
	v_ashrrev_i32_e32 v5, 10, v4
	v_cmp_lt_i32_e32 vcc, 15, v36
	v_sub_u32_e32 v14, v0, v8
	s_nop 0
	v_addc_co_u32_e64 v0, s[22:23], 0, v5, vcc
	v_sub_u32_e32 v25, v0, v6
	v_cmp_lt_i32_e64 s[22:23], 15, v14
	s_and_saveexec_b64 s[26:27], s[22:23]
	s_cbranch_execz .LBB9_878
; %bb.875:                              ;   in Loop: Header=BB9_746 Depth=3
	s_trap 2
	ds_read_b64 v[4:5], v0
	v_add_u32_e32 v8, v8, v10
	v_ashrrev_i32_e32 v9, 31, v8
	s_mov_b64 s[58:59], 0
.LBB9_876:                              ;   Parent Loop BB9_47 Depth=1
                                        ;     Parent Loop BB9_743 Depth=2
                                        ;       Parent Loop BB9_746 Depth=3
                                        ; =>      This Inner Loop Header: Depth=4
	s_waitcnt lgkmcnt(0)
	v_lshl_add_u64 v[38:39], v[4:5], 0, v[8:9]
	global_load_dwordx4 v[26:29], v[38:39], off nt
	v_sub_u32_e32 v14, v14, v47
	v_cmp_gt_i32_e64 s[22:23], 16, v14
	v_sub_u32_e32 v25, v25, v34
	v_lshl_add_u64 v[8:9], v[8:9], 0, v[40:41]
	s_or_b64 s[58:59], s[22:23], s[58:59]
	s_waitcnt vmcnt(0)
	global_store_dwordx4 v[38:39], v[26:29], off nt
	s_andn2_b64 exec, exec, s[58:59]
	s_cbranch_execnz .LBB9_876
; %bb.877:                              ;   in Loop: Header=BB9_746 Depth=3
	s_or_b64 exec, exec, s[58:59]
	v_accvgpr_read_b32 v28, a32
	v_accvgpr_read_b32 v29, a33
.LBB9_878:                              ;   in Loop: Header=BB9_746 Depth=3
	s_or_b64 exec, exec, s[26:27]
	v_and_b32_e32 v4, 14, v2
	v_cndmask_b32_e32 v2, v36, v4, vcc
	s_mov_b64 s[26:27], 0
	v_mov_b32_e32 v14, 0
	v_cmp_ne_u32_e64 s[22:23], 0, v2
                                        ; implicit-def: $vgpr15
                                        ; implicit-def: $vgpr8
	s_mov_b64 s[58:59], exec
	v_accvgpr_read_b32 v6, a34
	s_and_b64 s[22:23], s[58:59], s[22:23]
	v_accvgpr_read_b32 v7, a35
	s_mov_b64 exec, s[22:23]
	s_cbranch_execz .LBB9_880
; %bb.879:                              ;   in Loop: Header=BB9_746 Depth=3
	v_sub_u32_e32 v0, v36, v4
	v_cndmask_b32_e32 v0, 0, v0, vcc
	v_cmp_lt_i32_e32 vcc, 0, v25
	v_add3_u32 v14, v19, v10, v0
	s_mov_b64 s[26:27], exec
	v_cndmask_b32_e32 v0, 0, v34, vcc
	v_sub_u32_e32 v0, v0, v25
	v_lshl_add_u32 v15, v0, 6, v11
	v_ashrrev_i32_e32 v0, 31, v15
	v_lshrrev_b32_e32 v0, 26, v0
	v_add_u32_e32 v0, v15, v0
	v_ashrrev_i32_e32 v8, 6, v0
.LBB9_880:                              ;   in Loop: Header=BB9_746 Depth=3
	s_or_b64 exec, exec, s[58:59]
	s_and_b64 s[26:27], s[26:27], exec
.LBB9_881:                              ;   in Loop: Header=BB9_746 Depth=3
	s_or_b64 exec, exec, s[24:25]
	s_and_saveexec_b64 s[22:23], s[26:27]
	s_cbranch_execz .LBB9_864
.LBB9_882:                              ;   in Loop: Header=BB9_746 Depth=3
	v_ashrrev_i32_e32 v0, 31, v2
	v_lshrrev_b32_e32 v0, 22, v0
	v_add_u32_e32 v0, v2, v0
	v_ashrrev_i32_e32 v25, 10, v0
	v_sub_u32_e32 v19, v25, v8
	v_cmp_lt_i32_e32 vcc, 0, v19
	s_and_saveexec_b64 s[24:25], vcc
	s_cbranch_execz .LBB9_886
; %bb.883:                              ;   in Loop: Header=BB9_746 Depth=3
	s_trap 2
	ds_read_b64 v[4:5], v0
	v_ashrrev_i32_e32 v0, 31, v15
	v_lshrrev_b32_e32 v0, 26, v0
	v_add_u32_e32 v0, v15, v0
	v_and_b32_e32 v0, 0x7fffffc0, v0
	v_sub_u32_e32 v0, v15, v0
	v_lshlrev_b32_e32 v0, 1, v0
	v_lshlrev_b32_e32 v6, 10, v8
	v_add3_u32 v8, v0, v14, v6
	v_ashrrev_i32_e32 v9, 31, v8
	s_mov_b64 s[26:27], 0
	s_waitcnt lgkmcnt(0)
	v_mov_b64_e32 v[10:11], v[4:5]
.LBB9_884:                              ;   Parent Loop BB9_47 Depth=1
                                        ;     Parent Loop BB9_743 Depth=2
                                        ;       Parent Loop BB9_746 Depth=3
                                        ; =>      This Inner Loop Header: Depth=4
	v_lshl_add_u64 v[26:27], v[8:9], 0, v[10:11]
	flat_load_ushort v0, v[26:27] nt
	flat_load_ushort v6, v[26:27] offset:128 nt
	flat_load_ushort v7, v[26:27] offset:256 nt
	;; [unrolled: 1-line block ×7, first 2 shown]
	v_sub_u32_e32 v19, v19, v34
	v_cmp_gt_i32_e32 vcc, 1, v19
	v_lshl_add_u64 v[26:27], v[8:9], 0, v[4:5]
	v_lshl_add_u64 v[10:11], v[10:11], 0, v[40:41]
	;; [unrolled: 1-line block ×3, first 2 shown]
	s_or_b64 s[26:27], vcc, s[26:27]
	s_waitcnt vmcnt(0) lgkmcnt(0)
	flat_store_short v[26:27], v0 nt
	flat_store_short v[26:27], v6 offset:128 nt
	flat_store_short v[26:27], v7 offset:256 nt
	;; [unrolled: 1-line block ×7, first 2 shown]
	s_andn2_b64 exec, exec, s[26:27]
	s_cbranch_execnz .LBB9_884
; %bb.885:                              ;   in Loop: Header=BB9_746 Depth=3
	s_or_b64 exec, exec, s[26:27]
	v_accvgpr_read_b32 v28, a32
	v_accvgpr_read_b32 v6, a34
	v_accvgpr_read_b32 v29, a33
	v_accvgpr_read_b32 v7, a35
.LBB9_886:                              ;   in Loop: Header=BB9_746 Depth=3
	s_or_b64 exec, exec, s[24:25]
	v_lshlrev_b32_e32 v4, 10, v25
	v_cmp_ne_u32_e32 vcc, v2, v4
	s_and_saveexec_b64 s[24:25], vcc
	s_cbranch_execz .LBB9_890
; %bb.887:                              ;   in Loop: Header=BB9_746 Depth=3
	v_ashrrev_i32_e32 v0, 31, v15
	v_lshrrev_b32_e32 v0, 26, v0
	v_add_u32_e32 v0, v15, v0
	v_and_b32_e32 v0, 0xffffffc0, v0
	v_sub_u32_e32 v0, v15, v0
	v_lshlrev_b32_e32 v5, 6, v19
	v_sub_u32_e32 v0, v0, v5
	v_ashrrev_i32_e32 v5, 31, v0
	v_lshrrev_b32_e32 v5, 26, v5
	v_add_u32_e32 v5, v0, v5
	v_and_b32_e32 v6, 0x7fffffc0, v5
	v_sub_u32_e32 v0, v0, v6
	v_lshlrev_b32_e32 v5, 1, v5
	v_and_b32_e32 v5, 0xffffff80, v5
	v_lshlrev_b32_e32 v0, 1, v0
	v_add3_u32 v8, v5, v0, v4
	v_accvgpr_read_b32 v6, a34
	v_sub_u32_e32 v2, v2, v8
	v_accvgpr_read_b32 v7, a35
	v_cmp_lt_i32_e32 vcc, 1, v2
	s_and_b64 exec, exec, vcc
	s_cbranch_execz .LBB9_890
; %bb.888:                              ;   in Loop: Header=BB9_746 Depth=3
	s_trap 2
	ds_read_b64 v[4:5], v0
	v_add_u32_e32 v8, v8, v14
	v_ashrrev_i32_e32 v9, 31, v8
	s_mov_b64 s[26:27], 0
.LBB9_889:                              ;   Parent Loop BB9_47 Depth=1
                                        ;     Parent Loop BB9_743 Depth=2
                                        ;       Parent Loop BB9_746 Depth=3
                                        ; =>      This Inner Loop Header: Depth=4
	s_waitcnt lgkmcnt(0)
	v_lshl_add_u64 v[10:11], v[4:5], 0, v[8:9]
	flat_load_ushort v0, v[10:11] nt
	v_sub_u32_e32 v2, v2, v61
	v_cmp_gt_i32_e32 vcc, 2, v2
	v_lshl_add_u64 v[8:9], v[8:9], 0, v[42:43]
	s_or_b64 s[26:27], vcc, s[26:27]
	s_waitcnt vmcnt(0) lgkmcnt(0)
	flat_store_short v[10:11], v0 nt
	s_andn2_b64 exec, exec, s[26:27]
	s_cbranch_execnz .LBB9_889
.LBB9_890:                              ;   in Loop: Header=BB9_746 Depth=3
	s_or_b64 exec, exec, s[24:25]
	s_or_b64 exec, exec, s[22:23]
	s_and_saveexec_b64 s[22:23], s[4:5]
	s_cbranch_execnz .LBB9_820
	s_branch .LBB9_865
.LBB9_891:                              ;   in Loop: Header=BB9_746 Depth=3
	s_or_b64 exec, exec, s[60:61]
	s_and_saveexec_b64 vcc, s[62:63]
	s_xor_b64 vcc, exec, vcc
	s_cbranch_execz .LBB9_893
; %bb.892:                              ;   in Loop: Header=BB9_746 Depth=3
	ds_write_b32 v0, v48
	s_trap 2
.LBB9_893:                              ;   in Loop: Header=BB9_746 Depth=3
	s_or_b64 exec, exec, s[58:59]
	;;#ASMSTART
	s_wakeup
	;;#ASMEND
.LBB9_894:                              ;   in Loop: Header=BB9_746 Depth=3
	s_or_b64 exec, exec, s[26:27]
.LBB9_895:                              ;   in Loop: Header=BB9_746 Depth=3
	s_andn2_saveexec_b64 s[24:25], s[24:25]
	s_cbranch_execz .LBB9_897
; %bb.896:                              ;   in Loop: Header=BB9_746 Depth=3
	s_waitcnt lgkmcnt(0)
	s_barrier
.LBB9_897:                              ;   in Loop: Header=BB9_746 Depth=3
	s_or_b64 exec, exec, s[24:25]
	s_or_b64 exec, exec, s[22:23]
                                        ; implicit-def: $vgpr2
	s_and_saveexec_b64 s[22:23], s[20:21]
	s_xor_b64 s[24:25], exec, s[22:23]
	s_cbranch_execnz .LBB9_866
.LBB9_898:                              ;   in Loop: Header=BB9_746 Depth=3
	s_andn2_saveexec_b64 s[22:23], s[24:25]
	s_cbranch_execz .LBB9_917
.LBB9_899:                              ;   in Loop: Header=BB9_746 Depth=3
	s_and_saveexec_b64 s[24:25], s[38:39]
	s_xor_b64 s[24:25], exec, s[24:25]
	s_cbranch_execz .LBB9_914
; %bb.900:                              ;   in Loop: Header=BB9_746 Depth=3
	s_and_saveexec_b64 s[26:27], s[12:13]
	s_cbranch_execz .LBB9_913
; %bb.901:                              ;   in Loop: Header=BB9_746 Depth=3
	s_mov_b64 s[60:61], exec
	v_mbcnt_lo_u32_b32 v0, s60, 0
	v_mbcnt_hi_u32_b32 v0, s61, v0
	v_cmp_eq_u32_e32 vcc, 0, v0
	;;#ASMSTART
	s_waitcnt lgkmcnt(0) vmcnt(0)
	;;#ASMEND
	s_and_saveexec_b64 s[58:59], vcc
	s_cbranch_execz .LBB9_903
; %bb.902:                              ;   in Loop: Header=BB9_746 Depth=3
	s_bcnt1_i32_b64 vcc_lo, s[60:61]
	v_mov_b32_e32 v2, vcc_lo
	ds_add_u64 v0, v[2:3]
	s_trap 2
.LBB9_903:                              ;   in Loop: Header=BB9_746 Depth=3
	s_or_b64 exec, exec, s[58:59]
	s_trap 2
	ds_read_b64 v[4:5], v0
	v_lshl_add_u64 v[12:13], v[12:13], 0, v[34:35]
	s_waitcnt lgkmcnt(0)
	v_cmp_lt_u64_e32 vcc, v[4:5], v[12:13]
	s_and_saveexec_b64 s[58:59], vcc
	s_cbranch_execz .LBB9_912
; %bb.904:                              ;   in Loop: Header=BB9_746 Depth=3
	s_mov_b32 s87, 0
	s_mov_b64 s[60:61], 0
                                        ; implicit-def: $sgpr62_sgpr63
                                        ; implicit-def: $sgpr64_sgpr65
	s_branch .LBB9_906
.LBB9_905:                              ;   in Loop: Header=BB9_906 Depth=4
	s_or_b64 exec, exec, s[68:69]
	s_and_b64 vcc, exec, vcc
	s_or_b64 s[60:61], vcc, s[60:61]
	s_andn2_b64 vcc, s[62:63], exec
	s_and_b64 s[62:63], s[64:65], exec
	s_or_b64 s[62:63], vcc, s[62:63]
	s_andn2_b64 exec, exec, s[60:61]
	s_cbranch_execz .LBB9_910
.LBB9_906:                              ;   Parent Loop BB9_47 Depth=1
                                        ;     Parent Loop BB9_743 Depth=2
                                        ;       Parent Loop BB9_746 Depth=3
                                        ; =>      This Inner Loop Header: Depth=4
	s_add_i32 s87, s87, 1
	s_cmpk_lg_i32 s87, 0x2710
	s_cselect_b64 s[66:67], -1, 0
	s_and_b64 vcc, exec, s[66:67]
                                        ; implicit-def: $sgpr68_sgpr69
	s_cbranch_vccnz .LBB9_908
; %bb.907:                              ;   in Loop: Header=BB9_906 Depth=4
	s_trap 2
	ds_read_b64 v[4:5], v0
	s_andn2_b64 s[66:67], s[66:67], exec
	s_mov_b32 s87, 0
	s_mov_b64 s[68:69], -1
	s_waitcnt vmcnt(0) lgkmcnt(0)
	flat_load_dword v0, v[4:5] sc0 sc1
	s_waitcnt vmcnt(0) lgkmcnt(0)
	buffer_inv sc0 sc1
	v_cmp_eq_u32_e32 vcc, 0, v0
	s_and_b64 vcc, vcc, exec
	s_or_b64 s[66:67], s[66:67], vcc
.LBB9_908:                              ;   in Loop: Header=BB9_906 Depth=4
	s_andn2_b64 s[64:65], s[64:65], exec
	s_and_b64 s[68:69], s[68:69], exec
	s_mov_b64 vcc, -1
	s_or_b64 s[64:65], s[64:65], s[68:69]
	s_and_saveexec_b64 s[68:69], s[66:67]
	s_cbranch_execz .LBB9_905
; %bb.909:                              ;   in Loop: Header=BB9_906 Depth=4
	s_sleep 1
	s_trap 2
	ds_read_b64 v[4:5], v0
	s_andn2_b64 s[64:65], s[64:65], exec
	s_waitcnt lgkmcnt(0)
	v_cmp_ge_u64_e32 vcc, v[4:5], v[12:13]
	s_orn2_b64 vcc, vcc, exec
	s_branch .LBB9_905
.LBB9_910:                              ;   in Loop: Header=BB9_746 Depth=3
	s_or_b64 exec, exec, s[60:61]
	s_and_saveexec_b64 vcc, s[62:63]
	s_xor_b64 vcc, exec, vcc
	s_cbranch_execz .LBB9_912
; %bb.911:                              ;   in Loop: Header=BB9_746 Depth=3
	ds_write_b32 v0, v48
	s_trap 2
.LBB9_912:                              ;   in Loop: Header=BB9_746 Depth=3
	s_or_b64 exec, exec, s[58:59]
	;;#ASMSTART
	s_wakeup
	;;#ASMEND
.LBB9_913:                              ;   in Loop: Header=BB9_746 Depth=3
	s_or_b64 exec, exec, s[26:27]
.LBB9_914:                              ;   in Loop: Header=BB9_746 Depth=3
	s_andn2_saveexec_b64 s[24:25], s[24:25]
	s_cbranch_execz .LBB9_916
; %bb.915:                              ;   in Loop: Header=BB9_746 Depth=3
	;;#ASMSTART
	s_waitcnt lgkmcnt(0) vmcnt(0)
	;;#ASMEND
	s_barrier
.LBB9_916:                              ;   in Loop: Header=BB9_746 Depth=3
	s_or_b64 exec, exec, s[24:25]
	v_and_b32_e32 v2, 16, v62
.LBB9_917:                              ;   in Loop: Header=BB9_746 Depth=3
	s_or_b64 exec, exec, s[22:23]
	v_cmp_ne_u32_e32 vcc, 0, v2
	s_xor_b64 s[22:23], s[6:7], -1
	s_and_b64 s[24:25], vcc, s[22:23]
	s_and_saveexec_b64 s[22:23], s[24:25]
	s_cbranch_execz .LBB9_919
; %bb.918:                              ;   in Loop: Header=BB9_746 Depth=3
	flat_store_dword v[58:59], v48 sc0 sc1
.LBB9_919:                              ;   in Loop: Header=BB9_746 Depth=3
	s_or_b64 exec, exec, s[22:23]
	v_and_b32_e32 v0, 48, v62
	v_cmp_ne_u32_e32 vcc, 0, v0
	s_and_saveexec_b64 s[22:23], vcc
	s_cbranch_execz .LBB9_745
; %bb.920:                              ;   in Loop: Header=BB9_746 Depth=3
	v_lshl_add_u64 v[20:21], v[20:21], 0, 2
	flat_store_dwordx2 v[22:23], v[20:21] sc0 sc1
	s_branch .LBB9_745
.LBB9_921:                              ;   in Loop: Header=BB9_743 Depth=2
	s_or_b64 exec, exec, s[28:29]
	v_cmp_gt_i32_e32 vcc, 2, v2
	s_and_saveexec_b64 s[24:25], vcc
	s_cbranch_execz .LBB9_995
.LBB9_922:                              ;   in Loop: Header=BB9_743 Depth=2
	v_cmp_eq_u32_e64 s[22:23], 0, v2
	s_mov_b64 s[26:27], 0
	s_branch .LBB9_924
.LBB9_923:                              ;   in Loop: Header=BB9_924 Depth=3
	s_or_b64 exec, exec, s[22:23]
	v_add_u32_e32 v18, v16, v18
	s_mov_b64 s[22:23], 0
	s_andn2_b64 exec, exec, s[26:27]
	s_cbranch_execz .LBB9_996
.LBB9_924:                              ;   Parent Loop BB9_47 Depth=1
                                        ;     Parent Loop BB9_743 Depth=2
                                        ; =>    This Loop Header: Depth=3
                                        ;         Child Loop BB9_930 Depth 4
                                        ;         Child Loop BB9_960 Depth 4
	;; [unrolled: 1-line block ×3, first 2 shown]
	v_and_b32_e32 v0, 12, v62
	s_mov_b64 s[54:55], -1
	v_cmp_ne_u32_e32 vcc, 0, v0
	s_and_saveexec_b64 s[28:29], vcc
	s_cbranch_execz .LBB9_936
; %bb.925:                              ;   in Loop: Header=BB9_924 Depth=3
	v_and_b32_e32 v2, 8, v62
	v_lshl_add_u64 v[8:9], v[32:33], 0, v[2:3]
	v_lshl_add_u64 v[4:5], v[20:21], 0, 2
	v_cmp_lt_u64_e32 vcc, v[8:9], v[4:5]
	v_mov_b32_e32 v8, 1
	s_and_saveexec_b64 s[54:55], vcc
	s_cbranch_execz .LBB9_935
; %bb.926:                              ;   in Loop: Header=BB9_924 Depth=3
	s_mov_b64 s[56:57], 0
	v_mov_b32_e32 v8, 0
                                        ; implicit-def: $sgpr58_sgpr59
	s_branch .LBB9_930
.LBB9_927:                              ;   in Loop: Header=BB9_930 Depth=4
	s_or_b64 exec, exec, s[66:67]
	v_mov_b32_e32 v9, 0
	s_orn2_b64 s[64:65], s[64:65], exec
.LBB9_928:                              ;   in Loop: Header=BB9_930 Depth=4
	s_or_b64 exec, exec, s[62:63]
	s_andn2_b64 vcc, s[58:59], exec
	s_and_b64 s[58:59], s[64:65], exec
	s_or_b64 s[58:59], vcc, s[58:59]
	v_mov_b32_e32 v8, v9
.LBB9_929:                              ;   in Loop: Header=BB9_930 Depth=4
	s_or_b64 exec, exec, s[60:61]
	s_waitcnt vmcnt(0) lgkmcnt(0)
	v_lshl_add_u64 v[10:11], v[32:33], 0, v[2:3]
	v_cmp_ge_u64_e32 vcc, v[10:11], v[4:5]
	s_xor_b64 s[60:61], s[58:59], -1
	s_or_b64 vcc, s[60:61], vcc
	s_and_b64 vcc, exec, vcc
	s_or_b64 s[56:57], vcc, s[56:57]
	s_andn2_b64 exec, exec, s[56:57]
	s_cbranch_execz .LBB9_934
.LBB9_930:                              ;   Parent Loop BB9_47 Depth=1
                                        ;     Parent Loop BB9_743 Depth=2
                                        ;       Parent Loop BB9_924 Depth=3
                                        ; =>      This Inner Loop Header: Depth=4
	s_sleep 1
	flat_load_dwordx2 v[32:33], v[22:23] sc0 sc1
	v_and_b32_e32 v0, 64, v62
	v_cmp_eq_u32_e32 vcc, 0, v0
	s_andn2_b64 s[58:59], s[58:59], exec
	s_and_saveexec_b64 s[60:61], vcc
	s_cbranch_execz .LBB9_929
; %bb.931:                              ;   in Loop: Header=BB9_930 Depth=4
	v_add_u32_e32 v9, 1, v8
	v_cmp_lt_i32_e32 vcc, s82, v8
	s_mov_b64 s[64:65], -1
	s_and_saveexec_b64 s[62:63], vcc
	s_cbranch_execz .LBB9_928
; %bb.932:                              ;   in Loop: Header=BB9_930 Depth=4
	s_trap 2
	ds_read_b64 v[8:9], v0
	s_waitcnt vmcnt(0) lgkmcnt(0)
	flat_load_dword v8, v[8:9] sc0 sc1
	s_waitcnt vmcnt(0) lgkmcnt(0)
	buffer_inv sc0 sc1
	v_cmp_ne_u32_e32 vcc, 0, v8
	s_and_saveexec_b64 s[66:67], vcc
	s_cbranch_execz .LBB9_927
; %bb.933:                              ;   in Loop: Header=BB9_930 Depth=4
	v_or_b32_e32 v62, 64, v62
	s_xor_b64 s[64:65], exec, -1
	ds_write_b32 v0, v8
	s_trap 2
	s_branch .LBB9_927
.LBB9_934:                              ;   in Loop: Header=BB9_924 Depth=3
	s_or_b64 exec, exec, s[56:57]
	v_and_b32_e32 v8, 12, v62
.LBB9_935:                              ;   in Loop: Header=BB9_924 Depth=3
	s_or_b64 exec, exec, s[54:55]
	v_cmp_eq_u32_e32 vcc, 0, v8
	s_orn2_b64 s[54:55], vcc, exec
	;;#ASMSTART
	s_wakeup
	;;#ASMEND
.LBB9_936:                              ;   in Loop: Header=BB9_924 Depth=3
	s_or_b64 exec, exec, s[28:29]
	s_xor_b64 s[22:23], s[22:23], -1
	s_and_b64 s[22:23], exec, s[22:23]
	s_or_b64 s[26:27], s[22:23], s[26:27]
	v_sub_u32_e32 v0, v1, v18
	s_xor_b64 s[22:23], s[54:55], -1
	v_min_i32_e32 v16, v16, v0
	s_and_saveexec_b64 s[28:29], s[22:23]
	s_cbranch_execz .LBB9_952
; %bb.937:                              ;   in Loop: Header=BB9_924 Depth=3
	v_and_b32_e32 v0, 0x108, v62
	v_cmp_ne_u32_e32 vcc, s83, v0
	v_and_b32_e32 v2, 7, v20
	s_and_saveexec_b64 s[22:23], vcc
	s_xor_b64 s[22:23], exec, s[22:23]
	s_andn2_saveexec_b64 s[22:23], s[22:23]
	s_cbranch_execz .LBB9_939
; %bb.938:                              ;   in Loop: Header=BB9_924 Depth=3
	v_ashrrev_i32_e32 v17, 31, v16
	v_mad_u64_u32 v[4:5], vcc, v2, 24, v[44:45]
	v_lshlrev_b64 v[8:9], 1, v[16:17]
	flat_store_dwordx2 v[4:5], v[8:9] offset:8
.LBB9_939:                              ;   in Loop: Header=BB9_924 Depth=3
	s_or_b64 exec, exec, s[22:23]
	v_and_b32_e32 v0, 0x100, v62
	v_cmp_ne_u32_e32 vcc, 0, v0
	s_mov_b64 s[22:23], -1
                                        ; implicit-def: $vgpr4_vgpr5
	s_and_saveexec_b64 s[54:55], vcc
	s_cbranch_execz .LBB9_943
; %bb.940:                              ;   in Loop: Header=BB9_924 Depth=3
	v_mad_u64_u32 v[8:9], s[22:23], v2, 24, v[44:45]
	v_mov_b32_e32 v4, v9
	v_mad_u64_u32 v[4:5], s[22:23], v3, 24, v[4:5]
	v_mov_b32_e32 v9, v4
	flat_load_dword v0, v[8:9]
                                        ; implicit-def: $vgpr4_vgpr5
	s_waitcnt vmcnt(0) lgkmcnt(0)
	v_cmp_ne_u32_e32 vcc, 1, v0
	v_cmp_eq_u32_e64 s[22:23], 1, v0
	s_and_saveexec_b64 s[56:57], s[22:23]
	s_cbranch_execz .LBB9_942
; %bb.941:                              ;   in Loop: Header=BB9_924 Depth=3
	flat_load_dword v4, v[8:9] offset:4 sc0 sc1
	s_waitcnt vmcnt(0) lgkmcnt(0)
	v_ashrrev_i32_e32 v5, 31, v4
	v_lshrrev_b64 v[4:5], 1, v[4:5]
.LBB9_942:                              ;   in Loop: Header=BB9_924 Depth=3
	s_or_b64 exec, exec, s[56:57]
	s_orn2_b64 s[22:23], vcc, exec
.LBB9_943:                              ;   in Loop: Header=BB9_924 Depth=3
	s_or_b64 exec, exec, s[54:55]
	s_and_saveexec_b64 vcc, s[22:23]
; %bb.944:                              ;   in Loop: Header=BB9_924 Depth=3
	v_mul_lo_u32 v0, v3, v60
	v_mul_lo_u32 v6, v2, v53
	v_mad_u64_u32 v[4:5], s[22:23], v2, v60, 0
	v_add3_u32 v5, v5, v6, v0
; %bb.945:                              ;   in Loop: Header=BB9_924 Depth=3
	s_or_b64 exec, exec, vcc
	v_lshl_add_u64 v[4:5], v[4:5], 1, v[56:57]
	s_trap 2
	ds_write_b64 v0, v[4:5]
	v_and_b32_e32 v0, 0x2000, v62
	v_cmp_ne_u32_e32 vcc, 0, v0
	s_and_saveexec_b64 s[22:23], vcc
	s_cbranch_execz .LBB9_947
; %bb.946:                              ;   in Loop: Header=BB9_924 Depth=3
	ds_read_b64 v[4:5], v0 offset:584
	s_waitcnt lgkmcnt(0)
	v_lshl_add_u64 v[4:5], v[4:5], 0, 1
	ds_write_b64 v0, v[4:5] offset:584
.LBB9_947:                              ;   in Loop: Header=BB9_924 Depth=3
	s_or_b64 exec, exec, s[22:23]
	v_lshl_add_u64 v[20:21], v[20:21], 0, 2
	s_or_b64 exec, exec, s[28:29]
	s_and_saveexec_b64 s[22:23], s[4:5]
	s_cbranch_execnz .LBB9_953
.LBB9_948:                              ;   in Loop: Header=BB9_924 Depth=3
	s_or_b64 exec, exec, s[22:23]
                                        ; implicit-def: $vgpr2
	s_and_saveexec_b64 s[22:23], s[20:21]
	s_xor_b64 s[22:23], exec, s[22:23]
	s_cbranch_execz .LBB9_971
.LBB9_949:                              ;   in Loop: Header=BB9_924 Depth=3
	s_trap 2
	ds_read_b32 v0, v0
	v_cmp_lt_i32_e32 vcc, 0, v16
	v_and_b32_e32 v4, 16, v62
	v_and_b32_e32 v2, 16, v62
	s_waitcnt lgkmcnt(0)
	v_readfirstlane_b32 s28, v0
	s_cmp_eq_u32 s28, 0
	s_cselect_b64 s[28:29], -1, 0
	s_and_b64 s[28:29], vcc, s[28:29]
	v_cmp_ne_u32_e32 vcc, 0, v4
	s_and_b64 vcc, vcc, s[28:29]
	s_and_saveexec_b64 s[28:29], vcc
	s_cbranch_execz .LBB9_951
; %bb.950:                              ;   in Loop: Header=BB9_924 Depth=3
	v_mov_b32_e32 v2, 1
	buffer_wbl2 sc1
	s_waitcnt vmcnt(0)
	buffer_inv sc1
.LBB9_951:                              ;   in Loop: Header=BB9_924 Depth=3
	s_or_b64 exec, exec, s[28:29]
	s_andn2_saveexec_b64 s[22:23], s[22:23]
	s_cbranch_execz .LBB9_990
	s_branch .LBB9_972
.LBB9_952:                              ;   in Loop: Header=BB9_924 Depth=3
	s_or_b64 exec, exec, s[28:29]
	s_and_saveexec_b64 s[22:23], s[4:5]
	s_cbranch_execz .LBB9_948
.LBB9_953:                              ;   in Loop: Header=BB9_924 Depth=3
	s_and_saveexec_b64 s[28:29], s[38:39]
	s_xor_b64 s[28:29], exec, s[28:29]
	s_cbranch_execz .LBB9_968
; %bb.954:                              ;   in Loop: Header=BB9_924 Depth=3
	s_and_saveexec_b64 s[54:55], s[12:13]
	s_cbranch_execz .LBB9_967
; %bb.955:                              ;   in Loop: Header=BB9_924 Depth=3
	s_mov_b64 s[58:59], exec
	v_mbcnt_lo_u32_b32 v0, s58, 0
	v_mbcnt_hi_u32_b32 v0, s59, v0
	v_cmp_eq_u32_e32 vcc, 0, v0
	s_waitcnt lgkmcnt(0)
	s_and_saveexec_b64 s[56:57], vcc
	s_cbranch_execz .LBB9_957
; %bb.956:                              ;   in Loop: Header=BB9_924 Depth=3
	s_bcnt1_i32_b64 vcc_lo, s[58:59]
	v_mov_b32_e32 v2, vcc_lo
	ds_add_u64 v0, v[2:3]
	s_trap 2
.LBB9_957:                              ;   in Loop: Header=BB9_924 Depth=3
	s_or_b64 exec, exec, s[56:57]
	s_trap 2
	ds_read_b64 v[4:5], v0
	v_lshl_add_u64 v[12:13], v[12:13], 0, v[34:35]
	s_waitcnt lgkmcnt(0)
	v_cmp_lt_u64_e32 vcc, v[4:5], v[12:13]
	s_and_saveexec_b64 s[56:57], vcc
	s_cbranch_execz .LBB9_966
; %bb.958:                              ;   in Loop: Header=BB9_924 Depth=3
	s_mov_b32 s68, 0
	s_mov_b64 s[58:59], 0
                                        ; implicit-def: $sgpr60_sgpr61
                                        ; implicit-def: $sgpr62_sgpr63
	s_branch .LBB9_960
.LBB9_959:                              ;   in Loop: Header=BB9_960 Depth=4
	s_or_b64 exec, exec, s[66:67]
	s_and_b64 vcc, exec, vcc
	s_or_b64 s[58:59], vcc, s[58:59]
	s_andn2_b64 vcc, s[60:61], exec
	s_and_b64 s[60:61], s[62:63], exec
	s_or_b64 s[60:61], vcc, s[60:61]
	s_andn2_b64 exec, exec, s[58:59]
	s_cbranch_execz .LBB9_964
.LBB9_960:                              ;   Parent Loop BB9_47 Depth=1
                                        ;     Parent Loop BB9_743 Depth=2
                                        ;       Parent Loop BB9_924 Depth=3
                                        ; =>      This Inner Loop Header: Depth=4
	s_add_i32 s68, s68, 1
	s_cmpk_lg_i32 s68, 0x2710
	s_cselect_b64 s[64:65], -1, 0
	s_and_b64 vcc, exec, s[64:65]
                                        ; implicit-def: $sgpr66_sgpr67
	s_cbranch_vccnz .LBB9_962
; %bb.961:                              ;   in Loop: Header=BB9_960 Depth=4
	s_trap 2
	ds_read_b64 v[4:5], v0
	s_andn2_b64 s[64:65], s[64:65], exec
	s_mov_b32 s68, 0
	s_mov_b64 s[66:67], -1
	s_waitcnt vmcnt(0) lgkmcnt(0)
	flat_load_dword v0, v[4:5] sc0 sc1
	s_waitcnt vmcnt(0) lgkmcnt(0)
	buffer_inv sc0 sc1
	v_cmp_eq_u32_e32 vcc, 0, v0
	s_and_b64 vcc, vcc, exec
	s_or_b64 s[64:65], s[64:65], vcc
.LBB9_962:                              ;   in Loop: Header=BB9_960 Depth=4
	s_andn2_b64 s[62:63], s[62:63], exec
	s_and_b64 s[66:67], s[66:67], exec
	s_mov_b64 vcc, -1
	s_or_b64 s[62:63], s[62:63], s[66:67]
	s_and_saveexec_b64 s[66:67], s[64:65]
	s_cbranch_execz .LBB9_959
; %bb.963:                              ;   in Loop: Header=BB9_960 Depth=4
	s_sleep 1
	s_trap 2
	ds_read_b64 v[4:5], v0
	s_andn2_b64 s[62:63], s[62:63], exec
	s_waitcnt lgkmcnt(0)
	v_cmp_ge_u64_e32 vcc, v[4:5], v[12:13]
	s_orn2_b64 vcc, vcc, exec
	s_branch .LBB9_959
.LBB9_964:                              ;   in Loop: Header=BB9_924 Depth=3
	s_or_b64 exec, exec, s[58:59]
	s_and_saveexec_b64 vcc, s[60:61]
	s_xor_b64 vcc, exec, vcc
	s_cbranch_execz .LBB9_966
; %bb.965:                              ;   in Loop: Header=BB9_924 Depth=3
	ds_write_b32 v0, v48
	s_trap 2
.LBB9_966:                              ;   in Loop: Header=BB9_924 Depth=3
	s_or_b64 exec, exec, s[56:57]
	;;#ASMSTART
	s_wakeup
	;;#ASMEND
.LBB9_967:                              ;   in Loop: Header=BB9_924 Depth=3
	s_or_b64 exec, exec, s[54:55]
.LBB9_968:                              ;   in Loop: Header=BB9_924 Depth=3
	s_andn2_saveexec_b64 s[28:29], s[28:29]
	s_cbranch_execz .LBB9_970
; %bb.969:                              ;   in Loop: Header=BB9_924 Depth=3
	s_waitcnt lgkmcnt(0)
	s_barrier
.LBB9_970:                              ;   in Loop: Header=BB9_924 Depth=3
	s_or_b64 exec, exec, s[28:29]
	s_or_b64 exec, exec, s[22:23]
                                        ; implicit-def: $vgpr2
	s_and_saveexec_b64 s[22:23], s[20:21]
	s_xor_b64 s[22:23], exec, s[22:23]
	s_cbranch_execnz .LBB9_949
.LBB9_971:                              ;   in Loop: Header=BB9_924 Depth=3
	s_andn2_saveexec_b64 s[22:23], s[22:23]
	s_cbranch_execz .LBB9_990
.LBB9_972:                              ;   in Loop: Header=BB9_924 Depth=3
	s_and_saveexec_b64 s[28:29], s[38:39]
	s_xor_b64 s[28:29], exec, s[28:29]
	s_cbranch_execz .LBB9_987
; %bb.973:                              ;   in Loop: Header=BB9_924 Depth=3
	s_and_saveexec_b64 s[54:55], s[12:13]
	s_cbranch_execz .LBB9_986
; %bb.974:                              ;   in Loop: Header=BB9_924 Depth=3
	s_mov_b64 s[58:59], exec
	v_mbcnt_lo_u32_b32 v0, s58, 0
	v_mbcnt_hi_u32_b32 v0, s59, v0
	v_cmp_eq_u32_e32 vcc, 0, v0
	;;#ASMSTART
	s_waitcnt lgkmcnt(0) vmcnt(0)
	;;#ASMEND
	s_and_saveexec_b64 s[56:57], vcc
	s_cbranch_execz .LBB9_976
; %bb.975:                              ;   in Loop: Header=BB9_924 Depth=3
	s_bcnt1_i32_b64 vcc_lo, s[58:59]
	v_mov_b32_e32 v2, vcc_lo
	ds_add_u64 v0, v[2:3]
	s_trap 2
.LBB9_976:                              ;   in Loop: Header=BB9_924 Depth=3
	s_or_b64 exec, exec, s[56:57]
	s_trap 2
	ds_read_b64 v[4:5], v0
	v_lshl_add_u64 v[12:13], v[12:13], 0, v[34:35]
	s_waitcnt lgkmcnt(0)
	v_cmp_lt_u64_e32 vcc, v[4:5], v[12:13]
	s_and_saveexec_b64 s[56:57], vcc
	s_cbranch_execz .LBB9_985
; %bb.977:                              ;   in Loop: Header=BB9_924 Depth=3
	s_mov_b32 s68, 0
	s_mov_b64 s[58:59], 0
                                        ; implicit-def: $sgpr60_sgpr61
                                        ; implicit-def: $sgpr62_sgpr63
	s_branch .LBB9_979
.LBB9_978:                              ;   in Loop: Header=BB9_979 Depth=4
	s_or_b64 exec, exec, s[66:67]
	s_and_b64 vcc, exec, vcc
	s_or_b64 s[58:59], vcc, s[58:59]
	s_andn2_b64 vcc, s[60:61], exec
	s_and_b64 s[60:61], s[62:63], exec
	s_or_b64 s[60:61], vcc, s[60:61]
	s_andn2_b64 exec, exec, s[58:59]
	s_cbranch_execz .LBB9_983
.LBB9_979:                              ;   Parent Loop BB9_47 Depth=1
                                        ;     Parent Loop BB9_743 Depth=2
                                        ;       Parent Loop BB9_924 Depth=3
                                        ; =>      This Inner Loop Header: Depth=4
	s_add_i32 s68, s68, 1
	s_cmpk_lg_i32 s68, 0x2710
	s_cselect_b64 s[64:65], -1, 0
	s_and_b64 vcc, exec, s[64:65]
                                        ; implicit-def: $sgpr66_sgpr67
	s_cbranch_vccnz .LBB9_981
; %bb.980:                              ;   in Loop: Header=BB9_979 Depth=4
	s_trap 2
	ds_read_b64 v[4:5], v0
	s_andn2_b64 s[64:65], s[64:65], exec
	s_mov_b32 s68, 0
	s_mov_b64 s[66:67], -1
	s_waitcnt vmcnt(0) lgkmcnt(0)
	flat_load_dword v0, v[4:5] sc0 sc1
	s_waitcnt vmcnt(0) lgkmcnt(0)
	buffer_inv sc0 sc1
	v_cmp_eq_u32_e32 vcc, 0, v0
	s_and_b64 vcc, vcc, exec
	s_or_b64 s[64:65], s[64:65], vcc
.LBB9_981:                              ;   in Loop: Header=BB9_979 Depth=4
	s_andn2_b64 s[62:63], s[62:63], exec
	s_and_b64 s[66:67], s[66:67], exec
	s_mov_b64 vcc, -1
	s_or_b64 s[62:63], s[62:63], s[66:67]
	s_and_saveexec_b64 s[66:67], s[64:65]
	s_cbranch_execz .LBB9_978
; %bb.982:                              ;   in Loop: Header=BB9_979 Depth=4
	s_sleep 1
	s_trap 2
	ds_read_b64 v[4:5], v0
	s_andn2_b64 s[62:63], s[62:63], exec
	s_waitcnt lgkmcnt(0)
	v_cmp_ge_u64_e32 vcc, v[4:5], v[12:13]
	s_orn2_b64 vcc, vcc, exec
	s_branch .LBB9_978
.LBB9_983:                              ;   in Loop: Header=BB9_924 Depth=3
	s_or_b64 exec, exec, s[58:59]
	s_and_saveexec_b64 vcc, s[60:61]
	s_xor_b64 vcc, exec, vcc
	s_cbranch_execz .LBB9_985
; %bb.984:                              ;   in Loop: Header=BB9_924 Depth=3
	ds_write_b32 v0, v48
	s_trap 2
.LBB9_985:                              ;   in Loop: Header=BB9_924 Depth=3
	s_or_b64 exec, exec, s[56:57]
	;;#ASMSTART
	s_wakeup
	;;#ASMEND
.LBB9_986:                              ;   in Loop: Header=BB9_924 Depth=3
	s_or_b64 exec, exec, s[54:55]
.LBB9_987:                              ;   in Loop: Header=BB9_924 Depth=3
	s_andn2_saveexec_b64 s[28:29], s[28:29]
	s_cbranch_execz .LBB9_989
; %bb.988:                              ;   in Loop: Header=BB9_924 Depth=3
	;;#ASMSTART
	s_waitcnt lgkmcnt(0) vmcnt(0)
	;;#ASMEND
	s_barrier
.LBB9_989:                              ;   in Loop: Header=BB9_924 Depth=3
	s_or_b64 exec, exec, s[28:29]
	v_and_b32_e32 v2, 16, v62
.LBB9_990:                              ;   in Loop: Header=BB9_924 Depth=3
	s_or_b64 exec, exec, s[22:23]
	v_cmp_ne_u32_e32 vcc, 0, v2
	s_xor_b64 s[22:23], s[6:7], -1
	s_and_b64 s[28:29], vcc, s[22:23]
	s_and_saveexec_b64 s[22:23], s[28:29]
	s_cbranch_execz .LBB9_992
; %bb.991:                              ;   in Loop: Header=BB9_924 Depth=3
	flat_store_dword v[58:59], v48 sc0 sc1
.LBB9_992:                              ;   in Loop: Header=BB9_924 Depth=3
	s_or_b64 exec, exec, s[22:23]
	v_and_b32_e32 v0, 48, v62
	v_cmp_ne_u32_e32 vcc, 0, v0
	s_and_saveexec_b64 s[22:23], vcc
	s_cbranch_execz .LBB9_923
; %bb.993:                              ;   in Loop: Header=BB9_924 Depth=3
	v_lshl_add_u64 v[20:21], v[20:21], 0, 2
	flat_store_dwordx2 v[22:23], v[20:21] sc0 sc1
	s_branch .LBB9_923
.LBB9_994:                              ;   in Loop: Header=BB9_743 Depth=2
	s_or_b64 exec, exec, s[54:55]
	s_or_b64 exec, exec, s[28:29]
	v_cmp_gt_i32_e32 vcc, 2, v2
	s_and_saveexec_b64 s[24:25], vcc
	s_cbranch_execnz .LBB9_922
.LBB9_995:                              ;   in Loop: Header=BB9_743 Depth=2
	s_or_b64 exec, exec, s[24:25]
	s_add_i32 s22, s70, 1
	s_cmp_eq_u32 s70, s79
	s_cbranch_scc0 .LBB9_997
	s_branch .LBB9_998
.LBB9_996:                              ;   in Loop: Header=BB9_743 Depth=2
	s_or_b64 exec, exec, s[26:27]
	s_or_b64 exec, exec, s[24:25]
	s_add_i32 s22, s70, 1
	s_cmp_eq_u32 s70, s79
	s_cbranch_scc1 .LBB9_998
.LBB9_997:                              ;   in Loop: Header=BB9_743 Depth=2
	s_mov_b32 s70, s22
	s_branch .LBB9_743
.LBB9_998:                              ;   in Loop: Header=BB9_47 Depth=1
	v_accvgpr_read_b32 v6, a38
	v_accvgpr_read_b32 v7, a39
	v_mul_lo_u32 v0, v7, s80
	v_mul_lo_u32 v1, v6, s81
	v_mad_u64_u32 v[4:5], s[22:23], v6, s80, 0
	v_add3_u32 v5, v5, v1, v0
	v_accvgpr_read_b32 v0, a40
	v_accvgpr_read_b32 v1, a41
	v_sub_co_u32_e32 v8, vcc, v0, v4
	v_accvgpr_read_b32 v10, a42
	s_nop 0
	v_subb_co_u32_e32 v9, vcc, v1, v5, vcc
	v_cmp_lt_i64_e32 vcc, v[6:7], v[8:9]
	v_accvgpr_read_b32 v11, a43
	s_nop 0
	v_cndmask_b32_e32 v0, v8, v6, vcc
	v_max_i32_e32 v1, 0, v0
	v_add_u32_e32 v2, 31, v1
	v_ashrrev_i32_e32 v6, 31, v2
	v_lshrrev_b32_e32 v6, 27, v6
	v_add_u32_e32 v2, v2, v6
	v_ashrrev_i32_e32 v2, 5, v2
	v_lshlrev_b32_e32 v2, 4, v2
	v_cmp_lt_i32_e32 vcc, 0, v0
	v_max_i32_e32 v18, s78, v2
	s_and_b64 s[22:23], s[50:51], vcc
	v_mov_b32_e32 v2, 0
	v_mov_b32_e32 v8, 0
	s_and_saveexec_b64 s[24:25], s[22:23]
	s_cbranch_execz .LBB9_1138
; %bb.999:                              ;   in Loop: Header=BB9_47 Depth=1
	v_lshl_add_u64 v[4:5], v[4:5], 0, v[10:11]
	s_mov_b32 s70, 1
	s_mov_b64 s[28:29], -1
	s_mov_b64 s[26:27], 0
	v_mov_b32_e32 v8, 0
	v_lshlrev_b64 v[10:11], 1, v[4:5]
	s_branch .LBB9_1001
.LBB9_1000:                             ;   in Loop: Header=BB9_1001 Depth=2
	s_or_b64 exec, exec, s[22:23]
	v_add_u32_e32 v8, v18, v8
	v_cmp_ge_i32_e32 vcc, v8, v1
	s_xor_b64 s[22:23], s[28:29], -1
	s_or_b64 s[22:23], s[22:23], vcc
	s_and_b64 s[22:23], exec, s[22:23]
	s_or_b64 s[26:27], s[22:23], s[26:27]
	s_mov_b64 s[28:29], 0
	v_mov_b32_e32 v2, s70
	s_mov_b32 s70, 2
	s_andn2_b64 exec, exec, s[26:27]
	s_cbranch_execz .LBB9_1137
.LBB9_1001:                             ;   Parent Loop BB9_47 Depth=1
                                        ; =>  This Loop Header: Depth=2
                                        ;       Child Loop BB9_1009 Depth 3
                                        ;       Child Loop BB9_1033 Depth 3
	;; [unrolled: 1-line block ×9, first 2 shown]
	s_and_saveexec_b64 s[22:23], s[0:1]
	s_cbranch_execz .LBB9_1003
; %bb.1002:                             ;   in Loop: Header=BB9_1001 Depth=2
	s_trap 2
	ds_read_b128 v[14:17], v0
	v_ashrrev_i32_e32 v9, 31, v8
	v_lshlrev_b64 v[4:5], 1, v[8:9]
	s_waitcnt lgkmcnt(0)
	v_lshl_add_u64 v[14:15], v[14:15], 0, v[10:11]
	v_lshl_add_u64 v[24:25], v[16:17], 0, v[10:11]
	;; [unrolled: 1-line block ×4, first 2 shown]
	v_cmp_ne_u64_e32 vcc, 0, v[16:17]
	ds_write_b64 v0, v[14:15]
	s_nop 0
	v_cndmask_b32_e32 v5, 0, v5, vcc
	v_cndmask_b32_e32 v4, 0, v4, vcc
	ds_write_b64 v0, v[4:5]
.LBB9_1003:                             ;   in Loop: Header=BB9_1001 Depth=2
	s_or_b64 exec, exec, s[22:23]
	v_and_b32_e32 v0, 4, v62
	v_cmp_ne_u32_e32 vcc, 0, v0
	s_mov_b64 s[54:55], -1
	s_and_saveexec_b64 s[22:23], vcc
	s_cbranch_execz .LBB9_1013
; %bb.1004:                             ;   in Loop: Header=BB9_1001 Depth=2
	v_lshl_add_u64 v[4:5], v[20:21], 0, 2
	v_cmp_lt_u64_e32 vcc, v[32:33], v[4:5]
	v_mov_b32_e32 v2, 1
	s_and_saveexec_b64 s[54:55], vcc
	s_cbranch_execz .LBB9_1024
; %bb.1005:                             ;   in Loop: Header=BB9_1001 Depth=2
	s_mov_b64 s[56:57], 0
	v_mov_b32_e32 v2, 0
                                        ; implicit-def: $sgpr58_sgpr59
	s_branch .LBB9_1009
.LBB9_1006:                             ;   in Loop: Header=BB9_1009 Depth=3
	s_or_b64 exec, exec, s[66:67]
	v_mov_b32_e32 v9, 0
	s_orn2_b64 s[64:65], s[64:65], exec
.LBB9_1007:                             ;   in Loop: Header=BB9_1009 Depth=3
	s_or_b64 exec, exec, s[62:63]
	s_andn2_b64 vcc, s[58:59], exec
	s_and_b64 s[58:59], s[64:65], exec
	s_or_b64 s[58:59], vcc, s[58:59]
	v_mov_b32_e32 v2, v9
.LBB9_1008:                             ;   in Loop: Header=BB9_1009 Depth=3
	s_or_b64 exec, exec, s[60:61]
	s_waitcnt vmcnt(0) lgkmcnt(0)
	v_cmp_ge_u64_e32 vcc, v[32:33], v[4:5]
	s_xor_b64 s[60:61], s[58:59], -1
	s_or_b64 vcc, s[60:61], vcc
	s_and_b64 vcc, exec, vcc
	s_or_b64 s[56:57], vcc, s[56:57]
	s_andn2_b64 exec, exec, s[56:57]
	s_cbranch_execz .LBB9_1023
.LBB9_1009:                             ;   Parent Loop BB9_47 Depth=1
                                        ;     Parent Loop BB9_1001 Depth=2
                                        ; =>    This Inner Loop Header: Depth=3
	s_sleep 1
	flat_load_dwordx2 v[32:33], v[22:23] sc0 sc1
	v_and_b32_e32 v0, 64, v62
	v_cmp_eq_u32_e32 vcc, 0, v0
	s_andn2_b64 s[58:59], s[58:59], exec
	s_and_saveexec_b64 s[60:61], vcc
	s_cbranch_execz .LBB9_1008
; %bb.1010:                             ;   in Loop: Header=BB9_1009 Depth=3
	v_add_u32_e32 v9, 1, v2
	v_cmp_lt_i32_e32 vcc, s82, v2
	s_mov_b64 s[64:65], -1
	s_and_saveexec_b64 s[62:63], vcc
	s_cbranch_execz .LBB9_1007
; %bb.1011:                             ;   in Loop: Header=BB9_1009 Depth=3
	s_trap 2
	ds_read_b64 v[14:15], v0
	s_waitcnt vmcnt(0) lgkmcnt(0)
	flat_load_dword v2, v[14:15] sc0 sc1
	s_waitcnt vmcnt(0) lgkmcnt(0)
	buffer_inv sc0 sc1
	v_cmp_ne_u32_e32 vcc, 0, v2
	s_and_saveexec_b64 s[66:67], vcc
	s_cbranch_execz .LBB9_1006
; %bb.1012:                             ;   in Loop: Header=BB9_1009 Depth=3
	v_or_b32_e32 v62, 64, v62
	s_xor_b64 s[64:65], exec, -1
	ds_write_b32 v0, v2
	s_trap 2
	s_branch .LBB9_1006
.LBB9_1013:                             ;   in Loop: Header=BB9_1001 Depth=2
	s_or_b64 exec, exec, s[22:23]
	s_xor_b64 s[22:23], s[54:55], -1
	s_and_saveexec_b64 s[54:55], s[22:23]
	s_cbranch_execz .LBB9_1025
.LBB9_1014:                             ;   in Loop: Header=BB9_1001 Depth=2
	v_and_b32_e32 v0, 0x100, v62
	v_cmp_ne_u32_e32 vcc, 0, v0
	v_and_b32_e32 v2, 7, v20
	s_mov_b64 s[22:23], -1
                                        ; implicit-def: $vgpr4_vgpr5
	s_and_saveexec_b64 s[56:57], vcc
	s_cbranch_execz .LBB9_1018
; %bb.1015:                             ;   in Loop: Header=BB9_1001 Depth=2
	v_mad_u64_u32 v[14:15], s[22:23], v2, 24, v[44:45]
	flat_load_dword v0, v[14:15]
                                        ; implicit-def: $vgpr4_vgpr5
	s_waitcnt vmcnt(0) lgkmcnt(0)
	v_cmp_ne_u32_e32 vcc, 1, v0
	v_cmp_eq_u32_e64 s[22:23], 1, v0
	s_and_saveexec_b64 s[58:59], s[22:23]
	s_cbranch_execz .LBB9_1017
; %bb.1016:                             ;   in Loop: Header=BB9_1001 Depth=2
	flat_load_dword v4, v[14:15] offset:4 sc0 sc1
	s_waitcnt vmcnt(0) lgkmcnt(0)
	v_ashrrev_i32_e32 v5, 31, v4
	v_lshrrev_b64 v[4:5], 1, v[4:5]
.LBB9_1017:                             ;   in Loop: Header=BB9_1001 Depth=2
	s_or_b64 exec, exec, s[58:59]
	s_orn2_b64 s[22:23], vcc, exec
.LBB9_1018:                             ;   in Loop: Header=BB9_1001 Depth=2
	s_or_b64 exec, exec, s[56:57]
	s_and_saveexec_b64 vcc, s[22:23]
; %bb.1019:                             ;   in Loop: Header=BB9_1001 Depth=2
	v_mad_i64_i32 v[4:5], s[22:23], v2, v60, 0
; %bb.1020:                             ;   in Loop: Header=BB9_1001 Depth=2
	s_or_b64 exec, exec, vcc
	v_lshl_add_u64 v[4:5], v[4:5], 1, v[56:57]
	ds_write_b64 v0, v[4:5] offset:720
	v_and_b32_e32 v0, 0x2000, v62
	v_cmp_ne_u32_e32 vcc, 0, v0
	s_and_saveexec_b64 s[22:23], vcc
	s_cbranch_execz .LBB9_1022
; %bb.1021:                             ;   in Loop: Header=BB9_1001 Depth=2
	ds_read_b64 v[4:5], v0 offset:584
	s_waitcnt lgkmcnt(0)
	v_lshl_add_u64 v[4:5], v[4:5], 0, 1
	ds_write_b64 v0, v[4:5] offset:584
.LBB9_1022:                             ;   in Loop: Header=BB9_1001 Depth=2
	s_or_b64 exec, exec, s[22:23]
	v_lshl_add_u64 v[20:21], v[20:21], 0, 2
	s_or_b64 exec, exec, s[54:55]
	s_and_saveexec_b64 s[22:23], s[4:5]
	s_cbranch_execz .LBB9_1044
	s_branch .LBB9_1026
.LBB9_1023:                             ;   in Loop: Header=BB9_1001 Depth=2
	s_or_b64 exec, exec, s[56:57]
	v_and_b32_e32 v2, 4, v62
.LBB9_1024:                             ;   in Loop: Header=BB9_1001 Depth=2
	s_or_b64 exec, exec, s[54:55]
	v_cmp_eq_u32_e32 vcc, 0, v2
	s_orn2_b64 s[54:55], vcc, exec
	;;#ASMSTART
	s_wakeup
	;;#ASMEND
	s_or_b64 exec, exec, s[22:23]
	s_xor_b64 s[22:23], s[54:55], -1
	s_and_saveexec_b64 s[54:55], s[22:23]
	s_cbranch_execnz .LBB9_1014
.LBB9_1025:                             ;   in Loop: Header=BB9_1001 Depth=2
	s_or_b64 exec, exec, s[54:55]
	s_and_saveexec_b64 s[22:23], s[4:5]
	s_cbranch_execz .LBB9_1044
.LBB9_1026:                             ;   in Loop: Header=BB9_1001 Depth=2
	s_and_saveexec_b64 vcc, s[38:39]
	s_xor_b64 s[54:55], exec, vcc
	s_cbranch_execz .LBB9_1041
; %bb.1027:                             ;   in Loop: Header=BB9_1001 Depth=2
	s_and_saveexec_b64 s[56:57], s[12:13]
	s_cbranch_execz .LBB9_1040
; %bb.1028:                             ;   in Loop: Header=BB9_1001 Depth=2
	s_mov_b64 s[60:61], exec
	v_mbcnt_lo_u32_b32 v0, s60, 0
	v_mbcnt_hi_u32_b32 v0, s61, v0
	v_cmp_eq_u32_e32 vcc, 0, v0
	s_waitcnt lgkmcnt(0)
	s_and_saveexec_b64 s[58:59], vcc
	s_cbranch_execz .LBB9_1030
; %bb.1029:                             ;   in Loop: Header=BB9_1001 Depth=2
	s_bcnt1_i32_b64 vcc_lo, s[60:61]
	v_mov_b32_e32 v2, vcc_lo
	ds_add_u64 v0, v[2:3]
	s_trap 2
.LBB9_1030:                             ;   in Loop: Header=BB9_1001 Depth=2
	s_or_b64 exec, exec, s[58:59]
	s_trap 2
	ds_read_b64 v[4:5], v0
	v_lshl_add_u64 v[12:13], v[12:13], 0, v[34:35]
	s_waitcnt lgkmcnt(0)
	v_cmp_lt_u64_e32 vcc, v[4:5], v[12:13]
	s_and_saveexec_b64 s[58:59], vcc
	s_cbranch_execz .LBB9_1039
; %bb.1031:                             ;   in Loop: Header=BB9_1001 Depth=2
	s_mov_b32 s71, 0
	s_mov_b64 s[60:61], 0
                                        ; implicit-def: $sgpr62_sgpr63
                                        ; implicit-def: $sgpr64_sgpr65
	s_branch .LBB9_1033
.LBB9_1032:                             ;   in Loop: Header=BB9_1033 Depth=3
	s_or_b64 exec, exec, s[68:69]
	s_and_b64 vcc, exec, vcc
	s_or_b64 s[60:61], vcc, s[60:61]
	s_andn2_b64 vcc, s[62:63], exec
	s_and_b64 s[62:63], s[64:65], exec
	s_or_b64 s[62:63], vcc, s[62:63]
	s_andn2_b64 exec, exec, s[60:61]
	s_cbranch_execz .LBB9_1037
.LBB9_1033:                             ;   Parent Loop BB9_47 Depth=1
                                        ;     Parent Loop BB9_1001 Depth=2
                                        ; =>    This Inner Loop Header: Depth=3
	s_add_i32 s71, s71, 1
	s_cmpk_lg_i32 s71, 0x2710
	s_cselect_b64 s[66:67], -1, 0
	s_and_b64 vcc, exec, s[66:67]
                                        ; implicit-def: $sgpr68_sgpr69
	s_cbranch_vccnz .LBB9_1035
; %bb.1034:                             ;   in Loop: Header=BB9_1033 Depth=3
	s_trap 2
	ds_read_b64 v[4:5], v0
	s_andn2_b64 s[66:67], s[66:67], exec
	s_mov_b32 s71, 0
	s_mov_b64 s[68:69], -1
	s_waitcnt vmcnt(0) lgkmcnt(0)
	flat_load_dword v0, v[4:5] sc0 sc1
	s_waitcnt vmcnt(0) lgkmcnt(0)
	buffer_inv sc0 sc1
	v_cmp_eq_u32_e32 vcc, 0, v0
	s_and_b64 vcc, vcc, exec
	s_or_b64 s[66:67], s[66:67], vcc
.LBB9_1035:                             ;   in Loop: Header=BB9_1033 Depth=3
	s_andn2_b64 s[64:65], s[64:65], exec
	s_and_b64 s[68:69], s[68:69], exec
	s_mov_b64 vcc, -1
	s_or_b64 s[64:65], s[64:65], s[68:69]
	s_and_saveexec_b64 s[68:69], s[66:67]
	s_cbranch_execz .LBB9_1032
; %bb.1036:                             ;   in Loop: Header=BB9_1033 Depth=3
	s_sleep 1
	s_trap 2
	ds_read_b64 v[4:5], v0
	s_andn2_b64 s[64:65], s[64:65], exec
	s_waitcnt lgkmcnt(0)
	v_cmp_ge_u64_e32 vcc, v[4:5], v[12:13]
	s_orn2_b64 vcc, vcc, exec
	s_branch .LBB9_1032
.LBB9_1037:                             ;   in Loop: Header=BB9_1001 Depth=2
	s_or_b64 exec, exec, s[60:61]
	s_and_saveexec_b64 vcc, s[62:63]
	s_xor_b64 vcc, exec, vcc
	s_cbranch_execz .LBB9_1039
; %bb.1038:                             ;   in Loop: Header=BB9_1001 Depth=2
	ds_write_b32 v0, v48
	s_trap 2
.LBB9_1039:                             ;   in Loop: Header=BB9_1001 Depth=2
	s_or_b64 exec, exec, s[58:59]
	;;#ASMSTART
	s_wakeup
	;;#ASMEND
.LBB9_1040:                             ;   in Loop: Header=BB9_1001 Depth=2
	s_or_b64 exec, exec, s[56:57]
.LBB9_1041:                             ;   in Loop: Header=BB9_1001 Depth=2
	s_andn2_saveexec_b64 vcc, s[54:55]
	s_cbranch_execz .LBB9_1043
; %bb.1042:                             ;   in Loop: Header=BB9_1001 Depth=2
	s_waitcnt lgkmcnt(0)
	s_barrier
.LBB9_1043:                             ;   in Loop: Header=BB9_1001 Depth=2
	s_or_b64 exec, exec, vcc
.LBB9_1044:                             ;   in Loop: Header=BB9_1001 Depth=2
	s_or_b64 exec, exec, s[22:23]
	s_trap 2
	ds_read_b32 v4, v0
	v_and_b32_e32 v0, 0x4000, v62
	v_cmp_ne_u32_e32 vcc, 0, v0
	s_xor_b64 s[22:23], s[2:3], -1
	s_and_b64 vcc, s[22:23], vcc
	s_and_saveexec_b64 s[22:23], vcc
	s_cbranch_execz .LBB9_1063
; %bb.1045:                             ;   in Loop: Header=BB9_1001 Depth=2
	s_and_saveexec_b64 vcc, s[38:39]
	s_xor_b64 s[54:55], exec, vcc
	s_cbranch_execz .LBB9_1060
; %bb.1046:                             ;   in Loop: Header=BB9_1001 Depth=2
	s_and_saveexec_b64 s[56:57], s[12:13]
	s_cbranch_execz .LBB9_1059
; %bb.1047:                             ;   in Loop: Header=BB9_1001 Depth=2
	s_mov_b64 s[60:61], exec
	v_mbcnt_lo_u32_b32 v0, s60, 0
	v_mbcnt_hi_u32_b32 v0, s61, v0
	v_cmp_eq_u32_e32 vcc, 0, v0
	s_waitcnt lgkmcnt(0)
	s_and_saveexec_b64 s[58:59], vcc
	s_cbranch_execz .LBB9_1049
; %bb.1048:                             ;   in Loop: Header=BB9_1001 Depth=2
	s_bcnt1_i32_b64 vcc_lo, s[60:61]
	v_mov_b32_e32 v2, vcc_lo
	ds_add_u64 v0, v[2:3]
	s_trap 2
.LBB9_1049:                             ;   in Loop: Header=BB9_1001 Depth=2
	s_or_b64 exec, exec, s[58:59]
	s_trap 2
	ds_read_b64 v[14:15], v0
	v_lshl_add_u64 v[12:13], v[12:13], 0, v[34:35]
	s_waitcnt lgkmcnt(0)
	v_cmp_lt_u64_e32 vcc, v[14:15], v[12:13]
	s_and_saveexec_b64 s[58:59], vcc
	s_cbranch_execz .LBB9_1058
; %bb.1050:                             ;   in Loop: Header=BB9_1001 Depth=2
	s_mov_b32 s71, 0
	s_mov_b64 s[60:61], 0
                                        ; implicit-def: $sgpr62_sgpr63
                                        ; implicit-def: $sgpr64_sgpr65
	s_branch .LBB9_1052
.LBB9_1051:                             ;   in Loop: Header=BB9_1052 Depth=3
	s_or_b64 exec, exec, s[68:69]
	s_and_b64 vcc, exec, vcc
	s_or_b64 s[60:61], vcc, s[60:61]
	s_andn2_b64 vcc, s[62:63], exec
	s_and_b64 s[62:63], s[64:65], exec
	s_or_b64 s[62:63], vcc, s[62:63]
	s_andn2_b64 exec, exec, s[60:61]
	s_cbranch_execz .LBB9_1056
.LBB9_1052:                             ;   Parent Loop BB9_47 Depth=1
                                        ;     Parent Loop BB9_1001 Depth=2
                                        ; =>    This Inner Loop Header: Depth=3
	s_add_i32 s71, s71, 1
	s_cmpk_lg_i32 s71, 0x2710
	s_cselect_b64 s[66:67], -1, 0
	s_and_b64 vcc, exec, s[66:67]
                                        ; implicit-def: $sgpr68_sgpr69
	s_cbranch_vccnz .LBB9_1054
; %bb.1053:                             ;   in Loop: Header=BB9_1052 Depth=3
	s_trap 2
	ds_read_b64 v[14:15], v0
	s_andn2_b64 s[66:67], s[66:67], exec
	s_mov_b32 s71, 0
	s_mov_b64 s[68:69], -1
	s_waitcnt vmcnt(0) lgkmcnt(0)
	flat_load_dword v0, v[14:15] sc0 sc1
	s_waitcnt vmcnt(0) lgkmcnt(0)
	buffer_inv sc0 sc1
	v_cmp_eq_u32_e32 vcc, 0, v0
	s_and_b64 vcc, vcc, exec
	s_or_b64 s[66:67], s[66:67], vcc
.LBB9_1054:                             ;   in Loop: Header=BB9_1052 Depth=3
	s_andn2_b64 s[64:65], s[64:65], exec
	s_and_b64 s[68:69], s[68:69], exec
	s_mov_b64 vcc, -1
	s_or_b64 s[64:65], s[64:65], s[68:69]
	s_and_saveexec_b64 s[68:69], s[66:67]
	s_cbranch_execz .LBB9_1051
; %bb.1055:                             ;   in Loop: Header=BB9_1052 Depth=3
	s_sleep 1
	s_trap 2
	ds_read_b64 v[14:15], v0
	s_andn2_b64 s[64:65], s[64:65], exec
	s_waitcnt lgkmcnt(0)
	v_cmp_ge_u64_e32 vcc, v[14:15], v[12:13]
	s_orn2_b64 vcc, vcc, exec
	s_branch .LBB9_1051
.LBB9_1056:                             ;   in Loop: Header=BB9_1001 Depth=2
	s_or_b64 exec, exec, s[60:61]
	s_and_saveexec_b64 vcc, s[62:63]
	s_xor_b64 vcc, exec, vcc
	s_cbranch_execz .LBB9_1058
; %bb.1057:                             ;   in Loop: Header=BB9_1001 Depth=2
	ds_write_b32 v0, v48
	s_trap 2
.LBB9_1058:                             ;   in Loop: Header=BB9_1001 Depth=2
	s_or_b64 exec, exec, s[58:59]
	;;#ASMSTART
	s_wakeup
	;;#ASMEND
.LBB9_1059:                             ;   in Loop: Header=BB9_1001 Depth=2
	s_or_b64 exec, exec, s[56:57]
.LBB9_1060:                             ;   in Loop: Header=BB9_1001 Depth=2
	s_andn2_saveexec_b64 vcc, s[54:55]
	s_cbranch_execz .LBB9_1062
; %bb.1061:                             ;   in Loop: Header=BB9_1001 Depth=2
	s_waitcnt lgkmcnt(0)
	s_barrier
.LBB9_1062:                             ;   in Loop: Header=BB9_1001 Depth=2
	s_or_b64 exec, exec, vcc
.LBB9_1063:                             ;   in Loop: Header=BB9_1001 Depth=2
	s_or_b64 exec, exec, s[22:23]
	s_trap 2
	ds_read_b64 v[14:15], v0
	v_sub_u32_e32 v0, v1, v8
	v_min_i32_e32 v18, v18, v0
	v_mov_b32_e32 v9, 0
	s_waitcnt lgkmcnt(0)
	v_readfirstlane_b32 s22, v14
	v_readfirstlane_b32 s23, v15
	s_cmp_eq_u64 s[22:23], 0
	s_cselect_b64 s[22:23], -1, 0
	s_or_b64 s[22:23], s[22:23], s[22:23]
	s_and_b64 vcc, exec, s[22:23]
	s_cbranch_vccnz .LBB9_1079
; %bb.1064:                             ;   in Loop: Header=BB9_1001 Depth=2
	s_mov_b64 s[22:23], -1
	s_and_saveexec_b64 s[54:55], s[16:17]
	s_cbranch_execz .LBB9_1066
; %bb.1065:                             ;   in Loop: Header=BB9_1001 Depth=2
	ds_read_b32 v0, v0 offset:720
	s_waitcnt lgkmcnt(0)
	v_and_b32_e32 v0, 15, v0
	v_cmp_eq_u32_e32 vcc, 0, v0
	s_orn2_b64 s[22:23], vcc, exec
.LBB9_1066:                             ;   in Loop: Header=BB9_1001 Depth=2
	s_or_b64 exec, exec, s[54:55]
	s_and_saveexec_b64 s[54:55], s[14:15]
	s_cbranch_execz .LBB9_1068
; %bb.1067:                             ;   in Loop: Header=BB9_1001 Depth=2
	ds_read_b32 v0, v0 offset:784
	s_waitcnt lgkmcnt(0)
	v_and_b32_e32 v0, 15, v0
	v_cmp_eq_u32_e32 vcc, 0, v0
	s_and_b64 vcc, s[22:23], vcc
	s_andn2_b64 s[22:23], s[22:23], exec
	s_and_b64 vcc, vcc, exec
	s_or_b64 s[22:23], s[22:23], vcc
.LBB9_1068:                             ;   in Loop: Header=BB9_1001 Depth=2
	s_or_b64 exec, exec, s[54:55]
	v_cmp_eq_u32_e32 vcc, 0, v4
	s_xor_b64 s[22:23], s[22:23], -1
	v_cndmask_b32_e64 v0, 0, 1, s[22:23]
	v_cndmask_b32_e32 v9, 0, v18, vcc
	v_mov_b32_e32 v19, 0
	v_lshlrev_b32_e32 v2, 1, v9
	s_mov_b64 s[56:57], -1
	;;#ASMSTART
	;;#ASMEND
	s_nop 0
	v_cmp_ne_u32_e32 vcc, 0, v0
	s_cbranch_vccz .LBB9_1091
; %bb.1069:                             ;   in Loop: Header=BB9_1001 Depth=2
	v_mov_b32_e32 v25, v52
	v_mov_b32_e32 v14, v46
	s_and_saveexec_b64 s[22:23], s[56:57]
	s_cbranch_execz .LBB9_1104
.LBB9_1070:                             ;   in Loop: Header=BB9_1001 Depth=2
	v_ashrrev_i32_e32 v0, 31, v2
	v_lshrrev_b32_e32 v0, 22, v0
	v_add_u32_e32 v0, v2, v0
	v_ashrrev_i32_e32 v36, 10, v0
	v_sub_u32_e32 v30, v36, v14
	v_ashrrev_i32_e32 v0, 31, v25
	v_cmp_lt_i32_e32 vcc, 0, v30
	v_lshrrev_b32_e32 v31, 26, v0
	s_and_saveexec_b64 s[54:55], vcc
	s_cbranch_execz .LBB9_1074
; %bb.1071:                             ;   in Loop: Header=BB9_1001 Depth=2
	s_trap 2
	ds_read_b64 v[4:5], v0
	v_add_u32_e32 v0, v25, v31
	v_and_b32_e32 v0, 0x7fffffc0, v0
	v_sub_u32_e32 v0, v25, v0
	v_lshlrev_b32_e32 v0, 1, v0
	v_lshlrev_b32_e32 v6, 10, v14
	v_add3_u32 v14, v0, v19, v6
	v_ashrrev_i32_e32 v15, 31, v14
	s_mov_b64 s[56:57], 0
	s_waitcnt lgkmcnt(0)
	v_mov_b64_e32 v[16:17], v[4:5]
.LBB9_1072:                             ;   Parent Loop BB9_47 Depth=1
                                        ;     Parent Loop BB9_1001 Depth=2
                                        ; =>    This Inner Loop Header: Depth=3
	v_lshl_add_u64 v[26:27], v[14:15], 0, v[16:17]
	flat_load_ushort v0, v[26:27] nt
	flat_load_ushort v6, v[26:27] offset:128 nt
	flat_load_ushort v7, v[26:27] offset:256 nt
	;; [unrolled: 1-line block ×7, first 2 shown]
	v_sub_u32_e32 v30, v30, v34
	v_cmp_gt_i32_e32 vcc, 1, v30
	v_lshl_add_u64 v[26:27], v[14:15], 0, v[4:5]
	v_lshl_add_u64 v[16:17], v[16:17], 0, v[40:41]
	;; [unrolled: 1-line block ×3, first 2 shown]
	s_or_b64 s[56:57], vcc, s[56:57]
	s_waitcnt vmcnt(0) lgkmcnt(0)
	flat_store_short v[26:27], v0 nt
	flat_store_short v[26:27], v6 offset:128 nt
	flat_store_short v[26:27], v7 offset:256 nt
	;; [unrolled: 1-line block ×7, first 2 shown]
	s_andn2_b64 exec, exec, s[56:57]
	s_cbranch_execnz .LBB9_1072
; %bb.1073:                             ;   in Loop: Header=BB9_1001 Depth=2
	s_or_b64 exec, exec, s[56:57]
	v_accvgpr_read_b32 v28, a32
	v_accvgpr_read_b32 v29, a33
.LBB9_1074:                             ;   in Loop: Header=BB9_1001 Depth=2
	s_or_b64 exec, exec, s[54:55]
	v_lshlrev_b32_e32 v4, 10, v36
	v_cmp_ne_u32_e32 vcc, v2, v4
	s_and_saveexec_b64 s[54:55], vcc
	s_cbranch_execz .LBB9_1078
; %bb.1075:                             ;   in Loop: Header=BB9_1001 Depth=2
	v_add_u32_e32 v0, v25, v31
	v_and_b32_e32 v0, 0xffffffc0, v0
	v_sub_u32_e32 v0, v25, v0
	v_lshlrev_b32_e32 v5, 6, v30
	v_sub_u32_e32 v0, v0, v5
	v_ashrrev_i32_e32 v5, 31, v0
	v_lshrrev_b32_e32 v5, 26, v5
	v_add_u32_e32 v5, v0, v5
	v_and_b32_e32 v6, 0x7fffffc0, v5
	v_sub_u32_e32 v0, v0, v6
	v_lshlrev_b32_e32 v5, 1, v5
	v_and_b32_e32 v5, 0xffffff80, v5
	v_lshlrev_b32_e32 v0, 1, v0
	v_add3_u32 v14, v5, v0, v4
	v_sub_u32_e32 v2, v2, v14
	v_cmp_lt_i32_e32 vcc, 1, v2
	s_and_b64 exec, exec, vcc
	s_cbranch_execz .LBB9_1078
; %bb.1076:                             ;   in Loop: Header=BB9_1001 Depth=2
	s_trap 2
	ds_read_b64 v[4:5], v0
	v_add_u32_e32 v14, v14, v19
	v_ashrrev_i32_e32 v15, 31, v14
	s_mov_b64 s[56:57], 0
.LBB9_1077:                             ;   Parent Loop BB9_47 Depth=1
                                        ;     Parent Loop BB9_1001 Depth=2
                                        ; =>    This Inner Loop Header: Depth=3
	s_waitcnt lgkmcnt(0)
	v_lshl_add_u64 v[16:17], v[4:5], 0, v[14:15]
	flat_load_ushort v0, v[16:17] nt
	v_sub_u32_e32 v2, v2, v61
	v_cmp_gt_i32_e32 vcc, 2, v2
	v_lshl_add_u64 v[14:15], v[14:15], 0, v[42:43]
	s_or_b64 s[56:57], vcc, s[56:57]
	s_waitcnt vmcnt(0) lgkmcnt(0)
	flat_store_short v[16:17], v0 nt
	s_andn2_b64 exec, exec, s[56:57]
	s_cbranch_execnz .LBB9_1077
.LBB9_1078:                             ;   in Loop: Header=BB9_1001 Depth=2
	s_or_b64 exec, exec, s[54:55]
	s_or_b64 exec, exec, s[22:23]
	s_and_saveexec_b64 s[22:23], s[4:5]
	s_cbranch_execz .LBB9_1105
	s_branch .LBB9_1080
.LBB9_1079:                             ;   in Loop: Header=BB9_1001 Depth=2
	s_and_saveexec_b64 s[22:23], s[4:5]
	s_cbranch_execz .LBB9_1105
.LBB9_1080:                             ;   in Loop: Header=BB9_1001 Depth=2
	s_and_saveexec_b64 vcc, s[38:39]
	s_xor_b64 s[54:55], exec, vcc
	s_cbranch_execz .LBB9_1113
; %bb.1081:                             ;   in Loop: Header=BB9_1001 Depth=2
	s_and_saveexec_b64 s[56:57], s[12:13]
	s_cbranch_execz .LBB9_1112
; %bb.1082:                             ;   in Loop: Header=BB9_1001 Depth=2
	s_mov_b64 s[60:61], exec
	v_mbcnt_lo_u32_b32 v0, s60, 0
	v_mbcnt_hi_u32_b32 v0, s61, v0
	v_cmp_eq_u32_e32 vcc, 0, v0
	s_waitcnt lgkmcnt(0)
	s_and_saveexec_b64 s[58:59], vcc
	s_cbranch_execz .LBB9_1084
; %bb.1083:                             ;   in Loop: Header=BB9_1001 Depth=2
	s_bcnt1_i32_b64 vcc_lo, s[60:61]
	v_mov_b32_e32 v2, vcc_lo
	ds_add_u64 v0, v[2:3]
	s_trap 2
.LBB9_1084:                             ;   in Loop: Header=BB9_1001 Depth=2
	s_or_b64 exec, exec, s[58:59]
	s_trap 2
	ds_read_b64 v[4:5], v0
	v_lshl_add_u64 v[12:13], v[12:13], 0, v[34:35]
	s_waitcnt lgkmcnt(0)
	v_cmp_lt_u64_e32 vcc, v[4:5], v[12:13]
	s_and_saveexec_b64 s[58:59], vcc
	s_cbranch_execz .LBB9_1111
; %bb.1085:                             ;   in Loop: Header=BB9_1001 Depth=2
	s_mov_b32 s71, 0
	s_mov_b64 s[60:61], 0
                                        ; implicit-def: $sgpr62_sgpr63
                                        ; implicit-def: $sgpr64_sgpr65
	s_branch .LBB9_1087
.LBB9_1086:                             ;   in Loop: Header=BB9_1087 Depth=3
	s_or_b64 exec, exec, s[68:69]
	s_and_b64 vcc, exec, vcc
	s_or_b64 s[60:61], vcc, s[60:61]
	s_andn2_b64 vcc, s[62:63], exec
	s_and_b64 s[62:63], s[64:65], exec
	s_or_b64 s[62:63], vcc, s[62:63]
	s_andn2_b64 exec, exec, s[60:61]
	s_cbranch_execz .LBB9_1109
.LBB9_1087:                             ;   Parent Loop BB9_47 Depth=1
                                        ;     Parent Loop BB9_1001 Depth=2
                                        ; =>    This Inner Loop Header: Depth=3
	s_add_i32 s71, s71, 1
	s_cmpk_lg_i32 s71, 0x2710
	s_cselect_b64 s[66:67], -1, 0
	s_and_b64 vcc, exec, s[66:67]
                                        ; implicit-def: $sgpr68_sgpr69
	s_cbranch_vccnz .LBB9_1089
; %bb.1088:                             ;   in Loop: Header=BB9_1087 Depth=3
	s_trap 2
	ds_read_b64 v[4:5], v0
	s_andn2_b64 s[66:67], s[66:67], exec
	s_mov_b32 s71, 0
	s_mov_b64 s[68:69], -1
	s_waitcnt vmcnt(0) lgkmcnt(0)
	flat_load_dword v0, v[4:5] sc0 sc1
	s_waitcnt vmcnt(0) lgkmcnt(0)
	buffer_inv sc0 sc1
	v_cmp_eq_u32_e32 vcc, 0, v0
	s_and_b64 vcc, vcc, exec
	s_or_b64 s[66:67], s[66:67], vcc
.LBB9_1089:                             ;   in Loop: Header=BB9_1087 Depth=3
	s_andn2_b64 s[64:65], s[64:65], exec
	s_and_b64 s[68:69], s[68:69], exec
	s_mov_b64 vcc, -1
	s_or_b64 s[64:65], s[64:65], s[68:69]
	s_and_saveexec_b64 s[68:69], s[66:67]
	s_cbranch_execz .LBB9_1086
; %bb.1090:                             ;   in Loop: Header=BB9_1087 Depth=3
	s_sleep 1
	s_trap 2
	ds_read_b64 v[4:5], v0
	s_andn2_b64 s[64:65], s[64:65], exec
	s_waitcnt lgkmcnt(0)
	v_cmp_ge_u64_e32 vcc, v[4:5], v[12:13]
	s_orn2_b64 vcc, vcc, exec
	s_branch .LBB9_1086
.LBB9_1091:                             ;   in Loop: Header=BB9_1001 Depth=2
	v_ashrrev_i32_e32 v0, 31, v2
	v_lshrrev_b32_e32 v0, 20, v0
	v_add_u32_e32 v0, v2, v0
	v_ashrrev_i32_e32 v16, 12, v0
	v_sub_u32_e32 v17, v16, v46
	v_cmp_lt_i32_e32 vcc, 0, v17
	s_and_saveexec_b64 s[22:23], vcc
	s_cbranch_execz .LBB9_1095
; %bb.1092:                             ;   in Loop: Header=BB9_1001 Depth=2
	s_trap 2
	ds_read_b64 v[4:5], v0
	v_accvgpr_write_b32 a41, v11
	v_accvgpr_write_b32 a40, v10
	v_accvgpr_read_b32 v10, a34
	s_mov_b64 s[54:55], 0
	s_waitcnt lgkmcnt(0)
	v_mov_b64_e32 v[14:15], v[4:5]
	v_mov_b64_e32 v[6:7], v[28:29]
	v_accvgpr_read_b32 v11, a35
.LBB9_1093:                             ;   Parent Loop BB9_47 Depth=1
                                        ;     Parent Loop BB9_1001 Depth=2
                                        ; =>    This Inner Loop Header: Depth=3
	v_lshl_add_u64 v[48:49], v[10:11], 0, v[14:15]
	global_load_dwordx4 v[24:27], v[48:49], off nt
	global_load_dwordx4 v[28:31], v[48:49], off offset:1024 nt
	global_load_dwordx4 v[36:39], v[48:49], off offset:2048 nt
	s_nop 0
	global_load_dwordx4 v[48:51], v[48:49], off offset:3072 nt
	v_sub_u32_e32 v17, v17, v34
	v_cmp_gt_i32_e32 vcc, 1, v17
	v_lshl_add_u64 v[56:57], v[10:11], 0, v[4:5]
	v_lshl_add_u64 v[14:15], v[14:15], 0, v[6:7]
	;; [unrolled: 1-line block ×3, first 2 shown]
	s_or_b64 s[54:55], vcc, s[54:55]
	s_waitcnt vmcnt(0)
	global_store_dwordx4 v[56:57], v[24:27], off nt
	global_store_dwordx4 v[56:57], v[28:31], off offset:1024 nt
	global_store_dwordx4 v[56:57], v[36:39], off offset:2048 nt
	;; [unrolled: 1-line block ×3, first 2 shown]
	s_andn2_b64 exec, exec, s[54:55]
	s_cbranch_execnz .LBB9_1093
; %bb.1094:                             ;   in Loop: Header=BB9_1001 Depth=2
	s_or_b64 exec, exec, s[54:55]
	v_accvgpr_read_b32 v57, a17
	v_accvgpr_read_b32 v51, a29
	;; [unrolled: 1-line block ×5, first 2 shown]
	v_mov_b64_e32 v[28:29], v[6:7]
	v_mov_b32_e32 v48, 1
	v_accvgpr_read_b32 v11, a41
.LBB9_1095:                             ;   in Loop: Header=BB9_1001 Depth=2
	s_or_b64 exec, exec, s[22:23]
	v_lshlrev_b32_e32 v16, 12, v16
	v_cmp_ne_u32_e32 vcc, v2, v16
	s_mov_b64 s[56:57], 0
	v_mov_b32_e32 v19, 0
                                        ; implicit-def: $vgpr25
                                        ; implicit-def: $vgpr14
	s_and_saveexec_b64 s[54:55], vcc
	s_cbranch_execz .LBB9_1103
; %bb.1096:                             ;   in Loop: Header=BB9_1001 Depth=2
	v_lshlrev_b32_e32 v4, 6, v17
	v_accvgpr_read_b32 v5, a31
	v_sub_u32_e32 v4, v5, v4
	v_ashrrev_i32_e32 v5, 31, v4
	v_lshrrev_b32_e32 v5, 26, v5
	v_add_u32_e32 v5, v4, v5
	v_ashrrev_i32_e32 v6, 6, v5
	v_and_b32_e32 v5, 0xffffffc0, v5
	v_sub_u32_e32 v17, v4, v5
	v_sub_u32_e32 v0, v2, v16
	v_lshlrev_b32_e32 v4, 4, v17
	v_lshl_add_u32 v14, v6, 10, v4
	v_ashrrev_i32_e32 v4, 31, v0
	v_lshrrev_b32_e32 v4, 22, v4
	v_add_u32_e32 v4, v0, v4
	v_and_b32_e32 v30, 0xfffffc00, v4
	v_sub_u32_e32 v36, v0, v30
	v_ashrrev_i32_e32 v5, 10, v4
	v_cmp_lt_i32_e32 vcc, 15, v36
	v_sub_u32_e32 v19, v0, v14
	s_nop 0
	v_addc_co_u32_e64 v0, s[22:23], 0, v5, vcc
	v_sub_u32_e32 v31, v0, v6
	v_cmp_lt_i32_e64 s[22:23], 15, v19
	s_and_saveexec_b64 s[56:57], s[22:23]
	s_cbranch_execz .LBB9_1100
; %bb.1097:                             ;   in Loop: Header=BB9_1001 Depth=2
	s_trap 2
	ds_read_b64 v[4:5], v0
	v_add_u32_e32 v14, v14, v16
	v_ashrrev_i32_e32 v15, 31, v14
	s_mov_b64 s[58:59], 0
.LBB9_1098:                             ;   Parent Loop BB9_47 Depth=1
                                        ;     Parent Loop BB9_1001 Depth=2
                                        ; =>    This Inner Loop Header: Depth=3
	s_waitcnt lgkmcnt(0)
	v_lshl_add_u64 v[28:29], v[4:5], 0, v[14:15]
	global_load_dwordx4 v[24:27], v[28:29], off nt
	v_sub_u32_e32 v19, v19, v47
	v_cmp_gt_i32_e64 s[22:23], 16, v19
	v_sub_u32_e32 v31, v31, v34
	v_lshl_add_u64 v[14:15], v[14:15], 0, v[40:41]
	s_or_b64 s[58:59], s[22:23], s[58:59]
	s_waitcnt vmcnt(0)
	global_store_dwordx4 v[28:29], v[24:27], off nt
	s_andn2_b64 exec, exec, s[58:59]
	s_cbranch_execnz .LBB9_1098
; %bb.1099:                             ;   in Loop: Header=BB9_1001 Depth=2
	s_or_b64 exec, exec, s[58:59]
	v_accvgpr_read_b32 v28, a32
	v_accvgpr_read_b32 v29, a33
.LBB9_1100:                             ;   in Loop: Header=BB9_1001 Depth=2
	s_or_b64 exec, exec, s[56:57]
	v_and_b32_e32 v4, 14, v2
	v_cndmask_b32_e32 v2, v36, v4, vcc
	v_cmp_ne_u32_e64 s[22:23], 0, v2
	s_mov_b64 s[56:57], 0
	v_mov_b32_e32 v19, 0
                                        ; implicit-def: $vgpr25
                                        ; implicit-def: $vgpr14
	s_and_saveexec_b64 s[58:59], s[22:23]
	s_cbranch_execz .LBB9_1102
; %bb.1101:                             ;   in Loop: Header=BB9_1001 Depth=2
	v_sub_u32_e32 v0, v36, v4
	v_cndmask_b32_e32 v0, 0, v0, vcc
	v_cmp_lt_i32_e32 vcc, 0, v31
	v_add3_u32 v19, v30, v16, v0
	s_mov_b64 s[56:57], exec
	v_cndmask_b32_e32 v0, 0, v34, vcc
	v_sub_u32_e32 v0, v0, v31
	v_lshl_add_u32 v25, v0, 6, v17
	v_ashrrev_i32_e32 v0, 31, v25
	v_lshrrev_b32_e32 v0, 26, v0
	v_add_u32_e32 v0, v25, v0
	v_ashrrev_i32_e32 v14, 6, v0
.LBB9_1102:                             ;   in Loop: Header=BB9_1001 Depth=2
	s_or_b64 exec, exec, s[58:59]
	s_and_b64 s[56:57], s[56:57], exec
.LBB9_1103:                             ;   in Loop: Header=BB9_1001 Depth=2
	s_or_b64 exec, exec, s[54:55]
	s_and_saveexec_b64 s[22:23], s[56:57]
	s_cbranch_execnz .LBB9_1070
.LBB9_1104:                             ;   in Loop: Header=BB9_1001 Depth=2
	s_or_b64 exec, exec, s[22:23]
	s_and_saveexec_b64 s[22:23], s[4:5]
	s_cbranch_execnz .LBB9_1080
.LBB9_1105:                             ;   in Loop: Header=BB9_1001 Depth=2
	s_or_b64 exec, exec, s[22:23]
	s_and_saveexec_b64 s[22:23], s[20:21]
	s_xor_b64 s[54:55], exec, s[22:23]
	s_cbranch_execz .LBB9_1116
.LBB9_1106:                             ;   in Loop: Header=BB9_1001 Depth=2
	v_and_b32_e32 v0, 16, v62
	v_cmp_lt_i32_e32 vcc, 0, v9
	v_cmp_ne_u32_e64 s[22:23], 0, v0
	s_and_b64 vcc, s[22:23], vcc
	s_and_saveexec_b64 s[22:23], vcc
	s_cbranch_execz .LBB9_1108
; %bb.1107:                             ;   in Loop: Header=BB9_1001 Depth=2
	buffer_wbl2 sc1
	s_waitcnt vmcnt(0) lgkmcnt(0)
	buffer_inv sc1
.LBB9_1108:                             ;   in Loop: Header=BB9_1001 Depth=2
	s_or_b64 exec, exec, s[22:23]
	s_andn2_saveexec_b64 s[22:23], s[54:55]
	s_cbranch_execz .LBB9_1135
	s_branch .LBB9_1117
.LBB9_1109:                             ;   in Loop: Header=BB9_1001 Depth=2
	s_or_b64 exec, exec, s[60:61]
	s_and_saveexec_b64 vcc, s[62:63]
	s_xor_b64 vcc, exec, vcc
	s_cbranch_execz .LBB9_1111
; %bb.1110:                             ;   in Loop: Header=BB9_1001 Depth=2
	ds_write_b32 v0, v48
	s_trap 2
.LBB9_1111:                             ;   in Loop: Header=BB9_1001 Depth=2
	s_or_b64 exec, exec, s[58:59]
	;;#ASMSTART
	s_wakeup
	;;#ASMEND
.LBB9_1112:                             ;   in Loop: Header=BB9_1001 Depth=2
	s_or_b64 exec, exec, s[56:57]
.LBB9_1113:                             ;   in Loop: Header=BB9_1001 Depth=2
	s_andn2_saveexec_b64 vcc, s[54:55]
	s_cbranch_execz .LBB9_1115
; %bb.1114:                             ;   in Loop: Header=BB9_1001 Depth=2
	s_waitcnt lgkmcnt(0)
	s_barrier
.LBB9_1115:                             ;   in Loop: Header=BB9_1001 Depth=2
	s_or_b64 exec, exec, vcc
	s_or_b64 exec, exec, s[22:23]
	s_and_saveexec_b64 s[22:23], s[20:21]
	s_xor_b64 s[54:55], exec, s[22:23]
	s_cbranch_execnz .LBB9_1106
.LBB9_1116:                             ;   in Loop: Header=BB9_1001 Depth=2
	s_andn2_saveexec_b64 s[22:23], s[54:55]
	s_cbranch_execz .LBB9_1135
.LBB9_1117:                             ;   in Loop: Header=BB9_1001 Depth=2
	s_and_saveexec_b64 vcc, s[38:39]
	s_xor_b64 s[54:55], exec, vcc
	s_cbranch_execz .LBB9_1132
; %bb.1118:                             ;   in Loop: Header=BB9_1001 Depth=2
	s_and_saveexec_b64 s[56:57], s[12:13]
	s_cbranch_execz .LBB9_1131
; %bb.1119:                             ;   in Loop: Header=BB9_1001 Depth=2
	s_mov_b64 s[60:61], exec
	v_mbcnt_lo_u32_b32 v0, s60, 0
	v_mbcnt_hi_u32_b32 v0, s61, v0
	v_cmp_eq_u32_e32 vcc, 0, v0
	;;#ASMSTART
	s_waitcnt lgkmcnt(0) vmcnt(0)
	;;#ASMEND
	s_and_saveexec_b64 s[58:59], vcc
	s_cbranch_execz .LBB9_1121
; %bb.1120:                             ;   in Loop: Header=BB9_1001 Depth=2
	s_bcnt1_i32_b64 vcc_lo, s[60:61]
	v_mov_b32_e32 v2, vcc_lo
	ds_add_u64 v0, v[2:3]
	s_trap 2
.LBB9_1121:                             ;   in Loop: Header=BB9_1001 Depth=2
	s_or_b64 exec, exec, s[58:59]
	s_trap 2
	ds_read_b64 v[4:5], v0
	v_lshl_add_u64 v[12:13], v[12:13], 0, v[34:35]
	s_waitcnt lgkmcnt(0)
	v_cmp_lt_u64_e32 vcc, v[4:5], v[12:13]
	s_and_saveexec_b64 s[58:59], vcc
	s_cbranch_execz .LBB9_1130
; %bb.1122:                             ;   in Loop: Header=BB9_1001 Depth=2
	s_mov_b32 s71, 0
	s_mov_b64 s[60:61], 0
                                        ; implicit-def: $sgpr62_sgpr63
                                        ; implicit-def: $sgpr64_sgpr65
	s_branch .LBB9_1124
.LBB9_1123:                             ;   in Loop: Header=BB9_1124 Depth=3
	s_or_b64 exec, exec, s[68:69]
	s_and_b64 vcc, exec, vcc
	s_or_b64 s[60:61], vcc, s[60:61]
	s_andn2_b64 vcc, s[62:63], exec
	s_and_b64 s[62:63], s[64:65], exec
	s_or_b64 s[62:63], vcc, s[62:63]
	s_andn2_b64 exec, exec, s[60:61]
	s_cbranch_execz .LBB9_1128
.LBB9_1124:                             ;   Parent Loop BB9_47 Depth=1
                                        ;     Parent Loop BB9_1001 Depth=2
                                        ; =>    This Inner Loop Header: Depth=3
	s_add_i32 s71, s71, 1
	s_cmpk_lg_i32 s71, 0x2710
	s_cselect_b64 s[66:67], -1, 0
	s_and_b64 vcc, exec, s[66:67]
                                        ; implicit-def: $sgpr68_sgpr69
	s_cbranch_vccnz .LBB9_1126
; %bb.1125:                             ;   in Loop: Header=BB9_1124 Depth=3
	s_trap 2
	ds_read_b64 v[4:5], v0
	s_andn2_b64 s[66:67], s[66:67], exec
	s_mov_b32 s71, 0
	s_mov_b64 s[68:69], -1
	s_waitcnt vmcnt(0) lgkmcnt(0)
	flat_load_dword v0, v[4:5] sc0 sc1
	s_waitcnt vmcnt(0) lgkmcnt(0)
	buffer_inv sc0 sc1
	v_cmp_eq_u32_e32 vcc, 0, v0
	s_and_b64 vcc, vcc, exec
	s_or_b64 s[66:67], s[66:67], vcc
.LBB9_1126:                             ;   in Loop: Header=BB9_1124 Depth=3
	s_andn2_b64 s[64:65], s[64:65], exec
	s_and_b64 s[68:69], s[68:69], exec
	s_mov_b64 vcc, -1
	s_or_b64 s[64:65], s[64:65], s[68:69]
	s_and_saveexec_b64 s[68:69], s[66:67]
	s_cbranch_execz .LBB9_1123
; %bb.1127:                             ;   in Loop: Header=BB9_1124 Depth=3
	s_sleep 1
	s_trap 2
	ds_read_b64 v[4:5], v0
	s_andn2_b64 s[64:65], s[64:65], exec
	s_waitcnt lgkmcnt(0)
	v_cmp_ge_u64_e32 vcc, v[4:5], v[12:13]
	s_orn2_b64 vcc, vcc, exec
	s_branch .LBB9_1123
.LBB9_1128:                             ;   in Loop: Header=BB9_1001 Depth=2
	s_or_b64 exec, exec, s[60:61]
	s_and_saveexec_b64 vcc, s[62:63]
	s_xor_b64 vcc, exec, vcc
	s_cbranch_execz .LBB9_1130
; %bb.1129:                             ;   in Loop: Header=BB9_1001 Depth=2
	ds_write_b32 v0, v48
	s_trap 2
.LBB9_1130:                             ;   in Loop: Header=BB9_1001 Depth=2
	s_or_b64 exec, exec, s[58:59]
	;;#ASMSTART
	s_wakeup
	;;#ASMEND
.LBB9_1131:                             ;   in Loop: Header=BB9_1001 Depth=2
	s_or_b64 exec, exec, s[56:57]
.LBB9_1132:                             ;   in Loop: Header=BB9_1001 Depth=2
	s_andn2_saveexec_b64 vcc, s[54:55]
	s_cbranch_execz .LBB9_1134
; %bb.1133:                             ;   in Loop: Header=BB9_1001 Depth=2
	;;#ASMSTART
	s_waitcnt lgkmcnt(0) vmcnt(0)
	;;#ASMEND
	s_barrier
.LBB9_1134:                             ;   in Loop: Header=BB9_1001 Depth=2
	s_or_b64 exec, exec, vcc
.LBB9_1135:                             ;   in Loop: Header=BB9_1001 Depth=2
	s_or_b64 exec, exec, s[22:23]
	v_and_b32_e32 v0, 32, v62
	v_cmp_ne_u32_e32 vcc, 0, v0
	s_and_saveexec_b64 s[22:23], vcc
	s_cbranch_execz .LBB9_1000
; %bb.1136:                             ;   in Loop: Header=BB9_1001 Depth=2
	v_lshl_add_u64 v[20:21], v[20:21], 0, 2
	flat_store_dwordx2 v[22:23], v[20:21] sc0 sc1
	s_branch .LBB9_1000
.LBB9_1137:                             ;   in Loop: Header=BB9_47 Depth=1
	s_or_b64 exec, exec, s[26:27]
.LBB9_1138:                             ;   in Loop: Header=BB9_47 Depth=1
	s_or_b64 exec, exec, s[24:25]
	v_cmp_gt_i32_e32 vcc, 2, v2
	s_and_saveexec_b64 s[24:25], vcc
	s_cbranch_execz .LBB9_46
; %bb.1139:                             ;   in Loop: Header=BB9_47 Depth=1
	v_cmp_eq_u32_e64 s[22:23], 0, v2
	s_mov_b64 s[26:27], 0
	s_branch .LBB9_1141
.LBB9_1140:                             ;   in Loop: Header=BB9_1141 Depth=2
	s_or_b64 exec, exec, s[22:23]
	v_add_u32_e32 v8, v18, v8
	s_mov_b64 s[22:23], 0
	s_andn2_b64 exec, exec, s[26:27]
	s_cbranch_execz .LBB9_45
.LBB9_1141:                             ;   Parent Loop BB9_47 Depth=1
                                        ; =>  This Loop Header: Depth=2
                                        ;       Child Loop BB9_1147 Depth 3
                                        ;       Child Loop BB9_1171 Depth 3
	;; [unrolled: 1-line block ×3, first 2 shown]
	v_and_b32_e32 v0, 4, v62
	s_mov_b64 s[54:55], -1
	v_cmp_ne_u32_e32 vcc, 0, v0
	s_and_saveexec_b64 s[28:29], vcc
	s_cbranch_execz .LBB9_1153
; %bb.1142:                             ;   in Loop: Header=BB9_1141 Depth=2
	v_lshl_add_u64 v[4:5], v[20:21], 0, 2
	v_cmp_lt_u64_e32 vcc, v[32:33], v[4:5]
	v_mov_b32_e32 v2, 1
	s_and_saveexec_b64 s[54:55], vcc
	s_cbranch_execz .LBB9_1152
; %bb.1143:                             ;   in Loop: Header=BB9_1141 Depth=2
	s_mov_b64 s[56:57], 0
	v_mov_b32_e32 v2, 0
                                        ; implicit-def: $sgpr58_sgpr59
	s_branch .LBB9_1147
.LBB9_1144:                             ;   in Loop: Header=BB9_1147 Depth=3
	s_or_b64 exec, exec, s[66:67]
	v_mov_b32_e32 v9, 0
	s_orn2_b64 s[64:65], s[64:65], exec
.LBB9_1145:                             ;   in Loop: Header=BB9_1147 Depth=3
	s_or_b64 exec, exec, s[62:63]
	s_andn2_b64 vcc, s[58:59], exec
	s_and_b64 s[58:59], s[64:65], exec
	s_or_b64 s[58:59], vcc, s[58:59]
	v_mov_b32_e32 v2, v9
.LBB9_1146:                             ;   in Loop: Header=BB9_1147 Depth=3
	s_or_b64 exec, exec, s[60:61]
	s_waitcnt vmcnt(0) lgkmcnt(0)
	v_cmp_ge_u64_e32 vcc, v[32:33], v[4:5]
	s_xor_b64 s[60:61], s[58:59], -1
	s_or_b64 vcc, s[60:61], vcc
	s_and_b64 vcc, exec, vcc
	s_or_b64 s[56:57], vcc, s[56:57]
	s_andn2_b64 exec, exec, s[56:57]
	s_cbranch_execz .LBB9_1151
.LBB9_1147:                             ;   Parent Loop BB9_47 Depth=1
                                        ;     Parent Loop BB9_1141 Depth=2
                                        ; =>    This Inner Loop Header: Depth=3
	s_sleep 1
	flat_load_dwordx2 v[32:33], v[22:23] sc0 sc1
	v_and_b32_e32 v0, 64, v62
	v_cmp_eq_u32_e32 vcc, 0, v0
	s_andn2_b64 s[58:59], s[58:59], exec
	s_and_saveexec_b64 s[60:61], vcc
	s_cbranch_execz .LBB9_1146
; %bb.1148:                             ;   in Loop: Header=BB9_1147 Depth=3
	v_add_u32_e32 v9, 1, v2
	v_cmp_lt_i32_e32 vcc, s82, v2
	s_mov_b64 s[64:65], -1
	s_and_saveexec_b64 s[62:63], vcc
	s_cbranch_execz .LBB9_1145
; %bb.1149:                             ;   in Loop: Header=BB9_1147 Depth=3
	s_trap 2
	ds_read_b64 v[10:11], v0
	s_waitcnt vmcnt(0) lgkmcnt(0)
	flat_load_dword v2, v[10:11] sc0 sc1
	s_waitcnt vmcnt(0) lgkmcnt(0)
	buffer_inv sc0 sc1
	v_cmp_ne_u32_e32 vcc, 0, v2
	s_and_saveexec_b64 s[66:67], vcc
	s_cbranch_execz .LBB9_1144
; %bb.1150:                             ;   in Loop: Header=BB9_1147 Depth=3
	v_or_b32_e32 v62, 64, v62
	s_xor_b64 s[64:65], exec, -1
	ds_write_b32 v0, v2
	s_trap 2
	s_branch .LBB9_1144
.LBB9_1151:                             ;   in Loop: Header=BB9_1141 Depth=2
	s_or_b64 exec, exec, s[56:57]
	v_and_b32_e32 v2, 4, v62
.LBB9_1152:                             ;   in Loop: Header=BB9_1141 Depth=2
	s_or_b64 exec, exec, s[54:55]
	v_cmp_eq_u32_e32 vcc, 0, v2
	s_orn2_b64 s[54:55], vcc, exec
	;;#ASMSTART
	s_wakeup
	;;#ASMEND
.LBB9_1153:                             ;   in Loop: Header=BB9_1141 Depth=2
	s_or_b64 exec, exec, s[28:29]
	s_xor_b64 s[22:23], s[22:23], -1
	s_and_b64 s[22:23], exec, s[22:23]
	s_or_b64 s[26:27], s[22:23], s[26:27]
	s_xor_b64 s[22:23], s[54:55], -1
	s_and_saveexec_b64 s[28:29], s[22:23]
	s_cbranch_execz .LBB9_1163
; %bb.1154:                             ;   in Loop: Header=BB9_1141 Depth=2
	v_and_b32_e32 v0, 0x100, v62
	v_cmp_ne_u32_e32 vcc, 0, v0
	v_and_b32_e32 v2, 7, v20
	s_mov_b64 s[22:23], -1
                                        ; implicit-def: $vgpr4_vgpr5
	s_and_saveexec_b64 s[54:55], vcc
	s_cbranch_execz .LBB9_1158
; %bb.1155:                             ;   in Loop: Header=BB9_1141 Depth=2
	v_mad_u64_u32 v[10:11], s[22:23], v2, 24, v[44:45]
	flat_load_dword v0, v[10:11]
                                        ; implicit-def: $vgpr4_vgpr5
	s_waitcnt vmcnt(0) lgkmcnt(0)
	v_cmp_ne_u32_e32 vcc, 1, v0
	v_cmp_eq_u32_e64 s[22:23], 1, v0
	s_and_saveexec_b64 s[56:57], s[22:23]
	s_cbranch_execz .LBB9_1157
; %bb.1156:                             ;   in Loop: Header=BB9_1141 Depth=2
	flat_load_dword v4, v[10:11] offset:4 sc0 sc1
	s_waitcnt vmcnt(0) lgkmcnt(0)
	v_ashrrev_i32_e32 v5, 31, v4
	v_lshrrev_b64 v[4:5], 1, v[4:5]
.LBB9_1157:                             ;   in Loop: Header=BB9_1141 Depth=2
	s_or_b64 exec, exec, s[56:57]
	s_orn2_b64 s[22:23], vcc, exec
.LBB9_1158:                             ;   in Loop: Header=BB9_1141 Depth=2
	s_or_b64 exec, exec, s[54:55]
	s_and_saveexec_b64 vcc, s[22:23]
; %bb.1159:                             ;   in Loop: Header=BB9_1141 Depth=2
	v_mad_i64_i32 v[4:5], s[22:23], v2, v60, 0
; %bb.1160:                             ;   in Loop: Header=BB9_1141 Depth=2
	s_or_b64 exec, exec, vcc
	v_lshl_add_u64 v[4:5], v[4:5], 1, v[56:57]
	ds_write_b64 v0, v[4:5] offset:720
	v_and_b32_e32 v0, 0x2000, v62
	v_cmp_ne_u32_e32 vcc, 0, v0
	s_and_saveexec_b64 s[22:23], vcc
	s_cbranch_execz .LBB9_1162
; %bb.1161:                             ;   in Loop: Header=BB9_1141 Depth=2
	ds_read_b64 v[4:5], v0 offset:584
	s_waitcnt lgkmcnt(0)
	v_lshl_add_u64 v[4:5], v[4:5], 0, 1
	ds_write_b64 v0, v[4:5] offset:584
.LBB9_1162:                             ;   in Loop: Header=BB9_1141 Depth=2
	s_or_b64 exec, exec, s[22:23]
	v_lshl_add_u64 v[20:21], v[20:21], 0, 2
.LBB9_1163:                             ;   in Loop: Header=BB9_1141 Depth=2
	s_or_b64 exec, exec, s[28:29]
	s_and_saveexec_b64 s[22:23], s[4:5]
	s_cbranch_execz .LBB9_1182
; %bb.1164:                             ;   in Loop: Header=BB9_1141 Depth=2
	s_and_saveexec_b64 s[28:29], s[38:39]
	s_xor_b64 s[28:29], exec, s[28:29]
	s_cbranch_execz .LBB9_1179
; %bb.1165:                             ;   in Loop: Header=BB9_1141 Depth=2
	s_and_saveexec_b64 s[54:55], s[12:13]
	s_cbranch_execz .LBB9_1178
; %bb.1166:                             ;   in Loop: Header=BB9_1141 Depth=2
	s_mov_b64 s[58:59], exec
	v_mbcnt_lo_u32_b32 v0, s58, 0
	v_mbcnt_hi_u32_b32 v0, s59, v0
	v_cmp_eq_u32_e32 vcc, 0, v0
	s_waitcnt lgkmcnt(0)
	s_and_saveexec_b64 s[56:57], vcc
	s_cbranch_execz .LBB9_1168
; %bb.1167:                             ;   in Loop: Header=BB9_1141 Depth=2
	s_bcnt1_i32_b64 vcc_lo, s[58:59]
	v_mov_b32_e32 v2, vcc_lo
	ds_add_u64 v0, v[2:3]
	s_trap 2
.LBB9_1168:                             ;   in Loop: Header=BB9_1141 Depth=2
	s_or_b64 exec, exec, s[56:57]
	s_trap 2
	ds_read_b64 v[4:5], v0
	v_lshl_add_u64 v[12:13], v[12:13], 0, v[34:35]
	s_waitcnt lgkmcnt(0)
	v_cmp_lt_u64_e32 vcc, v[4:5], v[12:13]
	s_and_saveexec_b64 s[56:57], vcc
	s_cbranch_execz .LBB9_1177
; %bb.1169:                             ;   in Loop: Header=BB9_1141 Depth=2
	s_mov_b32 s68, 0
	s_mov_b64 s[58:59], 0
                                        ; implicit-def: $sgpr60_sgpr61
                                        ; implicit-def: $sgpr62_sgpr63
	s_branch .LBB9_1171
.LBB9_1170:                             ;   in Loop: Header=BB9_1171 Depth=3
	s_or_b64 exec, exec, s[66:67]
	s_and_b64 vcc, exec, vcc
	s_or_b64 s[58:59], vcc, s[58:59]
	s_andn2_b64 vcc, s[60:61], exec
	s_and_b64 s[60:61], s[62:63], exec
	s_or_b64 s[60:61], vcc, s[60:61]
	s_andn2_b64 exec, exec, s[58:59]
	s_cbranch_execz .LBB9_1175
.LBB9_1171:                             ;   Parent Loop BB9_47 Depth=1
                                        ;     Parent Loop BB9_1141 Depth=2
                                        ; =>    This Inner Loop Header: Depth=3
	s_add_i32 s68, s68, 1
	s_cmpk_lg_i32 s68, 0x2710
	s_cselect_b64 s[64:65], -1, 0
	s_and_b64 vcc, exec, s[64:65]
                                        ; implicit-def: $sgpr66_sgpr67
	s_cbranch_vccnz .LBB9_1173
; %bb.1172:                             ;   in Loop: Header=BB9_1171 Depth=3
	s_trap 2
	ds_read_b64 v[4:5], v0
	s_andn2_b64 s[64:65], s[64:65], exec
	s_mov_b32 s68, 0
	s_mov_b64 s[66:67], -1
	s_waitcnt vmcnt(0) lgkmcnt(0)
	flat_load_dword v0, v[4:5] sc0 sc1
	s_waitcnt vmcnt(0) lgkmcnt(0)
	buffer_inv sc0 sc1
	v_cmp_eq_u32_e32 vcc, 0, v0
	s_and_b64 vcc, vcc, exec
	s_or_b64 s[64:65], s[64:65], vcc
.LBB9_1173:                             ;   in Loop: Header=BB9_1171 Depth=3
	s_andn2_b64 s[62:63], s[62:63], exec
	s_and_b64 s[66:67], s[66:67], exec
	s_mov_b64 vcc, -1
	s_or_b64 s[62:63], s[62:63], s[66:67]
	s_and_saveexec_b64 s[66:67], s[64:65]
	s_cbranch_execz .LBB9_1170
; %bb.1174:                             ;   in Loop: Header=BB9_1171 Depth=3
	s_sleep 1
	s_trap 2
	ds_read_b64 v[4:5], v0
	s_andn2_b64 s[62:63], s[62:63], exec
	s_waitcnt lgkmcnt(0)
	v_cmp_ge_u64_e32 vcc, v[4:5], v[12:13]
	s_orn2_b64 vcc, vcc, exec
	s_branch .LBB9_1170
.LBB9_1175:                             ;   in Loop: Header=BB9_1141 Depth=2
	s_or_b64 exec, exec, s[58:59]
	s_and_saveexec_b64 vcc, s[60:61]
	s_xor_b64 vcc, exec, vcc
	s_cbranch_execz .LBB9_1177
; %bb.1176:                             ;   in Loop: Header=BB9_1141 Depth=2
	ds_write_b32 v0, v48
	s_trap 2
.LBB9_1177:                             ;   in Loop: Header=BB9_1141 Depth=2
	s_or_b64 exec, exec, s[56:57]
	;;#ASMSTART
	s_wakeup
	;;#ASMEND
.LBB9_1178:                             ;   in Loop: Header=BB9_1141 Depth=2
	s_or_b64 exec, exec, s[54:55]
.LBB9_1179:                             ;   in Loop: Header=BB9_1141 Depth=2
	s_andn2_saveexec_b64 s[28:29], s[28:29]
	s_cbranch_execz .LBB9_1181
; %bb.1180:                             ;   in Loop: Header=BB9_1141 Depth=2
	s_waitcnt lgkmcnt(0)
	s_barrier
.LBB9_1181:                             ;   in Loop: Header=BB9_1141 Depth=2
	s_or_b64 exec, exec, s[28:29]
.LBB9_1182:                             ;   in Loop: Header=BB9_1141 Depth=2
	s_or_b64 exec, exec, s[22:23]
	v_sub_u32_e32 v0, v1, v8
	v_min_i32_e32 v18, v18, v0
	s_and_saveexec_b64 s[22:23], s[20:21]
	s_xor_b64 s[22:23], exec, s[22:23]
	s_cbranch_execz .LBB9_1186
; %bb.1183:                             ;   in Loop: Header=BB9_1141 Depth=2
	s_trap 2
	ds_read_b32 v0, v0
	v_cmp_lt_i32_e32 vcc, 0, v18
	v_and_b32_e32 v2, 16, v62
	s_waitcnt lgkmcnt(0)
	v_readfirstlane_b32 s28, v0
	s_cmp_eq_u32 s28, 0
	s_cselect_b64 s[28:29], -1, 0
	s_and_b64 s[28:29], vcc, s[28:29]
	v_cmp_ne_u32_e32 vcc, 0, v2
	s_and_b64 vcc, vcc, s[28:29]
	s_and_saveexec_b64 s[28:29], vcc
	s_cbranch_execz .LBB9_1185
; %bb.1184:                             ;   in Loop: Header=BB9_1141 Depth=2
	buffer_wbl2 sc1
	s_waitcnt vmcnt(0)
	buffer_inv sc1
.LBB9_1185:                             ;   in Loop: Header=BB9_1141 Depth=2
	s_or_b64 exec, exec, s[28:29]
.LBB9_1186:                             ;   in Loop: Header=BB9_1141 Depth=2
	s_andn2_saveexec_b64 s[22:23], s[22:23]
	s_cbranch_execz .LBB9_1205
; %bb.1187:                             ;   in Loop: Header=BB9_1141 Depth=2
	s_and_saveexec_b64 s[28:29], s[38:39]
	s_xor_b64 s[28:29], exec, s[28:29]
	s_cbranch_execz .LBB9_1202
; %bb.1188:                             ;   in Loop: Header=BB9_1141 Depth=2
	s_and_saveexec_b64 s[54:55], s[12:13]
	s_cbranch_execz .LBB9_1201
; %bb.1189:                             ;   in Loop: Header=BB9_1141 Depth=2
	s_mov_b64 s[58:59], exec
	v_mbcnt_lo_u32_b32 v0, s58, 0
	v_mbcnt_hi_u32_b32 v0, s59, v0
	v_cmp_eq_u32_e32 vcc, 0, v0
	;;#ASMSTART
	s_waitcnt lgkmcnt(0) vmcnt(0)
	;;#ASMEND
	s_and_saveexec_b64 s[56:57], vcc
	s_cbranch_execz .LBB9_1191
; %bb.1190:                             ;   in Loop: Header=BB9_1141 Depth=2
	s_bcnt1_i32_b64 vcc_lo, s[58:59]
	v_mov_b32_e32 v2, vcc_lo
	ds_add_u64 v0, v[2:3]
	s_trap 2
.LBB9_1191:                             ;   in Loop: Header=BB9_1141 Depth=2
	s_or_b64 exec, exec, s[56:57]
	s_trap 2
	ds_read_b64 v[4:5], v0
	v_lshl_add_u64 v[12:13], v[12:13], 0, v[34:35]
	s_waitcnt lgkmcnt(0)
	v_cmp_lt_u64_e32 vcc, v[4:5], v[12:13]
	s_and_saveexec_b64 s[56:57], vcc
	s_cbranch_execz .LBB9_1200
; %bb.1192:                             ;   in Loop: Header=BB9_1141 Depth=2
	s_mov_b32 s68, 0
	s_mov_b64 s[58:59], 0
                                        ; implicit-def: $sgpr60_sgpr61
                                        ; implicit-def: $sgpr62_sgpr63
	s_branch .LBB9_1194
.LBB9_1193:                             ;   in Loop: Header=BB9_1194 Depth=3
	s_or_b64 exec, exec, s[66:67]
	s_and_b64 vcc, exec, vcc
	s_or_b64 s[58:59], vcc, s[58:59]
	s_andn2_b64 vcc, s[60:61], exec
	s_and_b64 s[60:61], s[62:63], exec
	s_or_b64 s[60:61], vcc, s[60:61]
	s_andn2_b64 exec, exec, s[58:59]
	s_cbranch_execz .LBB9_1198
.LBB9_1194:                             ;   Parent Loop BB9_47 Depth=1
                                        ;     Parent Loop BB9_1141 Depth=2
                                        ; =>    This Inner Loop Header: Depth=3
	s_add_i32 s68, s68, 1
	s_cmpk_lg_i32 s68, 0x2710
	s_cselect_b64 s[64:65], -1, 0
	s_and_b64 vcc, exec, s[64:65]
                                        ; implicit-def: $sgpr66_sgpr67
	s_cbranch_vccnz .LBB9_1196
; %bb.1195:                             ;   in Loop: Header=BB9_1194 Depth=3
	s_trap 2
	ds_read_b64 v[4:5], v0
	s_andn2_b64 s[64:65], s[64:65], exec
	s_mov_b32 s68, 0
	s_mov_b64 s[66:67], -1
	s_waitcnt vmcnt(0) lgkmcnt(0)
	flat_load_dword v0, v[4:5] sc0 sc1
	s_waitcnt vmcnt(0) lgkmcnt(0)
	buffer_inv sc0 sc1
	v_cmp_eq_u32_e32 vcc, 0, v0
	s_and_b64 vcc, vcc, exec
	s_or_b64 s[64:65], s[64:65], vcc
.LBB9_1196:                             ;   in Loop: Header=BB9_1194 Depth=3
	s_andn2_b64 s[62:63], s[62:63], exec
	s_and_b64 s[66:67], s[66:67], exec
	s_mov_b64 vcc, -1
	s_or_b64 s[62:63], s[62:63], s[66:67]
	s_and_saveexec_b64 s[66:67], s[64:65]
	s_cbranch_execz .LBB9_1193
; %bb.1197:                             ;   in Loop: Header=BB9_1194 Depth=3
	s_sleep 1
	s_trap 2
	ds_read_b64 v[4:5], v0
	s_andn2_b64 s[62:63], s[62:63], exec
	s_waitcnt lgkmcnt(0)
	v_cmp_ge_u64_e32 vcc, v[4:5], v[12:13]
	s_orn2_b64 vcc, vcc, exec
	s_branch .LBB9_1193
.LBB9_1198:                             ;   in Loop: Header=BB9_1141 Depth=2
	s_or_b64 exec, exec, s[58:59]
	s_and_saveexec_b64 vcc, s[60:61]
	s_xor_b64 vcc, exec, vcc
	s_cbranch_execz .LBB9_1200
; %bb.1199:                             ;   in Loop: Header=BB9_1141 Depth=2
	ds_write_b32 v0, v48
	s_trap 2
.LBB9_1200:                             ;   in Loop: Header=BB9_1141 Depth=2
	s_or_b64 exec, exec, s[56:57]
	;;#ASMSTART
	s_wakeup
	;;#ASMEND
.LBB9_1201:                             ;   in Loop: Header=BB9_1141 Depth=2
	s_or_b64 exec, exec, s[54:55]
.LBB9_1202:                             ;   in Loop: Header=BB9_1141 Depth=2
	s_andn2_saveexec_b64 s[28:29], s[28:29]
	s_cbranch_execz .LBB9_1204
; %bb.1203:                             ;   in Loop: Header=BB9_1141 Depth=2
	;;#ASMSTART
	s_waitcnt lgkmcnt(0) vmcnt(0)
	;;#ASMEND
	s_barrier
.LBB9_1204:                             ;   in Loop: Header=BB9_1141 Depth=2
	s_or_b64 exec, exec, s[28:29]
.LBB9_1205:                             ;   in Loop: Header=BB9_1141 Depth=2
	s_or_b64 exec, exec, s[22:23]
	v_and_b32_e32 v0, 32, v62
	v_cmp_ne_u32_e32 vcc, 0, v0
	s_and_saveexec_b64 s[22:23], vcc
	s_cbranch_execz .LBB9_1140
; %bb.1206:                             ;   in Loop: Header=BB9_1141 Depth=2
	v_lshl_add_u64 v[20:21], v[20:21], 0, 2
	flat_store_dwordx2 v[22:23], v[20:21] sc0 sc1
	s_branch .LBB9_1140
.LBB9_1207:
	s_or_b64 exec, exec, s[36:37]
	v_accvgpr_read_b32 v27, a11
	v_accvgpr_read_b32 v24, a0
	;; [unrolled: 1-line block ×5, first 2 shown]
.LBB9_1208:
	s_or_b64 exec, exec, s[34:35]
	v_and_b32_e32 v0, 0x800, v62
	v_cmp_eq_u32_e32 vcc, 0, v0
	s_and_saveexec_b64 s[0:1], vcc
	s_cbranch_execz .LBB9_1243
; %bb.1209:
	v_and_b32_e32 v0, 48, v62
	v_cmp_ne_u32_e32 vcc, 0, v0
	s_and_saveexec_b64 s[2:3], vcc
	s_cbranch_execz .LBB9_1211
; %bb.1210:
	flat_store_dwordx2 v[26:27], v[20:21] offset:104
.LBB9_1211:
	s_or_b64 exec, exec, s[2:3]
	s_movk_i32 s2, 0x88
	v_and_b32_e32 v0, 0x88, v62
	v_cmp_eq_u32_e32 vcc, s2, v0
	s_and_saveexec_b64 s[2:3], vcc
	s_cbranch_execz .LBB9_1223
; %bb.1212:
	v_add_u32_e32 v0, 6, v20
	v_and_b32_e32 v0, 7, v0
	v_mad_u64_u32 v[0:1], s[4:5], v0, 24, v[44:45]
	v_lshl_add_u64 v[2:3], v[0:1], 0, 8
	s_mov_b64 s[4:5], 0
	v_mov_b32_e32 v0, 0
	s_movk_i32 s20, 0x270e
                                        ; implicit-def: $sgpr6_sgpr7
	s_branch .LBB9_1217
.LBB9_1213:                             ;   in Loop: Header=BB9_1217 Depth=1
	s_or_b64 exec, exec, s[18:19]
	v_mov_b32_e32 v1, 0
	s_orn2_b64 s[16:17], s[16:17], exec
.LBB9_1214:                             ;   in Loop: Header=BB9_1217 Depth=1
	s_or_b64 exec, exec, s[14:15]
	s_and_b64 s[14:15], s[16:17], exec
	v_mov_b32_e32 v0, v1
.LBB9_1215:                             ;   in Loop: Header=BB9_1217 Depth=1
	s_or_b64 exec, exec, s[12:13]
	s_xor_b64 s[12:13], s[14:15], -1
	s_andn2_b64 s[6:7], s[6:7], exec
	s_and_b64 s[12:13], s[12:13], exec
	s_or_b64 s[6:7], s[6:7], s[12:13]
.LBB9_1216:                             ;   in Loop: Header=BB9_1217 Depth=1
	s_or_b64 exec, exec, s[10:11]
	s_and_b64 s[10:11], exec, s[6:7]
	s_or_b64 s[4:5], s[10:11], s[4:5]
	s_andn2_b64 exec, exec, s[4:5]
	s_cbranch_execz .LBB9_1222
.LBB9_1217:                             ; =>This Inner Loop Header: Depth=1
	flat_load_dwordx2 v[4:5], v[2:3] sc0 sc1
	s_waitcnt vmcnt(0)
	s_or_b64 s[6:7], s[6:7], exec
	s_waitcnt lgkmcnt(0)
	v_cmp_ne_u64_e32 vcc, -1, v[4:5]
	s_and_saveexec_b64 s[10:11], vcc
	s_cbranch_execz .LBB9_1216
; %bb.1218:                             ;   in Loop: Header=BB9_1217 Depth=1
	v_and_b32_e32 v1, 64, v62
	v_cmp_eq_u32_e32 vcc, 0, v1
	s_mov_b64 s[14:15], 0
	s_and_saveexec_b64 s[12:13], vcc
	s_cbranch_execz .LBB9_1215
; %bb.1219:                             ;   in Loop: Header=BB9_1217 Depth=1
	v_add_u32_e32 v1, 1, v0
	v_cmp_lt_i32_e32 vcc, s20, v0
	s_mov_b64 s[16:17], -1
	s_and_saveexec_b64 s[14:15], vcc
	s_cbranch_execz .LBB9_1214
; %bb.1220:                             ;   in Loop: Header=BB9_1217 Depth=1
	s_trap 2
	ds_read_b64 v[0:1], v0
	s_waitcnt lgkmcnt(0)
	flat_load_dword v0, v[0:1] sc0 sc1
	s_waitcnt vmcnt(0) lgkmcnt(0)
	buffer_inv sc0 sc1
	v_cmp_ne_u32_e32 vcc, 0, v0
	s_and_saveexec_b64 s[18:19], vcc
	s_cbranch_execz .LBB9_1213
; %bb.1221:                             ;   in Loop: Header=BB9_1217 Depth=1
	v_or_b32_e32 v62, 64, v62
	s_xor_b64 s[16:17], exec, -1
	ds_write_b32 v0, v0
	s_trap 2
	s_branch .LBB9_1213
.LBB9_1222:
	s_or_b64 exec, exec, s[4:5]
.LBB9_1223:
	s_or_b64 exec, exec, s[2:3]
	v_and_b32_e32 v0, 0x2000, v62
	v_cmp_ne_u32_e32 vcc, 0, v0
	s_and_saveexec_b64 s[2:3], vcc
	s_cbranch_execz .LBB9_1225
; %bb.1224:
	s_trap 2
	ds_read_b64 v[0:1], v0
	v_accvgpr_read_b32 v2, a8
	v_accvgpr_read_b32 v3, a9
	s_waitcnt lgkmcnt(0)
	flat_store_dwordx2 v[2:3], v[0:1] offset:16
.LBB9_1225:
	s_or_b64 exec, exec, s[2:3]
	v_cmp_ne_u32_e32 vcc, 64, v24
	s_and_b64 exec, exec, vcc
	s_cbranch_execz .LBB9_1243
; %bb.1226:
	v_cmp_ne_u32_sdwa s[2:3], v17, v24 src0_sel:WORD_0 src1_sel:DWORD
	s_and_saveexec_b64 s[4:5], s[2:3]
	s_xor_b64 s[2:3], exec, s[4:5]
	s_cbranch_execz .LBB9_1241
; %bb.1227:
	v_and_b32_e32 v0, 63, v31
	v_cmp_eq_u32_e32 vcc, 0, v0
	s_and_saveexec_b64 s[4:5], vcc
	s_cbranch_execz .LBB9_1240
; %bb.1228:
	s_mov_b64 s[10:11], exec
	v_mbcnt_lo_u32_b32 v0, s10, 0
	v_mbcnt_hi_u32_b32 v0, s11, v0
	v_cmp_eq_u32_e32 vcc, 0, v0
	s_waitcnt lgkmcnt(0)
	s_and_saveexec_b64 s[6:7], vcc
	s_cbranch_execz .LBB9_1230
; %bb.1229:
	s_bcnt1_i32_b64 s10, s[10:11]
	v_mov_b32_e32 v0, s10
	v_mov_b32_e32 v1, 0
	ds_add_u64 v0, v[0:1]
	s_trap 2
.LBB9_1230:
	s_or_b64 exec, exec, s[6:7]
	v_ashrrev_i32_e32 v0, 31, v24
	v_lshrrev_b32_e32 v0, 26, v0
	s_trap 2
	ds_read_b64 v[2:3], v0
	v_add_u32_e32 v0, v24, v0
	v_ashrrev_i32_e32 v0, 6, v0
	v_ashrrev_i32_e32 v1, 31, v0
	v_lshl_add_u64 v[0:1], v[12:13], 0, v[0:1]
	s_waitcnt lgkmcnt(0)
	v_cmp_lt_u64_e32 vcc, v[2:3], v[0:1]
	s_and_saveexec_b64 s[6:7], vcc
	s_cbranch_execz .LBB9_1239
; %bb.1231:
	s_mov_b32 s22, 0
	s_mov_b64 s[10:11], 0
                                        ; implicit-def: $sgpr12_sgpr13
                                        ; implicit-def: $sgpr14_sgpr15
	s_branch .LBB9_1233
.LBB9_1232:                             ;   in Loop: Header=BB9_1233 Depth=1
	s_or_b64 exec, exec, s[20:21]
	s_and_b64 s[16:17], exec, s[18:19]
	s_or_b64 s[10:11], s[16:17], s[10:11]
	s_andn2_b64 s[12:13], s[12:13], exec
	s_and_b64 s[16:17], s[14:15], exec
	s_or_b64 s[12:13], s[12:13], s[16:17]
	s_andn2_b64 exec, exec, s[10:11]
	s_cbranch_execz .LBB9_1237
.LBB9_1233:                             ; =>This Inner Loop Header: Depth=1
	s_add_i32 s22, s22, 1
	s_cmpk_lg_i32 s22, 0x2710
	s_cselect_b64 s[16:17], -1, 0
	s_and_b64 vcc, exec, s[16:17]
                                        ; implicit-def: $sgpr20_sgpr21
	s_cbranch_vccnz .LBB9_1235
; %bb.1234:                             ;   in Loop: Header=BB9_1233 Depth=1
	s_trap 2
	ds_read_b64 v[2:3], v0
	s_andn2_b64 s[16:17], s[16:17], exec
	s_mov_b32 s22, 0
	s_mov_b64 s[20:21], -1
	s_waitcnt vmcnt(0) lgkmcnt(0)
	flat_load_dword v2, v[2:3] sc0 sc1
	s_waitcnt vmcnt(0) lgkmcnt(0)
	buffer_inv sc0 sc1
	v_cmp_eq_u32_e32 vcc, 0, v2
	s_and_b64 s[18:19], vcc, exec
	s_or_b64 s[16:17], s[16:17], s[18:19]
.LBB9_1235:                             ;   in Loop: Header=BB9_1233 Depth=1
	s_andn2_b64 s[14:15], s[14:15], exec
	s_and_b64 s[20:21], s[20:21], exec
	s_mov_b64 s[18:19], -1
	s_or_b64 s[14:15], s[14:15], s[20:21]
	s_and_saveexec_b64 s[20:21], s[16:17]
	s_cbranch_execz .LBB9_1232
; %bb.1236:                             ;   in Loop: Header=BB9_1233 Depth=1
	s_sleep 1
	s_trap 2
	ds_read_b64 v[2:3], v0
	s_andn2_b64 s[14:15], s[14:15], exec
	s_waitcnt lgkmcnt(0)
	v_cmp_ge_u64_e32 vcc, v[2:3], v[0:1]
	s_orn2_b64 s[18:19], vcc, exec
	s_branch .LBB9_1232
.LBB9_1237:
	s_or_b64 exec, exec, s[10:11]
	s_and_saveexec_b64 s[10:11], s[12:13]
	s_xor_b64 s[10:11], exec, s[10:11]
	s_cbranch_execz .LBB9_1239
; %bb.1238:
	v_mov_b32_e32 v0, 1
	ds_write_b32 v0, v0
	s_trap 2
.LBB9_1239:
	s_or_b64 exec, exec, s[6:7]
	;;#ASMSTART
	s_wakeup
	;;#ASMEND
.LBB9_1240:
	s_or_b64 exec, exec, s[4:5]
.LBB9_1241:
	s_andn2_saveexec_b64 s[2:3], s[2:3]
	s_cbranch_execz .LBB9_1243
; %bb.1242:
	s_waitcnt lgkmcnt(0)
	s_barrier
.LBB9_1243:
	s_or_b64 exec, exec, s[0:1]
.LBB9_1244:
	s_andn2_saveexec_b64 s[22:23], s[30:31]
	s_cbranch_execz .LBB9_1246
; %bb.1245:
	s_getpc_b64 s[0:1]
	s_add_u32 s0, s0, __PRETTY_FUNCTION__._ZN10PrimitivesI6__half8FuncProdIS0_E12FanSymmetricILi1EELi0E11ProtoSimpleILi2ELi2ELi0ELi2ELi0ELi0EELi0ELb0ELi0ELi0ELi0EEC2EiiPKiS9_PKvPvmhhhP15ncclDevWorkCollP14ncclDevWorkP2pii@rel32@lo+4
	s_addc_u32 s1, s1, __PRETTY_FUNCTION__._ZN10PrimitivesI6__half8FuncProdIS0_E12FanSymmetricILi1EELi0E11ProtoSimpleILi2ELi2ELi0ELi2ELi0ELi0EELi0ELb0ELi0ELi0ELi0EEC2EiiPKiS9_PKvPvmhhhP15ncclDevWorkCollP14ncclDevWorkP2pii@rel32@hi+12
	v_mov_b32_e32 v0, s0
	v_mov_b32_e32 v1, s1
	s_getpc_b64 s[2:3]
	s_add_u32 s2, s2, __assert_fail@rel32@lo+4
	s_addc_u32 s3, s3, __assert_fail@rel32@hi+12
	s_swappc_b64 s[30:31], s[2:3]
	; divergent unreachable
.LBB9_1246:
	s_or_b64 exec, exec, s[22:23]
	scratch_load_dword a49, off, s33        ; 4-byte Folded Reload
	scratch_load_dword a48, off, s33 offset:4 ; 4-byte Folded Reload
	scratch_load_dword a47, off, s33 offset:8 ; 4-byte Folded Reload
	scratch_load_dword a46, off, s33 offset:12 ; 4-byte Folded Reload
	scratch_load_dword a45, off, s33 offset:16 ; 4-byte Folded Reload
	scratch_load_dword a44, off, s33 offset:20 ; 4-byte Folded Reload
	scratch_load_dword a43, off, s33 offset:24 ; 4-byte Folded Reload
	scratch_load_dword a42, off, s33 offset:28 ; 4-byte Folded Reload
	scratch_load_dword a41, off, s33 offset:32 ; 4-byte Folded Reload
	scratch_load_dword a40, off, s33 offset:36 ; 4-byte Folded Reload
	scratch_load_dword a39, off, s33 offset:40 ; 4-byte Folded Reload
	scratch_load_dword a38, off, s33 offset:44 ; 4-byte Folded Reload
	scratch_load_dword a37, off, s33 offset:48 ; 4-byte Folded Reload
	scratch_load_dword a36, off, s33 offset:52 ; 4-byte Folded Reload
	scratch_load_dword a35, off, s33 offset:56 ; 4-byte Folded Reload
	scratch_load_dword a34, off, s33 offset:60 ; 4-byte Folded Reload
	scratch_load_dword a33, off, s33 offset:64 ; 4-byte Folded Reload
	scratch_load_dword a32, off, s33 offset:68 ; 4-byte Folded Reload
	scratch_load_dword v62, off, s33 offset:72 ; 4-byte Folded Reload
	scratch_load_dword v61, off, s33 offset:76 ; 4-byte Folded Reload
	scratch_load_dword v60, off, s33 offset:80 ; 4-byte Folded Reload
	s_waitcnt lgkmcnt(0)
	scratch_load_dword v59, off, s33 offset:84 ; 4-byte Folded Reload
	scratch_load_dword v58, off, s33 offset:88 ; 4-byte Folded Reload
	;; [unrolled: 1-line block ×12, first 2 shown]
	v_readlane_b32 s30, v63, 56
	v_readlane_b32 s31, v63, 57
	;; [unrolled: 1-line block ×59, first 2 shown]
	s_or_saveexec_b64 s[2:3], -1
	scratch_load_dword v63, off, s33 offset:132 ; 4-byte Folded Reload
	s_mov_b64 exec, s[2:3]
	s_addk_i32 s32, 0xff70
	s_mov_b32 s33, s0
	s_waitcnt vmcnt(0)
	s_setpc_b64 s[30:31]
.Lfunc_end9:
	.size	_ZN12_GLOBAL__N_17runRingI6__half8FuncProdIS1_E11ProtoSimpleILi2ELi2ELi0ELi2ELi0ELi0EELi0ELi0ELi2ELi0EEEviiP15ncclDevWorkColl, .Lfunc_end9-_ZN12_GLOBAL__N_17runRingI6__half8FuncProdIS1_E11ProtoSimpleILi2ELi2ELi0ELi2ELi0ELi0EELi0ELi0ELi2ELi0EEEviiP15ncclDevWorkColl
                                        ; -- End function
	.section	.AMDGPU.csdata,"",@progbits
; Function info:
; codeLenInByte = 39996
; NumSgprs: 96
; NumVgprs: 64
; NumAgprs: 50
; TotalNumVgprs: 114
; ScratchSize: 208
; MemoryBound: 1
	.text
	.p2align	2                               ; -- Begin function _Z48ncclDevFunc_AllReduce_RING_SIMPLE_Prod_f16_0_0_2v
	.type	_Z48ncclDevFunc_AllReduce_RING_SIMPLE_Prod_f16_0_0_2v,@function
_Z48ncclDevFunc_AllReduce_RING_SIMPLE_Prod_f16_0_0_2v: ; @_Z48ncclDevFunc_AllReduce_RING_SIMPLE_Prod_f16_0_0_2v
; %bb.0:
	s_waitcnt vmcnt(0) expcnt(0) lgkmcnt(0)
	s_mov_b32 s0, s33
	s_mov_b32 s33, s32
	s_or_saveexec_b64 s[2:3], -1
	scratch_store_dword off, v44, s33 offset:20 ; 4-byte Folded Spill
	scratch_store_dword off, v45, s33 offset:24 ; 4-byte Folded Spill
	s_mov_b64 exec, s[2:3]
	v_writelane_b32 v45, s0, 2
	s_add_i32 s32, s32, 32
	scratch_store_dword off, v40, s33 offset:16 ; 4-byte Folded Spill
	scratch_store_dword off, v41, s33 offset:12 ; 4-byte Folded Spill
	;; [unrolled: 1-line block ×4, first 2 shown]
	scratch_store_dword off, v63, s33       ; 4-byte Folded Spill
	v_writelane_b32 v44, s34, 0
	v_writelane_b32 v44, s35, 1
	;; [unrolled: 1-line block ×65, first 2 shown]
	s_nop 1
	v_writelane_b32 v45, s31, 1
	s_trap 2
	ds_read_b32 v0, v0
	v_mov_b32_e32 v40, v31
	s_mov_b32 s92, s12
	s_mov_b64 s[90:91], s[8:9]
	s_waitcnt lgkmcnt(0)
	v_cmp_gt_i32_e32 vcc, 1, v0
	s_cbranch_vccnz .LBB10_11
; %bb.1:
	s_mov_b32 s93, 0
	v_and_b32_e32 v41, 0x3ff, v40
	s_mov_b64 s[94:95], src_shared_base
	v_mov_b32_e32 v43, 6
	s_branch .LBB10_3
.LBB10_2:                               ;   in Loop: Header=BB10_3 Depth=1
	s_or_b64 exec, exec, s[96:97]
	s_trap 2
	ds_read_b32 v0, v0
	s_add_i32 s93, s93, 1
	s_waitcnt lgkmcnt(0)
	v_cmp_lt_i32_e32 vcc, s93, v0
	s_cbranch_vccz .LBB10_11
.LBB10_3:                               ; =>This Inner Loop Header: Depth=1
	s_trap 2
	ds_read_b32 v0, v0
	s_cmp_eq_u32 s93, 0
	s_cbranch_scc1 .LBB10_6
; %bb.4:                                ;   in Loop: Header=BB10_3 Depth=1
	s_trap 2
	s_waitcnt lgkmcnt(0)
	ds_read_b32 v1, v0
	s_waitcnt lgkmcnt(0)
	v_xor_b32_e32 v1, v1, v0
	v_and_b32_e32 v1, 0xff0000, v1
	v_cmp_eq_u32_e32 vcc, 0, v1
	s_cbranch_vccnz .LBB10_6
; %bb.5:                                ;   in Loop: Header=BB10_3 Depth=1
	s_barrier
	ds_read_b32 v0, v0
.LBB10_6:                               ;   in Loop: Header=BB10_3 Depth=1
	s_waitcnt lgkmcnt(0)
	v_lshlrev_b32_sdwa v42, v43, v0 dst_sel:DWORD dst_unused:UNUSED_PAD src0_sel:DWORD src1_sel:BYTE_2
	v_cmp_lt_u32_e32 vcc, v41, v42
	s_and_saveexec_b64 s[96:97], vcc
	s_cbranch_execz .LBB10_2
; %bb.7:                                ;   in Loop: Header=BB10_3 Depth=1
	v_cmp_lt_i32_e32 vcc, -1, v0
	s_mov_b64 s[0:1], -1
	s_cbranch_vccnz .LBB10_9
; %bb.8:                                ;   in Loop: Header=BB10_3 Depth=1
	s_mov_b64 s[8:9], s[90:91]
	s_mov_b32 s12, s92
	v_mov_b32_e32 v31, v40
	v_mov_b32_e32 v0, v41
	;; [unrolled: 1-line block ×4, first 2 shown]
	s_getpc_b64 s[0:1]
	s_add_u32 s0, s0, _ZN12_GLOBAL__N_17runRingI6__half8FuncProdIS1_E11ProtoSimpleILi1ELi4ELi0ELi2ELi0ELi0EELi0ELi0ELi2ELi0EEEviiP15ncclDevWorkColl@rel32@lo+4
	s_addc_u32 s1, s1, _ZN12_GLOBAL__N_17runRingI6__half8FuncProdIS1_E11ProtoSimpleILi1ELi4ELi0ELi2ELi0ELi0EELi0ELi0ELi2ELi0EEEviiP15ncclDevWorkColl@rel32@hi+12
	s_swappc_b64 s[30:31], s[0:1]
	s_mov_b64 s[0:1], 0
.LBB10_9:                               ;   in Loop: Header=BB10_3 Depth=1
	s_andn2_b64 vcc, exec, s[0:1]
	s_cbranch_vccnz .LBB10_2
; %bb.10:                               ;   in Loop: Header=BB10_3 Depth=1
	s_mov_b64 s[8:9], s[90:91]
	s_mov_b32 s12, s92
	v_mov_b32_e32 v31, v40
	v_mov_b32_e32 v0, v41
	;; [unrolled: 1-line block ×4, first 2 shown]
	s_getpc_b64 s[0:1]
	s_add_u32 s0, s0, _ZN12_GLOBAL__N_17runRingI6__half8FuncProdIS1_E11ProtoSimpleILi2ELi2ELi0ELi2ELi0ELi0EELi0ELi0ELi2ELi0EEEviiP15ncclDevWorkColl@rel32@lo+4
	s_addc_u32 s1, s1, _ZN12_GLOBAL__N_17runRingI6__half8FuncProdIS1_E11ProtoSimpleILi2ELi2ELi0ELi2ELi0ELi0EELi0ELi0ELi2ELi0EEEviiP15ncclDevWorkColl@rel32@hi+12
	s_swappc_b64 s[30:31], s[0:1]
	s_branch .LBB10_2
.LBB10_11:
	scratch_load_dword v63, off, s33        ; 4-byte Folded Reload
	scratch_load_dword v43, off, s33 offset:4 ; 4-byte Folded Reload
	scratch_load_dword v42, off, s33 offset:8 ; 4-byte Folded Reload
	;; [unrolled: 1-line block ×4, first 2 shown]
	v_readlane_b32 s30, v45, 0
	v_readlane_b32 s31, v45, 1
	;; [unrolled: 1-line block ×67, first 2 shown]
	s_or_saveexec_b64 s[2:3], -1
	scratch_load_dword v44, off, s33 offset:20 ; 4-byte Folded Reload
	scratch_load_dword v45, off, s33 offset:24 ; 4-byte Folded Reload
	s_mov_b64 exec, s[2:3]
	s_addk_i32 s32, 0xffe0
	s_mov_b32 s33, s0
	s_waitcnt vmcnt(0)
	s_setpc_b64 s[30:31]
.Lfunc_end10:
	.size	_Z48ncclDevFunc_AllReduce_RING_SIMPLE_Prod_f16_0_0_2v, .Lfunc_end10-_Z48ncclDevFunc_AllReduce_RING_SIMPLE_Prod_f16_0_0_2v
                                        ; -- End function
	.section	.AMDGPU.csdata,"",@progbits
; Function info:
; codeLenInByte = 1548
; NumSgprs: 104
; NumVgprs: 64
; NumAgprs: 50
; TotalNumVgprs: 114
; ScratchSize: 240
; MemoryBound: 0
	.text
	.p2align	2                               ; -- Begin function _ZN12_GLOBAL__N_17runRingI6__half8FuncProdIS1_E11ProtoSimpleILi1ELi4ELi1ELi2ELi0ELi0EELi0ELi1ELi2ELi0EEEviiP15ncclDevWorkColl
	.type	_ZN12_GLOBAL__N_17runRingI6__half8FuncProdIS1_E11ProtoSimpleILi1ELi4ELi1ELi2ELi0ELi0EELi0ELi1ELi2ELi0EEEviiP15ncclDevWorkColl,@function
_ZN12_GLOBAL__N_17runRingI6__half8FuncProdIS1_E11ProtoSimpleILi1ELi4ELi1ELi2ELi0ELi0EELi0ELi1ELi2ELi0EEEviiP15ncclDevWorkColl: ; @_ZN12_GLOBAL__N_17runRingI6__half8FuncProdIS1_E11ProtoSimpleILi1ELi4ELi1ELi2ELi0ELi0EELi0ELi1ELi2ELi0EEEviiP15ncclDevWorkColl
; %bb.0:
	s_waitcnt vmcnt(0) expcnt(0) lgkmcnt(0)
	s_mov_b32 s0, s33
	s_mov_b32 s33, s32
	s_or_saveexec_b64 s[2:3], -1
	scratch_store_dword off, v63, s33 offset:168 ; 4-byte Folded Spill
	s_mov_b64 exec, s[2:3]
	v_writelane_b32 v63, s0, 57
	s_addk_i32 s32, 0xb0
	scratch_store_dword off, v40, s33 offset:148 ; 4-byte Folded Spill
	scratch_store_dword off, v41, s33 offset:144 ; 4-byte Folded Spill
	;; [unrolled: 1-line block ×37, first 2 shown]
	scratch_store_dword off, a55, s33       ; 4-byte Folded Spill
	v_writelane_b32 v63, s34, 0
	v_writelane_b32 v63, s35, 1
	;; [unrolled: 1-line block ×56, first 2 shown]
	s_nop 1
	v_writelane_b32 v63, s31, 56
	s_trap 2
	flat_load_dword v6, v[2:3]
	ds_read_b32 v7, v0
	v_mov_b32_e32 v60, v0
                                        ; implicit-def: $vgpr4_vgpr5
                                        ; implicit-def: $vgpr46_vgpr47
                                        ; implicit-def: $vgpr18_vgpr19
	s_waitcnt lgkmcnt(0)
	v_readfirstlane_b32 s72, v7
	s_waitcnt vmcnt(0)
	v_cmp_ne_u32_sdwa s[0:1], v6, v7 src0_sel:BYTE_0 src1_sel:DWORD
	s_and_saveexec_b64 s[2:3], s[0:1]
	s_xor_b64 s[0:1], exec, s[2:3]
	s_cbranch_execz .LBB11_6
; %bb.1:
	v_not_b32_sdwa v0, v6 dst_sel:DWORD dst_unused:UNUSED_PAD src0_sel:BYTE_0
	v_cmp_ne_u32_sdwa s[2:3], v6, v7 src0_sel:BYTE_1 src1_sel:DWORD
                                        ; implicit-def: $vgpr4_vgpr5
                                        ; implicit-def: $vgpr46_vgpr47
                                        ; implicit-def: $vgpr18_vgpr19
	s_and_saveexec_b64 s[4:5], s[2:3]
	s_xor_b64 s[2:3], exec, s[4:5]
	s_cbranch_execz .LBB11_3
; %bb.2:
	flat_load_dwordx4 v[8:11], v[2:3] offset:72
	flat_load_dwordx2 v[4:5], v[2:3] offset:96
	v_add_u32_e32 v0, v7, v0
	v_ashrrev_i32_e32 v6, 31, v0
	s_waitcnt vmcnt(0) lgkmcnt(0)
	v_mul_lo_u32 v6, v10, v6
	v_mad_u64_u32 v[46:47], s[4:5], v10, v0, v[8:9]
	v_mul_lo_u32 v0, v11, v0
	v_lshrrev_b64 v[4:5], 13, v[4:5]
	v_add3_u32 v47, v0, v47, v6
	v_mov_b64_e32 v[18:19], v[10:11]
                                        ; implicit-def: $vgpr6
                                        ; implicit-def: $vgpr0
.LBB11_3:
	s_andn2_saveexec_b64 s[2:3], s[2:3]
	s_cbranch_execz .LBB11_5
; %bb.4:
	flat_load_dwordx4 v[8:11], v[2:3] offset:72
	flat_load_dwordx4 v[18:21], v[2:3] offset:88
	v_add_u32_sdwa v0, v6, v0 dst_sel:DWORD dst_unused:UNUSED_PAD src0_sel:BYTE_1 src1_sel:DWORD
	v_ashrrev_i32_e32 v4, 31, v0
	s_waitcnt vmcnt(0) lgkmcnt(0)
	v_mul_lo_u32 v4, v10, v4
	v_mad_u64_u32 v[46:47], s[4:5], v10, v0, v[8:9]
	v_mul_lo_u32 v0, v11, v0
	v_add3_u32 v47, v0, v47, v4
	v_lshrrev_b32_e32 v4, 2, v21
.LBB11_5:
	s_or_b64 exec, exec, s[2:3]
.LBB11_6:
	s_andn2_saveexec_b64 s[0:1], s[0:1]
	s_cbranch_execz .LBB11_8
; %bb.7:
	flat_load_dwordx2 v[4:5], v[2:3] offset:96
	flat_load_dwordx2 v[18:19], v[2:3] offset:72
	v_mov_b64_e32 v[46:47], 0
	s_waitcnt vmcnt(0) lgkmcnt(0)
	v_lshlrev_b64 v[4:5], 8, v[4:5]
.LBB11_8:
	s_or_b64 exec, exec, s[0:1]
	s_trap 2
	ds_read_b64 v[6:7], v0
	s_waitcnt lgkmcnt(0)
	v_cmp_ne_u32_e32 vcc, -1, v6
	s_nop 1
	v_cndmask_b32_e64 v0, 0, 1, vcc
	v_cmp_ne_u32_e32 vcc, -1, v7
	s_nop 1
	v_addc_co_u32_e64 v5, s[0:1], 0, v0, vcc
	v_lshlrev_b32_e32 v6, 1, v5
	v_cmp_le_i32_e64 s[0:1], v6, v1
	s_and_saveexec_b64 s[2:3], s[0:1]
	s_xor_b64 s[34:35], exec, s[2:3]
	s_cbranch_execz .LBB11_1219
; %bb.9:
	flat_load_dwordx2 v[6:7], v[2:3] offset:104
	flat_load_dwordx4 v[10:13], v[2:3] offset:16
	flat_load_ushort v15, v[2:3] offset:8
	flat_load_dword v14, v[2:3] offset:4
	s_trap 2
	s_load_dword s0, s[8:9], 0x0
	v_mov_b32_e32 v8, 0
	v_mov_b32_e32 v62, 4
	s_waitcnt lgkmcnt(0)
	s_cmp_lt_u32 s12, s0
	s_cselect_b32 s0, 12, 18
	s_add_u32 s0, s8, s0
	s_addc_u32 s1, s9, 0
	global_load_ushort v16, v8, s[0:1]
	ds_read_b32 v8, v0
	v_cmp_ge_i32_e64 s[0:1], v60, v0
	s_waitcnt lgkmcnt(0)
	v_readfirstlane_b32 s16, v8
	s_and_saveexec_b64 s[2:3], s[0:1]
	s_cbranch_execz .LBB11_19
; %bb.10:
	v_cmp_le_u32_e64 s[0:1], v5, v60
                                        ; implicit-def: $vgpr62
	s_and_saveexec_b64 s[4:5], s[0:1]
	s_xor_b64 s[0:1], exec, s[4:5]
	s_cbranch_execz .LBB11_16
; %bb.11:
	v_cndmask_b32_e64 v8, 0, 1, vcc
	v_sub_u32_e32 v8, v1, v8
	v_cmp_ge_u32_e32 vcc, v60, v8
                                        ; implicit-def: $sgpr6
	s_and_saveexec_b64 s[4:5], vcc
	s_xor_b64 s[4:5], exec, s[4:5]
; %bb.12:
	s_mov_b32 s6, 16
                                        ; implicit-def: $vgpr5
; %bb.13:
	s_or_saveexec_b64 s[4:5], s[4:5]
	v_mov_b32_e32 v62, s6
	s_xor_b64 exec, exec, s[4:5]
; %bb.14:
	v_sub_u32_e32 v5, v1, v5
	v_cmp_ge_i32_e32 vcc, v60, v5
	s_nop 1
	v_cndmask_b32_e64 v5, 0, 1, vcc
	v_lshlrev_b32_e32 v62, 5, v5
; %bb.15:
	s_or_b64 exec, exec, s[4:5]
.LBB11_16:
	s_andn2_saveexec_b64 s[0:1], s[0:1]
; %bb.17:
	v_mov_b32_e32 v62, 8
; %bb.18:
	s_or_b64 exec, exec, s[0:1]
.LBB11_19:
	s_or_b64 exec, exec, s[2:3]
	v_and_b32_e32 v5, 36, v62
	v_cmp_ne_u32_e32 vcc, 0, v5
	v_mov_b32_e32 v8, -1
	s_and_saveexec_b64 s[0:1], vcc
	s_cbranch_execz .LBB11_21
; %bb.20:
	s_trap 2
	ds_read_b32 v8, v0
.LBB11_21:
	s_or_b64 exec, exec, s[0:1]
	v_and_b32_e32 v5, 24, v62
	v_cmp_ne_u32_e64 s[0:1], 0, v5
	s_and_saveexec_b64 s[2:3], s[0:1]
	s_cbranch_execz .LBB11_23
; %bb.22:
	s_trap 2
	s_waitcnt lgkmcnt(0)
	ds_read_b32 v8, v0
.LBB11_23:
	s_or_b64 exec, exec, s[2:3]
	s_waitcnt vmcnt(0)
	v_lshrrev_b64 v[14:15], 31, v[14:15]
	v_mov_b64_e32 v[22:23], 0
	v_and_b32_e32 v5, 3, v14
	v_mov_b64_e32 v[48:49], v[22:23]
                                        ; implicit-def: $agpr8_agpr9
                                        ; implicit-def: $vgpr40
                                        ; implicit-def: $vgpr44_vgpr45
                                        ; implicit-def: $vgpr36_vgpr37
                                        ; implicit-def: $vgpr58_vgpr59
                                        ; implicit-def: $vgpr42_vgpr43
	s_and_saveexec_b64 s[0:1], vcc
	s_cbranch_execz .LBB11_33
; %bb.24:
	s_trap 2
	ds_read_b64 v[14:15], v0
	s_waitcnt lgkmcnt(1)
	v_ashrrev_i32_e32 v9, 31, v8
	s_movk_i32 s2, 0xa8
                                        ; implicit-def: $agpr8_agpr9
	s_waitcnt lgkmcnt(0)
	v_lshl_add_u64 v[14:15], v[8:9], 3, v[14:15]
	flat_load_dwordx2 v[14:15], v[14:15]
	v_and_b32_e32 v9, 0xffff, v5
	s_waitcnt vmcnt(0) lgkmcnt(0)
	v_mad_u64_u32 v[14:15], s[2:3], v9, s2, v[14:15]
	flat_load_dword v9, v[14:15] offset:640
	s_mov_b64 s[2:3], 0x1f8
	v_lshl_add_u64 v[22:23], v[14:15], 0, s[2:3]
	s_waitcnt vmcnt(0) lgkmcnt(0)
	v_cmp_eq_u32_e32 vcc, 1, v9
	s_and_saveexec_b64 s[2:3], vcc
	s_cbranch_execz .LBB11_26
; %bb.25:
	flat_load_dwordx2 v[20:21], v[22:23] offset:144
	v_or_b32_e32 v62, 0x2000, v62
	s_waitcnt vmcnt(0) lgkmcnt(0)
	flat_load_dwordx2 v[14:15], v[20:21]
	s_trap 2
	v_accvgpr_write_b32 a8, v20
	v_accvgpr_write_b32 a9, v21
	s_waitcnt vmcnt(0) lgkmcnt(0)
	ds_write_b64 v0, v[14:15]
	flat_load_dwordx2 v[14:15], v[20:21] offset:8
	s_waitcnt vmcnt(0) lgkmcnt(0)
	ds_write_b64 v0, v[14:15]
	flat_load_dwordx2 v[14:15], v[20:21] offset:16
	s_waitcnt vmcnt(0) lgkmcnt(0)
	ds_write_b64 v0, v[14:15]
.LBB11_26:
	s_or_b64 exec, exec, s[2:3]
	flat_load_dwordx2 v[14:15], v[22:23] offset:104
	v_and_b32_e32 v9, 32, v62
	v_cmp_ne_u32_e32 vcc, 0, v9
                                        ; implicit-def: $vgpr42_vgpr43
	s_waitcnt vmcnt(0) lgkmcnt(0)
	v_lshl_add_u64 v[44:45], v[14:15], 0, 3
	v_and_b32_e32 v44, -4, v44
	s_and_saveexec_b64 s[2:3], vcc
	s_cbranch_execz .LBB11_28
; %bb.27:
	flat_load_dwordx2 v[42:43], v[22:23] offset:56
	s_waitcnt vmcnt(0) lgkmcnt(0)
	flat_store_dwordx2 v[42:43], v[44:45] sc0 sc1
.LBB11_28:
	s_or_b64 exec, exec, s[2:3]
	v_and_b32_e32 v9, 4, v62
	v_cmp_ne_u32_e32 vcc, 0, v9
	v_mov_b64_e32 v[48:49], 0
                                        ; implicit-def: $vgpr40
                                        ; implicit-def: $vgpr36_vgpr37
                                        ; implicit-def: $vgpr58_vgpr59
	s_and_saveexec_b64 s[2:3], vcc
	s_cbranch_execz .LBB11_32
; %bb.29:
	v_and_b32_e32 v9, 0x800, v62
	v_cmp_eq_u32_e32 vcc, 0, v9
	s_and_saveexec_b64 s[4:5], vcc
	s_cbranch_execz .LBB11_31
; %bb.30:
	s_trap 2
	ds_write_b64 v0, v[22:23]
.LBB11_31:
	s_or_b64 exec, exec, s[4:5]
	flat_load_dwordx2 v[42:43], v[22:23] offset:48
	v_or_b32_e32 v14, 0x100, v62
	s_waitcnt vmcnt(0) lgkmcnt(0)
	flat_load_dwordx2 v[58:59], v[42:43] sc0 sc1
	flat_load_dword v9, v[22:23] offset:72
	flat_load_dwordx2 v[48:49], v[22:23] offset:96
	flat_load_dwordx2 v[36:37], v[22:23] offset:16
	s_waitcnt vmcnt(0) lgkmcnt(0)
	v_ashrrev_i32_e32 v40, 1, v9
	v_cmp_eq_u64_e32 vcc, 0, v[48:49]
	s_nop 1
	v_cndmask_b32_e32 v62, v14, v62, vcc
.LBB11_32:
	s_or_b64 exec, exec, s[2:3]
.LBB11_33:
	s_or_b64 exec, exec, s[0:1]
	v_and_b32_e32 v9, 24, v62
	v_cmp_ne_u32_e32 vcc, 0, v9
                                        ; implicit-def: $vgpr38_vgpr39
	s_and_saveexec_b64 s[0:1], vcc
	s_cbranch_execz .LBB11_41
; %bb.34:
	s_trap 2
	ds_read_b64 v[14:15], v0
	s_waitcnt lgkmcnt(0)
	v_ashrrev_i32_e32 v9, 31, v8
	v_and_b32_e32 v5, 0xffff, v5
	s_movk_i32 s2, 0xa8
                                        ; implicit-def: $vgpr38_vgpr39
	v_lshl_add_u64 v[8:9], v[8:9], 3, v[14:15]
	flat_load_dwordx2 v[8:9], v[8:9]
	s_waitcnt vmcnt(0) lgkmcnt(0)
	v_mad_u64_u32 v[22:23], s[2:3], v5, s2, v[8:9]
	flat_load_dwordx4 v[48:51], v[22:23] offset:96
	v_or_b32_e32 v5, 0x100, v62
	s_waitcnt vmcnt(0) lgkmcnt(0)
	v_cmp_eq_u64_e32 vcc, 0, v[48:49]
	s_nop 1
	v_cndmask_b32_e32 v62, v5, v62, vcc
	v_and_b32_e32 v5, 16, v62
	v_cmp_ne_u32_e32 vcc, 0, v5
	s_and_saveexec_b64 s[2:3], vcc
	s_cbranch_execz .LBB11_36
; %bb.35:
	flat_load_dwordx2 v[38:39], v[22:23] offset:120
	flat_load_dwordx2 v[42:43], v[22:23] offset:48
	;; [unrolled: 1-line block ×3, first 2 shown]
.LBB11_36:
	s_or_b64 exec, exec, s[2:3]
	v_lshl_add_u64 v[44:45], v[50:51], 0, 3
	v_and_b32_e32 v5, 8, v62
	v_and_b32_e32 v44, -4, v44
	v_cmp_ne_u32_e32 vcc, 0, v5
	s_and_saveexec_b64 s[2:3], vcc
	s_cbranch_execz .LBB11_40
; %bb.37:
	v_and_b32_e32 v5, 0x800, v62
	v_cmp_eq_u32_e32 vcc, 0, v5
	s_and_saveexec_b64 s[4:5], vcc
	s_cbranch_execz .LBB11_39
; %bb.38:
	s_trap 2
	ds_write_b64 v0, v[22:23]
.LBB11_39:
	s_or_b64 exec, exec, s[4:5]
	s_waitcnt vmcnt(0) lgkmcnt(0)
	flat_load_dwordx2 v[42:43], v[22:23] offset:56
	s_waitcnt vmcnt(0) lgkmcnt(0)
	flat_load_dwordx2 v[58:59], v[42:43] sc0 sc1
	flat_load_dword v5, v[22:23] offset:72
	flat_load_dwordx2 v[36:37], v[22:23] offset:16
	s_waitcnt vmcnt(0) lgkmcnt(0)
	v_ashrrev_i32_e32 v40, 1, v5
.LBB11_40:
	s_or_b64 exec, exec, s[2:3]
.LBB11_41:
	s_or_b64 exec, exec, s[0:1]
	v_cmp_eq_u32_e64 s[0:1], 0, v60
	s_and_saveexec_b64 s[2:3], s[0:1]
	s_cbranch_execz .LBB11_43
; %bb.42:
	s_waitcnt lgkmcnt(0)
	flat_load_dwordx2 v[8:9], v[2:3] offset:32
	ds_write2_b64 v0, v[12:13], v[10:11] offset1:1
	s_trap 2
	s_waitcnt vmcnt(0) lgkmcnt(0)
	ds_write_b64 v0, v[8:9]
	ds_write_b64 v0, v[6:7]
.LBB11_43:
	s_or_b64 exec, exec, s[2:3]
	s_mov_b64 s[38:39], 0
	v_cmp_lt_i64_e32 vcc, 0, v[18:19]
	v_mov_b64_e32 v[26:27], 0
	s_and_saveexec_b64 s[36:37], vcc
	s_cbranch_execz .LBB11_1183
; %bb.44:
	flat_load_dword v5, v[2:3] offset:4
	s_ashr_i32 s17, s16, 31
	v_cmp_ge_i32_e64 s[2:3], v60, v1
	v_cmp_eq_u32_e64 s[4:5], 64, v1
	v_cmp_ne_u32_e64 s[6:7], 64, v1
	v_cmp_ne_u32_sdwa s[40:41], v16, v1 src0_sel:WORD_0 src1_sel:DWORD
	v_accvgpr_write_b32 a0, v1
	v_lshrrev_b32_e32 v52, 6, v1
	v_ashrrev_i32_e32 v1, 31, v60
	s_lshr_b32 s17, s17, 29
	v_mov_b32_e32 v6, 0xfffff000
	v_lshrrev_b32_e32 v1, 26, v1
	s_add_i32 s22, s16, s17
	s_ashr_i32 s73, s72, 31
	v_mov_b32_e32 v7, 0xfffff800
	v_lshl_add_u32 v6, v52, 12, v6
	v_add_u32_e32 v1, v60, v1
	s_ashr_i32 s23, s22, 4
	v_and_b32_e32 v2, 0x1fffff00, v4
	s_mov_b64 s[18:19], 0x1000
	s_waitcnt lgkmcnt(0)
	v_lshl_add_u32 v8, v52, 11, v7
	v_ashrrev_i32_e32 v7, 31, v6
	v_ashrrev_i32_e32 v50, 6, v1
	v_and_b32_e32 v1, 0xffffffc0, v1
	s_add_u32 s46, s72, -1
	v_accvgpr_write_b32 a1, v31
	v_and_b32_e32 v4, 63, v31
	v_mad_i64_i32 v[34:35], s[14:15], v2, s72, 0
	v_lshl_add_u64 v[30:31], v[6:7], 0, s[18:19]
	v_sub_u32_e32 v6, v60, v1
	v_lshlrev_b32_e32 v1, 12, v50
	s_addc_u32 s47, s73, -1
	s_add_i32 s75, s72, s72
	s_not_b32 s26, s72
	v_accvgpr_write_b32 a2, v16
	s_mov_b64 s[20:21], 0x800
	v_cmp_eq_u32_e64 s[14:15], 0, v4
	v_ashrrev_i32_e32 v9, 31, v8
	v_lshlrev_b32_e32 v4, 11, v50
	v_lshl_add_u32 v16, v6, 4, v1
	s_cmp_gt_i32 s72, 0
	v_lshl_add_u64 v[20:21], v[8:9], 0, s[20:21]
	v_cmp_lt_i32_e64 s[18:19], v6, v0
	v_cmp_le_i32_e64 s[20:21], v6, v0
	v_sub_u32_e32 v0, v16, v4
	s_cselect_b32 s26, s26, -1
	s_ashr_i32 s22, s22, 31
	v_ashrrev_i32_e32 v1, 31, v0
	s_lshr_b32 s22, s22, 29
	v_accvgpr_write_b32 a39, v1
	s_add_i32 s76, s26, s75
	s_add_i32 s23, s23, s22
	v_accvgpr_write_b32 a38, v0
	s_ashr_i32 s77, s76, 31
	s_ashr_i32 s78, s23, 3
	v_lshlrev_b32_e32 v41, 7, v52
	s_cmp_gt_i32 s72, 2
	s_mov_b64 s[24:25], 0xc00
	v_lshlrev_b32_e32 v61, 10, v52
	v_add_u32_e32 v32, 0xffffff80, v41
	v_ashrrev_i32_e32 v17, 31, v16
	s_cselect_b64 s[48:49], -1, 0
	s_add_i32 s26, s72, 1
	v_accvgpr_write_b32 a10, v22
	s_mov_b64 s[44:45], 0x80
	v_add_u32_e32 v10, 0xfffffc00, v61
	v_ashrrev_i32_e32 v33, 31, v32
	v_accvgpr_write_b32 a11, v23
	v_ashrrev_i32_e32 v11, 31, v10
	v_lshl_add_u64 v[22:23], v[32:33], 0, s[44:45]
	v_mov_b32_e32 v3, 0
	v_ashrrev_i32_e32 v51, 31, v40
	s_mov_b64 s[42:43], 0x400
	v_accvgpr_write_b32 a27, v11
	v_accvgpr_write_b32 a4, v46
	v_accvgpr_write_b32 a14, v48
	s_waitcnt vmcnt(0)
	v_accvgpr_write_b32 a18, v36
	v_accvgpr_write_b32 a20, v38
	;; [unrolled: 1-line block ×3, first 2 shown]
	v_and_b32_e32 v0, 1, v5
	v_cmp_eq_u32_e64 s[22:23], 1, v0
	s_xor_b64 s[50:51], s[22:23], -1
	s_cmp_le_i32 s72, s26
	v_lshl_add_u64 v[0:1], v[16:17], 0, s[24:25]
	s_cselect_b32 s27, s72, 0
	v_accvgpr_write_b32 a41, v1
	s_sub_i32 s80, s26, s27
	v_accvgpr_write_b32 a40, v0
	v_mov_b64_e32 v[0:1], 0
	v_accvgpr_write_b32 a28, v32
	v_accvgpr_write_b32 a33, v31
	v_accvgpr_write_b32 a37, v23
	s_movk_i32 s74, 0xff80
	v_cmp_eq_u64_e64 s[10:11], 0, v[38:39]
	v_cmp_ne_u64_e64 s[12:13], 0, v[38:39]
	v_mov_b32_e32 v53, v3
	v_accvgpr_write_b32 a26, v10
	v_lshl_add_u64 v[28:29], v[10:11], 0, s[42:43]
	v_cmp_gt_i32_e64 s[16:17], 1, v6
	v_accvgpr_write_b32 a31, v6
	s_add_i32 s79, s72, -2
	s_ashr_i32 s81, s80, 31
	s_movk_i32 s82, 0x270e
	v_mov_b32_e32 v25, 1
	s_movk_i32 s83, 0x108
	s_mov_b64 s[52:53], 0x380
	s_movk_i32 s84, 0xfc80
	s_movk_i32 s85, 0xfd00
	;; [unrolled: 1-line block ×3, first 2 shown]
	v_mov_b64_e32 v[54:55], v[2:3]
	v_mov_b64_e32 v[26:27], v[0:1]
	v_accvgpr_write_b32 a3, v60
	v_accvgpr_write_b32 a5, v47
	;; [unrolled: 1-line block ×14, first 2 shown]
	s_trap 2
	scratch_store_dwordx2 off, v[20:21], s33 offset:152 ; 8-byte Folded Spill
	scratch_store_dwordx2 off, v[16:17], s33 offset:160 ; 8-byte Folded Spill
	s_branch .LBB11_47
.LBB11_45:                              ;   in Loop: Header=BB11_47 Depth=1
	s_or_b64 exec, exec, s[24:25]
.LBB11_46:                              ;   in Loop: Header=BB11_47 Depth=1
	s_or_b64 exec, exec, s[28:29]
	v_lshl_add_u64 v[0:1], v[18:19], 0, v[34:35]
	v_accvgpr_read_b32 v19, a7
	v_accvgpr_read_b32 v18, a6
	v_cmp_ge_i64_e32 vcc, v[0:1], v[18:19]
	s_or_b64 s[38:39], vcc, s[38:39]
	s_andn2_b64 exec, exec, s[38:39]
	s_cbranch_execz .LBB11_1182
.LBB11_47:                              ; =>This Loop Header: Depth=1
                                        ;     Child Loop BB11_62 Depth 2
                                        ;     Child Loop BB11_86 Depth 2
	;; [unrolled: 1-line block ×13, first 2 shown]
                                        ;       Child Loop BB11_275 Depth 3
                                        ;       Child Loop BB11_301 Depth 3
	;; [unrolled: 1-line block ×12, first 2 shown]
                                        ;     Child Loop BB11_491 Depth 2
                                        ;     Child Loop BB11_524 Depth 2
	;; [unrolled: 1-line block ×9, first 2 shown]
                                        ;       Child Loop BB11_625 Depth 3
                                        ;     Child Loop BB11_634 Depth 2
                                        ;     Child Loop BB11_639 Depth 2
                                        ;       Child Loop BB11_640 Depth 3
                                        ;     Child Loop BB11_679 Depth 2
                                        ;     Child Loop BB11_710 Depth 2
	;; [unrolled: 1-line block ×6, first 2 shown]
                                        ;       Child Loop BB11_741 Depth 3
                                        ;       Child Loop BB11_774 Depth 3
	;; [unrolled: 1-line block ×9, first 2 shown]
                                        ;         Child Loop BB11_875 Depth 4
                                        ;       Child Loop BB11_884 Depth 3
                                        ;       Child Loop BB11_889 Depth 3
                                        ;         Child Loop BB11_890 Depth 4
                                        ;       Child Loop BB11_929 Depth 3
                                        ;       Child Loop BB11_960 Depth 3
	;; [unrolled: 1-line block ×5, first 2 shown]
                                        ;     Child Loop BB11_987 Depth 2
                                        ;     Child Loop BB11_1011 Depth 2
	;; [unrolled: 1-line block ×12, first 2 shown]
	v_sub_co_u32_e32 v12, vcc, v18, v0
	v_accvgpr_write_b32 a6, v18
	v_accvgpr_write_b32 a7, v19
	v_subb_co_u32_e32 v13, vcc, v19, v1, vcc
	v_cmp_lt_i64_e32 vcc, v[12:13], v[34:35]
	s_mov_b64 s[26:27], exec
	s_and_b64 s[24:25], s[26:27], vcc
	v_mov_b64_e32 v[18:19], v[0:1]
	s_mov_b64 exec, s[24:25]
	s_cbranch_execz .LBB11_53
; %bb.48:                               ;   in Loop: Header=BB11_47 Depth=1
	v_lshl_add_u64 v[4:5], s[46:47], 0, v[12:13]
	v_or_b32_e32 v1, s73, v5
	v_mov_b32_e32 v0, v3
	v_cmp_ne_u64_e32 vcc, 0, v[0:1]
                                        ; implicit-def: $vgpr6_vgpr7
	s_and_saveexec_b64 s[24:25], vcc
	s_xor_b64 s[28:29], exec, s[24:25]
	s_cbranch_execz .LBB11_50
; %bb.49:                               ;   in Loop: Header=BB11_47 Depth=1
	s_add_u32 s24, s72, s73
	s_mov_b32 s30, s73
	s_mov_b32 s31, s73
	s_addc_u32 s25, s73, s73
	s_xor_b64 s[54:55], s[24:25], s[30:31]
	v_cvt_f32_u32_e32 v0, s54
	v_cvt_f32_u32_e32 v1, s55
	s_sub_u32 s24, 0, s54
	s_subb_u32 s25, 0, s55
	v_fmac_f32_e32 v0, 0x4f800000, v1
	v_rcp_f32_e32 v0, v0
	s_nop 0
	v_mul_f32_e32 v0, 0x5f7ffffc, v0
	v_mul_f32_e32 v1, 0x2f800000, v0
	v_trunc_f32_e32 v1, v1
	v_fmac_f32_e32 v0, 0xcf800000, v1
	v_cvt_u32_f32_e32 v6, v1
	v_cvt_u32_f32_e32 v7, v0
	v_mul_lo_u32 v0, s24, v6
	v_mul_hi_u32 v2, s24, v7
	v_mul_lo_u32 v1, s25, v7
	v_add_u32_e32 v0, v2, v0
	v_mul_lo_u32 v8, s24, v7
	v_add_u32_e32 v9, v0, v1
	v_mul_hi_u32 v1, v7, v9
	v_mul_lo_u32 v0, v7, v9
	v_mul_hi_u32 v2, v7, v8
	v_lshl_add_u64 v[0:1], v[2:3], 0, v[0:1]
	v_mul_hi_u32 v2, v6, v8
	v_mul_lo_u32 v8, v6, v8
	v_add_co_u32_e32 v0, vcc, v0, v8
	v_mul_hi_u32 v10, v6, v9
	s_nop 0
	v_addc_co_u32_e32 v2, vcc, v1, v2, vcc
	v_mul_lo_u32 v0, v6, v9
	s_nop 0
	v_addc_co_u32_e32 v1, vcc, 0, v10, vcc
	v_lshl_add_u64 v[0:1], v[2:3], 0, v[0:1]
	v_add_co_u32_e32 v7, vcc, v7, v0
	v_mul_lo_u32 v2, s24, v7
	s_nop 0
	v_addc_co_u32_e32 v6, vcc, v6, v1, vcc
	v_mul_lo_u32 v0, s24, v6
	v_mul_hi_u32 v1, s24, v7
	v_add_u32_e32 v0, v1, v0
	v_mul_lo_u32 v1, s25, v7
	v_add_u32_e32 v8, v0, v1
	v_mul_hi_u32 v10, v6, v2
	v_mul_lo_u32 v11, v6, v2
	v_mul_hi_u32 v1, v7, v8
	v_mul_lo_u32 v0, v7, v8
	v_mul_hi_u32 v2, v7, v2
	v_lshl_add_u64 v[0:1], v[2:3], 0, v[0:1]
	v_add_co_u32_e32 v0, vcc, v0, v11
	v_mul_hi_u32 v9, v6, v8
	s_nop 0
	v_addc_co_u32_e32 v2, vcc, v1, v10, vcc
	v_mul_lo_u32 v0, v6, v8
	s_nop 0
	v_addc_co_u32_e32 v1, vcc, 0, v9, vcc
	v_lshl_add_u64 v[0:1], v[2:3], 0, v[0:1]
	v_add_co_u32_e32 v8, vcc, v7, v0
	s_nop 1
	v_addc_co_u32_e32 v9, vcc, v6, v1, vcc
	v_ashrrev_i32_e32 v6, 31, v5
	v_mov_b32_e32 v7, v6
	v_lshl_add_u64 v[0:1], v[4:5], 0, v[6:7]
	v_xor_b32_e32 v10, v0, v6
	v_xor_b32_e32 v7, v1, v6
	v_mad_u64_u32 v[0:1], s[24:25], v10, v9, 0
	v_mul_hi_u32 v2, v10, v8
	v_lshl_add_u64 v[0:1], v[2:3], 0, v[0:1]
	v_mad_u64_u32 v[4:5], s[24:25], v7, v9, 0
	v_mad_u64_u32 v[8:9], s[24:25], v7, v8, 0
	v_add_co_u32_e32 v0, vcc, v0, v8
	s_nop 1
	v_addc_co_u32_e32 v2, vcc, v1, v9, vcc
	s_nop 1
	v_addc_co_u32_e32 v5, vcc, 0, v5, vcc
	v_lshl_add_u64 v[0:1], v[2:3], 0, v[4:5]
	v_mul_lo_u32 v2, s55, v0
	v_mul_lo_u32 v8, s54, v1
	v_mad_u64_u32 v[4:5], s[24:25], s54, v0, 0
	v_add3_u32 v2, v5, v8, v2
	v_sub_u32_e32 v5, v7, v2
	v_mov_b32_e32 v8, s55
	v_sub_co_u32_e32 v10, vcc, v10, v4
	s_nop 1
	v_subb_co_u32_e64 v4, s[24:25], v5, v8, vcc
	v_subrev_co_u32_e64 v5, s[24:25], s54, v10
	v_subb_co_u32_e32 v2, vcc, v7, v2, vcc
	s_nop 0
	v_subbrev_co_u32_e64 v4, s[24:25], 0, v4, s[24:25]
	v_cmp_le_u32_e64 s[24:25], s55, v4
	v_cmp_le_u32_e32 vcc, s55, v2
	s_nop 0
	v_cndmask_b32_e64 v8, 0, -1, s[24:25]
	v_cmp_le_u32_e64 s[24:25], s54, v5
	v_cndmask_b32_e64 v7, 0, -1, vcc
	v_cmp_le_u32_e32 vcc, s54, v10
	v_cndmask_b32_e64 v5, 0, -1, s[24:25]
	v_cmp_eq_u32_e64 s[24:25], s55, v4
	s_nop 1
	v_cndmask_b32_e64 v11, v8, v5, s[24:25]
	v_lshl_add_u64 v[4:5], v[0:1], 0, 2
	v_lshl_add_u64 v[8:9], v[0:1], 0, 1
	v_cmp_ne_u32_e64 s[24:25], 0, v11
	s_nop 1
	v_cndmask_b32_e64 v5, v9, v5, s[24:25]
	v_cndmask_b32_e64 v9, 0, -1, vcc
	v_cmp_eq_u32_e32 vcc, s55, v2
	s_nop 1
	v_cndmask_b32_e32 v2, v7, v9, vcc
	v_cmp_ne_u32_e32 vcc, 0, v2
	v_cndmask_b32_e64 v2, v8, v4, s[24:25]
	v_xor_b32_e32 v4, s30, v6
	v_cndmask_b32_e32 v0, v0, v2, vcc
	v_cndmask_b32_e32 v1, v1, v5, vcc
	v_xor_b32_e32 v2, s31, v6
	v_xor_b32_e32 v0, v0, v4
	;; [unrolled: 1-line block ×3, first 2 shown]
	v_sub_co_u32_e32 v6, vcc, v0, v4
                                        ; implicit-def: $vgpr4_vgpr5
	s_nop 1
	v_subb_co_u32_e32 v7, vcc, v1, v2, vcc
.LBB11_50:                              ;   in Loop: Header=BB11_47 Depth=1
	s_andn2_saveexec_b64 s[24:25], s[28:29]
	s_cbranch_execz .LBB11_52
; %bb.51:                               ;   in Loop: Header=BB11_47 Depth=1
	v_cvt_f32_u32_e32 v0, s72
	s_sub_i32 s28, 0, s72
	v_rcp_iflag_f32_e32 v0, v0
	s_nop 0
	v_mul_f32_e32 v0, 0x4f7ffffe, v0
	v_cvt_u32_f32_e32 v0, v0
	v_mul_lo_u32 v1, s28, v0
	v_mul_hi_u32 v1, v0, v1
	v_add_u32_e32 v0, v0, v1
	v_mul_hi_u32 v0, v4, v0
	v_mul_lo_u32 v1, v0, s72
	v_sub_u32_e32 v1, v4, v1
	v_add_u32_e32 v2, 1, v0
	v_subrev_u32_e32 v4, s72, v1
	v_cmp_le_u32_e32 vcc, s72, v1
	s_nop 1
	v_cndmask_b32_e32 v1, v1, v4, vcc
	v_cndmask_b32_e32 v0, v0, v2, vcc
	v_add_u32_e32 v2, 1, v0
	v_cmp_le_u32_e32 vcc, s72, v1
	s_nop 1
	v_cndmask_b32_e32 v2, v0, v2, vcc
	v_mov_b64_e32 v[6:7], v[2:3]
.LBB11_52:                              ;   in Loop: Header=BB11_47 Depth=1
	s_or_b64 exec, exec, s[24:25]
	v_lshl_add_u64 v[54:55], v[6:7], 0, 7
	v_and_b32_e32 v54, -8, v54
.LBB11_53:                              ;   in Loop: Header=BB11_47 Depth=1
	s_or_b64 exec, exec, s[26:27]
	v_mul_lo_u32 v0, v55, s76
	v_mul_lo_u32 v1, v54, s77
	v_mad_u64_u32 v[4:5], s[24:25], v54, s76, 0
	v_add3_u32 v5, v5, v1, v0
	v_lshl_add_u64 v[0:1], v[18:19], 0, v[46:47]
	v_accvgpr_write_b32 a47, v1
	v_accvgpr_write_b32 a46, v0
	v_sub_co_u32_e32 v0, vcc, v12, v4
	s_nop 1
	v_subb_co_u32_e32 v1, vcc, v13, v5, vcc
	v_cmp_lt_i64_e32 vcc, v[54:55], v[0:1]
	s_nop 1
	v_cndmask_b32_e32 v1, v0, v54, vcc
	v_max_i32_e32 v0, 0, v1
	v_add_u32_e32 v2, 15, v0
	v_ashrrev_i32_e32 v6, 31, v2
	v_lshrrev_b32_e32 v6, 28, v6
	v_add_u32_e32 v2, v2, v6
	v_and_b32_e32 v2, -16, v2
	v_cmp_gt_i32_e32 vcc, 1, v1
	v_max_i32_e32 v6, s78, v2
	s_or_b64 s[26:27], s[2:3], vcc
	v_mov_b32_e32 v1, 0
	s_xor_b64 s[24:25], s[26:27], -1
	s_mov_b64 s[28:29], exec
	v_accvgpr_write_b32 a43, v19
	v_accvgpr_write_b32 a45, v13
	s_and_b64 s[24:25], s[28:29], s[24:25]
	v_accvgpr_write_b32 a42, v18
	v_accvgpr_write_b32 a44, v12
	s_mov_b64 exec, s[24:25]
	s_cbranch_execz .LBB11_192
; %bb.54:                               ;   in Loop: Header=BB11_47 Depth=1
	s_and_saveexec_b64 s[24:25], s[0:1]
	s_cbranch_execz .LBB11_56
; %bb.55:                               ;   in Loop: Header=BB11_47 Depth=1
	s_trap 2
	ds_read_b64 v[8:9], v0
	v_accvgpr_read_b32 v10, a46
	v_accvgpr_read_b32 v11, a47
	v_mov_b32_e32 v2, v3
	s_waitcnt lgkmcnt(0)
	v_lshl_add_u64 v[8:9], v[10:11], 1, v[8:9]
	v_lshl_add_u64 v[4:5], v[4:5], 1, v[8:9]
	ds_write_b64 v0, v[4:5]
	ds_write_b64 v0, v[2:3]
.LBB11_56:                              ;   in Loop: Header=BB11_47 Depth=1
	s_or_b64 exec, exec, s[24:25]
	v_and_b32_e32 v1, 8, v62
	v_cmp_ne_u32_e32 vcc, 0, v1
	s_mov_b64 s[30:31], -1
	s_and_saveexec_b64 s[24:25], vcc
	s_cbranch_execz .LBB11_68
; %bb.57:                               ;   in Loop: Header=BB11_47 Depth=1
	v_lshl_add_u64 v[8:9], v[58:59], 0, 8
	v_lshl_add_u64 v[4:5], v[44:45], 0, 4
	v_cmp_lt_u64_e32 vcc, v[8:9], v[4:5]
	v_mov_b32_e32 v1, 1
	s_and_saveexec_b64 s[30:31], vcc
	s_cbranch_execz .LBB11_67
; %bb.58:                               ;   in Loop: Header=BB11_47 Depth=1
	s_mov_b64 s[54:55], 0
	v_mov_b32_e32 v1, 0
                                        ; implicit-def: $sgpr56_sgpr57
	s_branch .LBB11_62
.LBB11_59:                              ;   in Loop: Header=BB11_62 Depth=2
	s_or_b64 exec, exec, s[64:65]
	v_mov_b32_e32 v2, 0
	s_orn2_b64 s[62:63], s[62:63], exec
.LBB11_60:                              ;   in Loop: Header=BB11_62 Depth=2
	s_or_b64 exec, exec, s[60:61]
	s_andn2_b64 vcc, s[56:57], exec
	s_and_b64 s[56:57], s[62:63], exec
	s_or_b64 s[56:57], vcc, s[56:57]
	v_mov_b32_e32 v1, v2
.LBB11_61:                              ;   in Loop: Header=BB11_62 Depth=2
	s_or_b64 exec, exec, s[58:59]
	s_waitcnt vmcnt(0) lgkmcnt(0)
	v_lshl_add_u64 v[8:9], v[58:59], 0, 8
	v_cmp_ge_u64_e32 vcc, v[8:9], v[4:5]
	s_xor_b64 s[58:59], s[56:57], -1
	s_or_b64 vcc, s[58:59], vcc
	s_and_b64 vcc, exec, vcc
	s_or_b64 s[54:55], vcc, s[54:55]
	s_andn2_b64 exec, exec, s[54:55]
	s_cbranch_execz .LBB11_66
.LBB11_62:                              ;   Parent Loop BB11_47 Depth=1
                                        ; =>  This Inner Loop Header: Depth=2
	s_sleep 1
	flat_load_dwordx2 v[58:59], v[42:43] sc0 sc1
	v_and_b32_e32 v2, 64, v62
	v_cmp_eq_u32_e32 vcc, 0, v2
	s_andn2_b64 s[56:57], s[56:57], exec
	s_and_saveexec_b64 s[58:59], vcc
	s_cbranch_execz .LBB11_61
; %bb.63:                               ;   in Loop: Header=BB11_62 Depth=2
	v_add_u32_e32 v2, 1, v1
	v_cmp_lt_i32_e32 vcc, s82, v1
	s_mov_b64 s[62:63], -1
	s_and_saveexec_b64 s[60:61], vcc
	s_cbranch_execz .LBB11_60
; %bb.64:                               ;   in Loop: Header=BB11_62 Depth=2
	s_trap 2
	ds_read_b64 v[8:9], v0
	s_waitcnt vmcnt(0) lgkmcnt(0)
	flat_load_dword v1, v[8:9] sc0 sc1
	s_waitcnt vmcnt(0) lgkmcnt(0)
	buffer_inv sc0 sc1
	v_cmp_ne_u32_e32 vcc, 0, v1
	s_and_saveexec_b64 s[64:65], vcc
	s_cbranch_execz .LBB11_59
; %bb.65:                               ;   in Loop: Header=BB11_62 Depth=2
	v_or_b32_e32 v62, 64, v62
	s_xor_b64 s[62:63], exec, -1
	ds_write_b32 v0, v1
	s_trap 2
	s_branch .LBB11_59
.LBB11_66:                              ;   in Loop: Header=BB11_47 Depth=1
	s_or_b64 exec, exec, s[54:55]
	v_and_b32_e32 v1, 8, v62
.LBB11_67:                              ;   in Loop: Header=BB11_47 Depth=1
	s_or_b64 exec, exec, s[30:31]
	v_cmp_eq_u32_e32 vcc, 0, v1
	s_orn2_b64 s[30:31], vcc, exec
	;;#ASMSTART
	s_wakeup
	;;#ASMEND
.LBB11_68:                              ;   in Loop: Header=BB11_47 Depth=1
	s_or_b64 exec, exec, s[24:25]
	s_xor_b64 s[24:25], s[30:31], -1
	v_min_i32_e32 v6, v6, v0
	s_and_saveexec_b64 s[30:31], s[24:25]
	s_cbranch_execz .LBB11_78
; %bb.69:                               ;   in Loop: Header=BB11_47 Depth=1
	v_and_b32_e32 v1, 0x100, v62
	v_cmp_ne_u32_e32 vcc, 0, v1
	v_and_b32_e32 v1, 7, v44
	s_mov_b64 s[24:25], -1
                                        ; implicit-def: $vgpr4_vgpr5
	s_and_saveexec_b64 s[54:55], vcc
	s_cbranch_execz .LBB11_73
; %bb.70:                               ;   in Loop: Header=BB11_47 Depth=1
	v_mad_u64_u32 v[8:9], s[24:25], v1, 24, v[48:49]
	flat_load_dword v2, v[8:9]
	v_ashrrev_i32_e32 v7, 31, v6
	v_lshlrev_b64 v[4:5], 1, v[6:7]
	flat_store_dwordx2 v[8:9], v[4:5] offset:8
                                        ; implicit-def: $vgpr4_vgpr5
	s_waitcnt vmcnt(0) lgkmcnt(0)
	v_cmp_ne_u32_e32 vcc, 1, v2
	v_cmp_eq_u32_e64 s[24:25], 1, v2
	s_and_saveexec_b64 s[56:57], s[24:25]
	s_cbranch_execz .LBB11_72
; %bb.71:                               ;   in Loop: Header=BB11_47 Depth=1
	flat_load_dword v4, v[8:9] offset:4 sc0 sc1
	s_waitcnt vmcnt(0) lgkmcnt(0)
	v_ashrrev_i32_e32 v5, 31, v4
	v_lshrrev_b64 v[4:5], 1, v[4:5]
.LBB11_72:                              ;   in Loop: Header=BB11_47 Depth=1
	s_or_b64 exec, exec, s[56:57]
	s_orn2_b64 s[24:25], vcc, exec
.LBB11_73:                              ;   in Loop: Header=BB11_47 Depth=1
	s_or_b64 exec, exec, s[54:55]
	s_and_saveexec_b64 vcc, s[24:25]
; %bb.74:                               ;   in Loop: Header=BB11_47 Depth=1
	v_mad_i64_i32 v[4:5], s[24:25], v1, v40, 0
; %bb.75:                               ;   in Loop: Header=BB11_47 Depth=1
	s_or_b64 exec, exec, vcc
	v_and_b32_e32 v1, 0x2000, v62
	v_lshl_add_u64 v[4:5], v[4:5], 1, v[36:37]
	v_cmp_ne_u32_e32 vcc, 0, v1
	ds_write_b64 v0, v[4:5] offset:784
	s_and_saveexec_b64 s[24:25], vcc
	s_cbranch_execz .LBB11_77
; %bb.76:                               ;   in Loop: Header=BB11_47 Depth=1
	ds_read_b64 v[4:5], v0 offset:584
	s_waitcnt lgkmcnt(0)
	v_lshl_add_u64 v[4:5], v[4:5], 0, 1
	ds_write_b64 v0, v[4:5] offset:584
.LBB11_77:                              ;   in Loop: Header=BB11_47 Depth=1
	s_or_b64 exec, exec, s[24:25]
	v_lshl_add_u64 v[44:45], v[44:45], 0, 4
.LBB11_78:                              ;   in Loop: Header=BB11_47 Depth=1
	s_or_b64 exec, exec, s[30:31]
	s_and_saveexec_b64 s[24:25], s[6:7]
	s_cbranch_execz .LBB11_97
; %bb.79:                               ;   in Loop: Header=BB11_47 Depth=1
	s_and_saveexec_b64 vcc, s[40:41]
	s_xor_b64 s[30:31], exec, vcc
	s_cbranch_execz .LBB11_94
; %bb.80:                               ;   in Loop: Header=BB11_47 Depth=1
	s_and_saveexec_b64 s[54:55], s[14:15]
	s_cbranch_execz .LBB11_93
; %bb.81:                               ;   in Loop: Header=BB11_47 Depth=1
	s_mov_b64 s[58:59], exec
	v_mbcnt_lo_u32_b32 v1, s58, 0
	v_mbcnt_hi_u32_b32 v1, s59, v1
	v_cmp_eq_u32_e32 vcc, 0, v1
	s_waitcnt lgkmcnt(0)
	s_and_saveexec_b64 s[56:57], vcc
	s_cbranch_execz .LBB11_83
; %bb.82:                               ;   in Loop: Header=BB11_47 Depth=1
	s_bcnt1_i32_b64 vcc_lo, s[58:59]
	v_mov_b32_e32 v2, vcc_lo
	ds_add_u64 v0, v[2:3]
	s_trap 2
.LBB11_83:                              ;   in Loop: Header=BB11_47 Depth=1
	s_or_b64 exec, exec, s[56:57]
	s_trap 2
	ds_read_b64 v[4:5], v0
	v_lshl_add_u64 v[26:27], v[26:27], 0, v[52:53]
	s_waitcnt lgkmcnt(0)
	v_cmp_lt_u64_e32 vcc, v[4:5], v[26:27]
	s_and_saveexec_b64 s[56:57], vcc
	s_cbranch_execz .LBB11_92
; %bb.84:                               ;   in Loop: Header=BB11_47 Depth=1
	s_mov_b32 s68, 0
	s_mov_b64 s[58:59], 0
                                        ; implicit-def: $sgpr60_sgpr61
                                        ; implicit-def: $sgpr62_sgpr63
	s_branch .LBB11_86
.LBB11_85:                              ;   in Loop: Header=BB11_86 Depth=2
	s_or_b64 exec, exec, s[66:67]
	s_and_b64 vcc, exec, vcc
	s_or_b64 s[58:59], vcc, s[58:59]
	s_andn2_b64 vcc, s[60:61], exec
	s_and_b64 s[60:61], s[62:63], exec
	s_or_b64 s[60:61], vcc, s[60:61]
	s_andn2_b64 exec, exec, s[58:59]
	s_cbranch_execz .LBB11_90
.LBB11_86:                              ;   Parent Loop BB11_47 Depth=1
                                        ; =>  This Inner Loop Header: Depth=2
	s_add_i32 s68, s68, 1
	s_cmpk_lg_i32 s68, 0x2710
	s_cselect_b64 s[64:65], -1, 0
	s_and_b64 vcc, exec, s[64:65]
                                        ; implicit-def: $sgpr66_sgpr67
	s_cbranch_vccnz .LBB11_88
; %bb.87:                               ;   in Loop: Header=BB11_86 Depth=2
	s_trap 2
	ds_read_b64 v[4:5], v0
	s_andn2_b64 s[64:65], s[64:65], exec
	s_mov_b32 s68, 0
	s_mov_b64 s[66:67], -1
	s_waitcnt vmcnt(0) lgkmcnt(0)
	flat_load_dword v1, v[4:5] sc0 sc1
	s_waitcnt vmcnt(0) lgkmcnt(0)
	buffer_inv sc0 sc1
	v_cmp_eq_u32_e32 vcc, 0, v1
	s_and_b64 vcc, vcc, exec
	s_or_b64 s[64:65], s[64:65], vcc
.LBB11_88:                              ;   in Loop: Header=BB11_86 Depth=2
	s_andn2_b64 s[62:63], s[62:63], exec
	s_and_b64 s[66:67], s[66:67], exec
	s_mov_b64 vcc, -1
	s_or_b64 s[62:63], s[62:63], s[66:67]
	s_and_saveexec_b64 s[66:67], s[64:65]
	s_cbranch_execz .LBB11_85
; %bb.89:                               ;   in Loop: Header=BB11_86 Depth=2
	s_sleep 1
	s_trap 2
	ds_read_b64 v[4:5], v0
	s_andn2_b64 s[62:63], s[62:63], exec
	s_waitcnt lgkmcnt(0)
	v_cmp_ge_u64_e32 vcc, v[4:5], v[26:27]
	s_orn2_b64 vcc, vcc, exec
	s_branch .LBB11_85
.LBB11_90:                              ;   in Loop: Header=BB11_47 Depth=1
	s_or_b64 exec, exec, s[58:59]
	s_and_saveexec_b64 vcc, s[60:61]
	s_xor_b64 vcc, exec, vcc
	s_cbranch_execz .LBB11_92
; %bb.91:                               ;   in Loop: Header=BB11_47 Depth=1
	ds_write_b32 v0, v25
	s_trap 2
.LBB11_92:                              ;   in Loop: Header=BB11_47 Depth=1
	s_or_b64 exec, exec, s[56:57]
	;;#ASMSTART
	s_wakeup
	;;#ASMEND
.LBB11_93:                              ;   in Loop: Header=BB11_47 Depth=1
	s_or_b64 exec, exec, s[54:55]
.LBB11_94:                              ;   in Loop: Header=BB11_47 Depth=1
	s_andn2_saveexec_b64 vcc, s[30:31]
	s_cbranch_execz .LBB11_96
; %bb.95:                               ;   in Loop: Header=BB11_47 Depth=1
	s_waitcnt lgkmcnt(0)
	s_barrier
.LBB11_96:                              ;   in Loop: Header=BB11_47 Depth=1
	s_or_b64 exec, exec, vcc
.LBB11_97:                              ;   in Loop: Header=BB11_47 Depth=1
	s_or_b64 exec, exec, s[24:25]
	s_trap 2
	ds_read_b32 v1, v0
	v_and_b32_e32 v2, 0x4000, v62
	v_cmp_ne_u32_e32 vcc, 0, v2
	s_xor_b64 s[24:25], s[4:5], -1
	s_and_b64 vcc, s[24:25], vcc
	s_and_saveexec_b64 s[24:25], vcc
	s_cbranch_execz .LBB11_116
; %bb.98:                               ;   in Loop: Header=BB11_47 Depth=1
	s_and_saveexec_b64 vcc, s[40:41]
	s_xor_b64 s[30:31], exec, vcc
	s_cbranch_execz .LBB11_113
; %bb.99:                               ;   in Loop: Header=BB11_47 Depth=1
	s_and_saveexec_b64 s[54:55], s[14:15]
	s_cbranch_execz .LBB11_112
; %bb.100:                              ;   in Loop: Header=BB11_47 Depth=1
	s_mov_b64 s[58:59], exec
	v_mbcnt_lo_u32_b32 v2, s58, 0
	v_mbcnt_hi_u32_b32 v2, s59, v2
	v_cmp_eq_u32_e32 vcc, 0, v2
	s_waitcnt lgkmcnt(0)
	s_and_saveexec_b64 s[56:57], vcc
	s_cbranch_execz .LBB11_102
; %bb.101:                              ;   in Loop: Header=BB11_47 Depth=1
	s_bcnt1_i32_b64 vcc_lo, s[58:59]
	v_mov_b32_e32 v2, vcc_lo
	ds_add_u64 v0, v[2:3]
	s_trap 2
.LBB11_102:                             ;   in Loop: Header=BB11_47 Depth=1
	s_or_b64 exec, exec, s[56:57]
	s_trap 2
	ds_read_b64 v[4:5], v0
	v_lshl_add_u64 v[26:27], v[26:27], 0, v[52:53]
	s_waitcnt lgkmcnt(0)
	v_cmp_lt_u64_e32 vcc, v[4:5], v[26:27]
	s_and_saveexec_b64 s[56:57], vcc
	s_cbranch_execz .LBB11_111
; %bb.103:                              ;   in Loop: Header=BB11_47 Depth=1
	s_mov_b32 s68, 0
	s_mov_b64 s[58:59], 0
                                        ; implicit-def: $sgpr60_sgpr61
                                        ; implicit-def: $sgpr62_sgpr63
	s_branch .LBB11_105
.LBB11_104:                             ;   in Loop: Header=BB11_105 Depth=2
	s_or_b64 exec, exec, s[66:67]
	s_and_b64 vcc, exec, vcc
	s_or_b64 s[58:59], vcc, s[58:59]
	s_andn2_b64 vcc, s[60:61], exec
	s_and_b64 s[60:61], s[62:63], exec
	s_or_b64 s[60:61], vcc, s[60:61]
	s_andn2_b64 exec, exec, s[58:59]
	s_cbranch_execz .LBB11_109
.LBB11_105:                             ;   Parent Loop BB11_47 Depth=1
                                        ; =>  This Inner Loop Header: Depth=2
	s_add_i32 s68, s68, 1
	s_cmpk_lg_i32 s68, 0x2710
	s_cselect_b64 s[64:65], -1, 0
	s_and_b64 vcc, exec, s[64:65]
                                        ; implicit-def: $sgpr66_sgpr67
	s_cbranch_vccnz .LBB11_107
; %bb.106:                              ;   in Loop: Header=BB11_105 Depth=2
	s_trap 2
	ds_read_b64 v[4:5], v0
	s_andn2_b64 s[64:65], s[64:65], exec
	s_mov_b32 s68, 0
	s_mov_b64 s[66:67], -1
	s_waitcnt vmcnt(0) lgkmcnt(0)
	flat_load_dword v2, v[4:5] sc0 sc1
	s_waitcnt vmcnt(0) lgkmcnt(0)
	buffer_inv sc0 sc1
	v_cmp_eq_u32_e32 vcc, 0, v2
	s_and_b64 vcc, vcc, exec
	s_or_b64 s[64:65], s[64:65], vcc
.LBB11_107:                             ;   in Loop: Header=BB11_105 Depth=2
	s_andn2_b64 s[62:63], s[62:63], exec
	s_and_b64 s[66:67], s[66:67], exec
	s_mov_b64 vcc, -1
	s_or_b64 s[62:63], s[62:63], s[66:67]
	s_and_saveexec_b64 s[66:67], s[64:65]
	s_cbranch_execz .LBB11_104
; %bb.108:                              ;   in Loop: Header=BB11_105 Depth=2
	s_sleep 1
	s_trap 2
	ds_read_b64 v[4:5], v0
	s_andn2_b64 s[62:63], s[62:63], exec
	s_waitcnt lgkmcnt(0)
	v_cmp_ge_u64_e32 vcc, v[4:5], v[26:27]
	s_orn2_b64 vcc, vcc, exec
	s_branch .LBB11_104
.LBB11_109:                             ;   in Loop: Header=BB11_47 Depth=1
	s_or_b64 exec, exec, s[58:59]
	s_and_saveexec_b64 vcc, s[60:61]
	s_xor_b64 vcc, exec, vcc
	s_cbranch_execz .LBB11_111
; %bb.110:                              ;   in Loop: Header=BB11_47 Depth=1
	ds_write_b32 v0, v25
	s_trap 2
.LBB11_111:                             ;   in Loop: Header=BB11_47 Depth=1
	s_or_b64 exec, exec, s[56:57]
	;;#ASMSTART
	s_wakeup
	;;#ASMEND
.LBB11_112:                             ;   in Loop: Header=BB11_47 Depth=1
	s_or_b64 exec, exec, s[54:55]
.LBB11_113:                             ;   in Loop: Header=BB11_47 Depth=1
	s_andn2_saveexec_b64 vcc, s[30:31]
	s_cbranch_execz .LBB11_115
; %bb.114:                              ;   in Loop: Header=BB11_47 Depth=1
	s_waitcnt lgkmcnt(0)
	s_barrier
.LBB11_115:                             ;   in Loop: Header=BB11_47 Depth=1
	s_or_b64 exec, exec, vcc
.LBB11_116:                             ;   in Loop: Header=BB11_47 Depth=1
	s_or_b64 exec, exec, s[24:25]
	s_trap 2
	ds_read_b64 v[4:5], v0
	s_waitcnt lgkmcnt(0)
	v_readfirstlane_b32 s24, v4
	v_readfirstlane_b32 s25, v5
	s_cmp_eq_u64 s[24:25], 0
	s_cselect_b64 s[24:25], -1, 0
	s_or_b64 vcc, s[24:25], s[24:25]
	s_mov_b64 s[24:25], 0
	s_and_b64 vcc, exec, vcc
	s_cbranch_vccnz .LBB11_123
; %bb.117:                              ;   in Loop: Header=BB11_47 Depth=1
	s_mov_b64 s[24:25], -1
	s_and_saveexec_b64 s[30:31], s[16:17]
	s_cbranch_execz .LBB11_119
; %bb.118:                              ;   in Loop: Header=BB11_47 Depth=1
	ds_read_b32 v2, v0 offset:720
	s_waitcnt lgkmcnt(0)
	v_and_b32_e32 v2, 15, v2
	v_cmp_eq_u32_e32 vcc, 0, v2
	s_orn2_b64 s[24:25], vcc, exec
.LBB11_119:                             ;   in Loop: Header=BB11_47 Depth=1
	s_or_b64 exec, exec, s[30:31]
	s_and_saveexec_b64 s[30:31], s[18:19]
	s_cbranch_execz .LBB11_121
; %bb.120:                              ;   in Loop: Header=BB11_47 Depth=1
	ds_read_b32 v2, v0 offset:784
	s_waitcnt lgkmcnt(0)
	v_and_b32_e32 v2, 15, v2
	v_cmp_eq_u32_e32 vcc, 0, v2
	s_and_b64 vcc, s[24:25], vcc
	s_andn2_b64 s[24:25], s[24:25], exec
	s_and_b64 vcc, vcc, exec
	s_or_b64 s[24:25], s[24:25], vcc
.LBB11_121:                             ;   in Loop: Header=BB11_47 Depth=1
	s_or_b64 exec, exec, s[30:31]
	v_cmp_eq_u32_e32 vcc, 0, v1
	s_xor_b64 s[24:25], s[24:25], -1
	v_cndmask_b32_e64 v4, 0, 1, s[24:25]
	v_cndmask_b32_e32 v1, 0, v6, vcc
	v_mov_b32_e32 v7, 0
	v_lshlrev_b32_e32 v2, 1, v1
	s_mov_b64 s[54:55], -1
	;;#ASMSTART
	;;#ASMEND
	s_nop 0
	v_cmp_ne_u32_e32 vcc, 0, v4
	s_cbranch_vccz .LBB11_129
; %bb.122:                              ;   in Loop: Header=BB11_47 Depth=1
	v_mov_b32_e32 v12, v60
	v_mov_b32_e32 v8, v50
	s_and_saveexec_b64 s[24:25], s[54:55]
	s_cbranch_execnz .LBB11_142
	s_branch .LBB11_150
.LBB11_123:                             ;   in Loop: Header=BB11_47 Depth=1
	s_and_saveexec_b64 s[30:31], s[6:7]
	s_cbranch_execnz .LBB11_151
.LBB11_124:                             ;   in Loop: Header=BB11_47 Depth=1
	s_or_b64 exec, exec, s[30:31]
                                        ; implicit-def: $vgpr1
	s_and_saveexec_b64 vcc, s[22:23]
	s_xor_b64 s[30:31], exec, vcc
	s_cbranch_execz .LBB11_169
.LBB11_125:                             ;   in Loop: Header=BB11_47 Depth=1
	v_and_b32_e32 v2, 16, v62
	v_cmp_ne_u32_e32 vcc, 0, v2
	v_and_b32_e32 v1, 16, v62
	s_and_b64 vcc, vcc, s[24:25]
	s_and_saveexec_b64 s[24:25], vcc
	s_cbranch_execz .LBB11_127
; %bb.126:                              ;   in Loop: Header=BB11_47 Depth=1
	v_mov_b32_e32 v1, 1
	buffer_wbl2 sc1
	s_waitcnt vmcnt(0) lgkmcnt(0)
	buffer_inv sc1
.LBB11_127:                             ;   in Loop: Header=BB11_47 Depth=1
	s_or_b64 exec, exec, s[24:25]
	s_andn2_saveexec_b64 s[24:25], s[30:31]
	s_cbranch_execnz .LBB11_170
.LBB11_128:                             ;   in Loop: Header=BB11_47 Depth=1
	s_or_b64 exec, exec, s[24:25]
	v_cmp_ne_u32_e32 vcc, 0, v1
	s_and_saveexec_b64 s[24:25], vcc
	s_cbranch_execnz .LBB11_188
	s_branch .LBB11_191
.LBB11_129:                             ;   in Loop: Header=BB11_47 Depth=1
	v_ashrrev_i32_e32 v4, 31, v2
	v_lshrrev_b32_e32 v4, 20, v4
	v_add_u32_e32 v4, v2, v4
	v_ashrrev_i32_e32 v7, 12, v4
	v_sub_u32_e32 v11, v7, v50
	v_cmp_lt_i32_e32 vcc, 0, v11
	s_and_saveexec_b64 s[24:25], vcc
	s_cbranch_execz .LBB11_133
; %bb.130:                              ;   in Loop: Header=BB11_47 Depth=1
	s_trap 2
	ds_read_b64 v[4:5], v0
	v_accvgpr_write_b32 a12, v26
	v_accvgpr_write_b32 a13, v27
	s_mov_b64 s[30:31], 0
	v_mov_b64_e32 v[56:57], v[30:31]
	s_waitcnt lgkmcnt(0)
	v_mov_b64_e32 v[8:9], v[4:5]
.LBB11_131:                             ;   Parent Loop BB11_47 Depth=1
                                        ; =>  This Inner Loop Header: Depth=2
	s_waitcnt vmcnt(0)
	v_lshl_add_u64 v[24:25], v[16:17], 0, v[8:9]
	global_load_dwordx4 v[12:15], v[24:25], off nt
	global_load_dwordx4 v[16:19], v[24:25], off offset:1024 nt
	global_load_dwordx4 v[20:23], v[24:25], off offset:2048 nt
	s_nop 0
	global_load_dwordx4 v[24:27], v[24:25], off offset:3072 nt
	s_nop 0
	scratch_load_dwordx2 v[30:31], off, s33 offset:160 ; 8-byte Folded Reload
	v_sub_u32_e32 v11, v11, v52
	v_cmp_gt_i32_e32 vcc, 1, v11
	v_lshl_add_u64 v[8:9], v[8:9], 0, v[56:57]
	s_or_b64 s[30:31], vcc, s[30:31]
	s_waitcnt vmcnt(0)
	v_lshl_add_u64 v[30:31], v[30:31], 0, v[4:5]
	global_store_dwordx4 v[30:31], v[12:15], off nt
	global_store_dwordx4 v[30:31], v[16:19], off offset:1024 nt
	scratch_load_dwordx2 v[16:17], off, s33 offset:160 ; 8-byte Folded Reload
	v_lshl_add_u64 v[4:5], v[4:5], 0, v[56:57]
	global_store_dwordx4 v[30:31], v[20:23], off offset:2048 nt
	global_store_dwordx4 v[30:31], v[24:27], off offset:3072 nt
	s_andn2_b64 exec, exec, s[30:31]
	s_cbranch_execnz .LBB11_131
; %bb.132:                              ;   in Loop: Header=BB11_47 Depth=1
	s_or_b64 exec, exec, s[30:31]
	scratch_load_dwordx2 v[20:21], off, s33 offset:152 ; 8-byte Folded Reload
	v_accvgpr_read_b32 v27, a13
	v_accvgpr_read_b32 v22, a36
	;; [unrolled: 1-line block ×3, first 2 shown]
	v_mov_b64_e32 v[30:31], v[56:57]
	v_accvgpr_read_b32 v26, a12
	v_accvgpr_read_b32 v23, a37
	;; [unrolled: 1-line block ×3, first 2 shown]
	v_mov_b32_e32 v25, 1
.LBB11_133:                             ;   in Loop: Header=BB11_47 Depth=1
	s_or_b64 exec, exec, s[24:25]
	v_lshlrev_b32_e32 v10, 12, v7
	v_cmp_ne_u32_e32 vcc, v2, v10
	s_mov_b64 s[54:55], 0
	v_mov_b32_e32 v7, 0
                                        ; implicit-def: $vgpr12
                                        ; implicit-def: $vgpr8
	s_and_saveexec_b64 s[30:31], vcc
	s_cbranch_execz .LBB11_141
; %bb.134:                              ;   in Loop: Header=BB11_47 Depth=1
	v_lshlrev_b32_e32 v5, 6, v11
	v_accvgpr_read_b32 v7, a31
	v_sub_u32_e32 v5, v7, v5
	v_ashrrev_i32_e32 v7, 31, v5
	v_lshrrev_b32_e32 v7, 26, v7
	v_add_u32_e32 v7, v5, v7
	v_ashrrev_i32_e32 v9, 6, v7
	v_and_b32_e32 v7, 0xffffffc0, v7
	v_sub_u32_e32 v11, v5, v7
	v_sub_u32_e32 v4, v2, v10
	v_lshlrev_b32_e32 v5, 4, v11
	v_lshl_add_u32 v8, v9, 10, v5
	v_ashrrev_i32_e32 v5, 31, v4
	v_lshrrev_b32_e32 v5, 22, v5
	v_add_u32_e32 v5, v4, v5
	v_and_b32_e32 v13, 0xfffffc00, v5
	v_sub_u32_e32 v15, v4, v13
	v_ashrrev_i32_e32 v12, 10, v5
	v_cmp_lt_i32_e32 vcc, 15, v15
	v_sub_u32_e32 v7, v4, v8
	s_nop 0
	v_addc_co_u32_e64 v4, s[24:25], 0, v12, vcc
	v_sub_u32_e32 v14, v4, v9
	v_cmp_lt_i32_e64 s[24:25], 15, v7
	s_and_saveexec_b64 s[54:55], s[24:25]
	s_cbranch_execz .LBB11_138
; %bb.135:                              ;   in Loop: Header=BB11_47 Depth=1
	s_trap 2
	ds_read_b64 v[4:5], v0
	v_add_u32_e32 v8, v8, v10
	v_ashrrev_i32_e32 v9, 31, v8
	s_mov_b64 s[56:57], 0
.LBB11_136:                             ;   Parent Loop BB11_47 Depth=1
                                        ; =>  This Inner Loop Header: Depth=2
	s_waitcnt vmcnt(0) lgkmcnt(0)
	v_lshl_add_u64 v[20:21], v[4:5], 0, v[8:9]
	global_load_dwordx4 v[16:19], v[20:21], off nt
	v_sub_u32_e32 v7, v7, v61
	v_cmp_gt_i32_e64 s[24:25], 16, v7
	v_sub_u32_e32 v14, v14, v52
	v_lshl_add_u64 v[8:9], v[8:9], 0, v[28:29]
	s_or_b64 s[56:57], s[24:25], s[56:57]
	s_waitcnt vmcnt(0)
	global_store_dwordx4 v[20:21], v[16:19], off nt
	s_andn2_b64 exec, exec, s[56:57]
	s_cbranch_execnz .LBB11_136
; %bb.137:                              ;   in Loop: Header=BB11_47 Depth=1
	s_or_b64 exec, exec, s[56:57]
	scratch_load_dwordx2 v[20:21], off, s33 offset:152 ; 8-byte Folded Reload
	scratch_load_dwordx2 v[16:17], off, s33 offset:160 ; 8-byte Folded Reload
	v_accvgpr_read_b32 v18, a42
	v_accvgpr_read_b32 v19, a43
.LBB11_138:                             ;   in Loop: Header=BB11_47 Depth=1
	s_or_b64 exec, exec, s[54:55]
	v_and_b32_e32 v4, 14, v2
	v_cndmask_b32_e32 v2, v15, v4, vcc
	v_cmp_ne_u32_e64 s[24:25], 0, v2
	s_mov_b64 s[54:55], 0
	v_mov_b32_e32 v7, 0
                                        ; implicit-def: $vgpr12
                                        ; implicit-def: $vgpr8
	s_and_saveexec_b64 s[56:57], s[24:25]
	s_cbranch_execz .LBB11_140
; %bb.139:                              ;   in Loop: Header=BB11_47 Depth=1
	v_sub_u32_e32 v4, v15, v4
	v_cndmask_b32_e32 v4, 0, v4, vcc
	v_cmp_lt_i32_e32 vcc, 0, v14
	v_add3_u32 v7, v13, v10, v4
	s_mov_b64 s[54:55], exec
	v_cndmask_b32_e32 v4, 0, v52, vcc
	v_sub_u32_e32 v4, v4, v14
	v_lshl_add_u32 v12, v4, 6, v11
	v_ashrrev_i32_e32 v4, 31, v12
	v_lshrrev_b32_e32 v4, 26, v4
	v_add_u32_e32 v4, v12, v4
	v_ashrrev_i32_e32 v8, 6, v4
.LBB11_140:                             ;   in Loop: Header=BB11_47 Depth=1
	s_or_b64 exec, exec, s[56:57]
	s_and_b64 s[54:55], s[54:55], exec
.LBB11_141:                             ;   in Loop: Header=BB11_47 Depth=1
	s_or_b64 exec, exec, s[30:31]
	s_and_saveexec_b64 s[24:25], s[54:55]
	s_cbranch_execz .LBB11_150
.LBB11_142:                             ;   in Loop: Header=BB11_47 Depth=1
	v_ashrrev_i32_e32 v4, 31, v2
	v_lshrrev_b32_e32 v4, 22, v4
	v_add_u32_e32 v4, v2, v4
	v_ashrrev_i32_e32 v15, 10, v4
	v_sub_u32_e32 v13, v15, v8
	v_ashrrev_i32_e32 v4, 31, v12
	v_cmp_lt_i32_e32 vcc, 0, v13
	v_lshrrev_b32_e32 v14, 26, v4
	s_and_saveexec_b64 s[30:31], vcc
	s_cbranch_execz .LBB11_146
; %bb.143:                              ;   in Loop: Header=BB11_47 Depth=1
	s_trap 2
	ds_read_b64 v[4:5], v0
	v_add_u32_e32 v9, v12, v14
	v_and_b32_e32 v9, 0x7fffffc0, v9
	v_sub_u32_e32 v9, v12, v9
	v_lshlrev_b32_e32 v9, 1, v9
	v_lshlrev_b32_e32 v8, 10, v8
	v_add3_u32 v8, v9, v7, v8
	v_ashrrev_i32_e32 v9, 31, v8
	s_mov_b64 s[54:55], 0
	s_waitcnt lgkmcnt(0)
	v_mov_b64_e32 v[10:11], v[4:5]
.LBB11_144:                             ;   Parent Loop BB11_47 Depth=1
                                        ; =>  This Inner Loop Header: Depth=2
	s_waitcnt vmcnt(0)
	v_lshl_add_u64 v[16:17], v[8:9], 0, v[10:11]
	flat_load_ushort v18, v[16:17] nt
	flat_load_ushort v19, v[16:17] offset:128 nt
	flat_load_ushort v20, v[16:17] offset:256 nt
	flat_load_ushort v21, v[16:17] offset:384 nt
	flat_load_ushort v22, v[16:17] offset:512 nt
	flat_load_ushort v23, v[16:17] offset:640 nt
	flat_load_ushort v24, v[16:17] offset:768 nt
	flat_load_ushort v25, v[16:17] offset:896 nt
	v_sub_u32_e32 v13, v13, v52
	v_cmp_gt_i32_e32 vcc, 1, v13
	v_lshl_add_u64 v[16:17], v[8:9], 0, v[4:5]
	v_lshl_add_u64 v[10:11], v[10:11], 0, v[28:29]
	v_lshl_add_u64 v[4:5], v[4:5], 0, v[28:29]
	s_or_b64 s[54:55], vcc, s[54:55]
	s_waitcnt vmcnt(0) lgkmcnt(0)
	flat_store_short v[16:17], v18 nt
	flat_store_short v[16:17], v19 offset:128 nt
	flat_store_short v[16:17], v20 offset:256 nt
	;; [unrolled: 1-line block ×7, first 2 shown]
	s_andn2_b64 exec, exec, s[54:55]
	s_cbranch_execnz .LBB11_144
; %bb.145:                              ;   in Loop: Header=BB11_47 Depth=1
	s_or_b64 exec, exec, s[54:55]
	scratch_load_dwordx2 v[20:21], off, s33 offset:152 ; 8-byte Folded Reload
	scratch_load_dwordx2 v[16:17], off, s33 offset:160 ; 8-byte Folded Reload
	v_accvgpr_read_b32 v22, a36
	v_accvgpr_read_b32 v18, a42
	;; [unrolled: 1-line block ×4, first 2 shown]
	v_mov_b32_e32 v25, 1
.LBB11_146:                             ;   in Loop: Header=BB11_47 Depth=1
	s_or_b64 exec, exec, s[30:31]
	v_lshlrev_b32_e32 v4, 10, v15
	v_cmp_ne_u32_e32 vcc, v2, v4
	s_and_b64 exec, exec, vcc
	s_cbranch_execz .LBB11_150
; %bb.147:                              ;   in Loop: Header=BB11_47 Depth=1
	v_add_u32_e32 v5, v12, v14
	v_and_b32_e32 v5, 0xffffffc0, v5
	v_sub_u32_e32 v5, v12, v5
	v_lshlrev_b32_e32 v8, 6, v13
	v_sub_u32_e32 v5, v5, v8
	v_ashrrev_i32_e32 v8, 31, v5
	v_lshrrev_b32_e32 v8, 26, v8
	v_add_u32_e32 v8, v5, v8
	v_and_b32_e32 v9, 0x7fffffc0, v8
	v_sub_u32_e32 v5, v5, v9
	v_lshlrev_b32_e32 v8, 1, v8
	v_and_b32_e32 v8, 0xffffff80, v8
	v_lshlrev_b32_e32 v5, 1, v5
	v_add3_u32 v8, v8, v5, v4
	v_sub_u32_e32 v2, v2, v8
	v_cmp_lt_i32_e32 vcc, 1, v2
	s_and_b64 exec, exec, vcc
	s_cbranch_execz .LBB11_150
; %bb.148:                              ;   in Loop: Header=BB11_47 Depth=1
	s_trap 2
	ds_read_b64 v[4:5], v0
	v_add_u32_e32 v8, v8, v7
	v_ashrrev_i32_e32 v9, 31, v8
	s_mov_b64 s[30:31], 0
.LBB11_149:                             ;   Parent Loop BB11_47 Depth=1
                                        ; =>  This Inner Loop Header: Depth=2
	s_waitcnt lgkmcnt(0)
	v_lshl_add_u64 v[10:11], v[4:5], 0, v[8:9]
	flat_load_ushort v7, v[10:11] nt
	v_sub_u32_e32 v2, v2, v41
	v_cmp_gt_i32_e32 vcc, 2, v2
	v_lshl_add_u64 v[8:9], v[8:9], 0, v[22:23]
	s_or_b64 s[30:31], vcc, s[30:31]
	s_waitcnt vmcnt(0) lgkmcnt(0)
	flat_store_short v[10:11], v7 nt
	s_andn2_b64 exec, exec, s[30:31]
	s_cbranch_execnz .LBB11_149
.LBB11_150:                             ;   in Loop: Header=BB11_47 Depth=1
	s_or_b64 exec, exec, s[24:25]
	v_accvgpr_read_b32 v12, a44
	v_cmp_lt_i32_e64 s[24:25], 0, v1
	v_accvgpr_read_b32 v13, a45
	s_and_saveexec_b64 s[30:31], s[6:7]
	s_cbranch_execz .LBB11_124
.LBB11_151:                             ;   in Loop: Header=BB11_47 Depth=1
	s_and_saveexec_b64 vcc, s[40:41]
	s_xor_b64 s[54:55], exec, vcc
	s_cbranch_execz .LBB11_166
; %bb.152:                              ;   in Loop: Header=BB11_47 Depth=1
	s_and_saveexec_b64 s[56:57], s[14:15]
	s_cbranch_execz .LBB11_165
; %bb.153:                              ;   in Loop: Header=BB11_47 Depth=1
	s_mov_b64 s[60:61], exec
	v_mbcnt_lo_u32_b32 v1, s60, 0
	v_mbcnt_hi_u32_b32 v1, s61, v1
	v_cmp_eq_u32_e32 vcc, 0, v1
	s_waitcnt lgkmcnt(0)
	s_and_saveexec_b64 s[58:59], vcc
	s_cbranch_execz .LBB11_155
; %bb.154:                              ;   in Loop: Header=BB11_47 Depth=1
	s_bcnt1_i32_b64 vcc_lo, s[60:61]
	v_mov_b32_e32 v2, vcc_lo
	ds_add_u64 v0, v[2:3]
	s_trap 2
.LBB11_155:                             ;   in Loop: Header=BB11_47 Depth=1
	s_or_b64 exec, exec, s[58:59]
	s_trap 2
	ds_read_b64 v[4:5], v0
	v_lshl_add_u64 v[26:27], v[26:27], 0, v[52:53]
	s_waitcnt lgkmcnt(0)
	v_cmp_lt_u64_e32 vcc, v[4:5], v[26:27]
	s_and_saveexec_b64 s[58:59], vcc
	s_cbranch_execz .LBB11_164
; %bb.156:                              ;   in Loop: Header=BB11_47 Depth=1
	s_mov_b32 s70, 0
	s_mov_b64 s[60:61], 0
                                        ; implicit-def: $sgpr62_sgpr63
                                        ; implicit-def: $sgpr64_sgpr65
	s_branch .LBB11_158
.LBB11_157:                             ;   in Loop: Header=BB11_158 Depth=2
	s_or_b64 exec, exec, s[68:69]
	s_and_b64 vcc, exec, vcc
	s_or_b64 s[60:61], vcc, s[60:61]
	s_andn2_b64 vcc, s[62:63], exec
	s_and_b64 s[62:63], s[64:65], exec
	s_or_b64 s[62:63], vcc, s[62:63]
	s_andn2_b64 exec, exec, s[60:61]
	s_cbranch_execz .LBB11_162
.LBB11_158:                             ;   Parent Loop BB11_47 Depth=1
                                        ; =>  This Inner Loop Header: Depth=2
	s_add_i32 s70, s70, 1
	s_cmpk_lg_i32 s70, 0x2710
	s_cselect_b64 s[66:67], -1, 0
	s_and_b64 vcc, exec, s[66:67]
                                        ; implicit-def: $sgpr68_sgpr69
	s_cbranch_vccnz .LBB11_160
; %bb.159:                              ;   in Loop: Header=BB11_158 Depth=2
	s_trap 2
	ds_read_b64 v[4:5], v0
	s_andn2_b64 s[66:67], s[66:67], exec
	s_mov_b32 s70, 0
	s_mov_b64 s[68:69], -1
	s_waitcnt vmcnt(0) lgkmcnt(0)
	flat_load_dword v1, v[4:5] sc0 sc1
	s_waitcnt vmcnt(0) lgkmcnt(0)
	buffer_inv sc0 sc1
	v_cmp_eq_u32_e32 vcc, 0, v1
	s_and_b64 vcc, vcc, exec
	s_or_b64 s[66:67], s[66:67], vcc
.LBB11_160:                             ;   in Loop: Header=BB11_158 Depth=2
	s_andn2_b64 s[64:65], s[64:65], exec
	s_and_b64 s[68:69], s[68:69], exec
	s_mov_b64 vcc, -1
	s_or_b64 s[64:65], s[64:65], s[68:69]
	s_and_saveexec_b64 s[68:69], s[66:67]
	s_cbranch_execz .LBB11_157
; %bb.161:                              ;   in Loop: Header=BB11_158 Depth=2
	s_sleep 1
	s_trap 2
	ds_read_b64 v[4:5], v0
	s_andn2_b64 s[64:65], s[64:65], exec
	s_waitcnt lgkmcnt(0)
	v_cmp_ge_u64_e32 vcc, v[4:5], v[26:27]
	s_orn2_b64 vcc, vcc, exec
	s_branch .LBB11_157
.LBB11_162:                             ;   in Loop: Header=BB11_47 Depth=1
	s_or_b64 exec, exec, s[60:61]
	s_and_saveexec_b64 vcc, s[62:63]
	s_xor_b64 vcc, exec, vcc
	s_cbranch_execz .LBB11_164
; %bb.163:                              ;   in Loop: Header=BB11_47 Depth=1
	ds_write_b32 v0, v25
	s_trap 2
.LBB11_164:                             ;   in Loop: Header=BB11_47 Depth=1
	s_or_b64 exec, exec, s[58:59]
	;;#ASMSTART
	s_wakeup
	;;#ASMEND
.LBB11_165:                             ;   in Loop: Header=BB11_47 Depth=1
	s_or_b64 exec, exec, s[56:57]
.LBB11_166:                             ;   in Loop: Header=BB11_47 Depth=1
	s_andn2_saveexec_b64 vcc, s[54:55]
	s_cbranch_execz .LBB11_168
; %bb.167:                              ;   in Loop: Header=BB11_47 Depth=1
	s_waitcnt lgkmcnt(0)
	s_barrier
.LBB11_168:                             ;   in Loop: Header=BB11_47 Depth=1
	s_or_b64 exec, exec, vcc
	s_or_b64 exec, exec, s[30:31]
                                        ; implicit-def: $vgpr1
	s_and_saveexec_b64 vcc, s[22:23]
	s_xor_b64 s[30:31], exec, vcc
	s_cbranch_execnz .LBB11_125
.LBB11_169:                             ;   in Loop: Header=BB11_47 Depth=1
	s_andn2_saveexec_b64 s[24:25], s[30:31]
	s_cbranch_execz .LBB11_128
.LBB11_170:                             ;   in Loop: Header=BB11_47 Depth=1
	s_and_saveexec_b64 vcc, s[40:41]
	s_xor_b64 s[30:31], exec, vcc
	s_cbranch_execz .LBB11_185
; %bb.171:                              ;   in Loop: Header=BB11_47 Depth=1
	s_and_saveexec_b64 s[54:55], s[14:15]
	s_cbranch_execz .LBB11_184
; %bb.172:                              ;   in Loop: Header=BB11_47 Depth=1
	s_mov_b64 s[58:59], exec
	v_mbcnt_lo_u32_b32 v1, s58, 0
	v_mbcnt_hi_u32_b32 v1, s59, v1
	v_cmp_eq_u32_e32 vcc, 0, v1
	;;#ASMSTART
	s_waitcnt lgkmcnt(0) vmcnt(0)
	;;#ASMEND
	s_and_saveexec_b64 s[56:57], vcc
	s_cbranch_execz .LBB11_174
; %bb.173:                              ;   in Loop: Header=BB11_47 Depth=1
	s_bcnt1_i32_b64 vcc_lo, s[58:59]
	v_mov_b32_e32 v2, vcc_lo
	ds_add_u64 v0, v[2:3]
	s_trap 2
.LBB11_174:                             ;   in Loop: Header=BB11_47 Depth=1
	s_or_b64 exec, exec, s[56:57]
	s_trap 2
	ds_read_b64 v[4:5], v0
	v_lshl_add_u64 v[26:27], v[26:27], 0, v[52:53]
	s_waitcnt lgkmcnt(0)
	v_cmp_lt_u64_e32 vcc, v[4:5], v[26:27]
	s_and_saveexec_b64 s[56:57], vcc
	s_cbranch_execz .LBB11_183
; %bb.175:                              ;   in Loop: Header=BB11_47 Depth=1
	s_mov_b32 s68, 0
	s_mov_b64 s[58:59], 0
                                        ; implicit-def: $sgpr60_sgpr61
                                        ; implicit-def: $sgpr62_sgpr63
	s_branch .LBB11_177
.LBB11_176:                             ;   in Loop: Header=BB11_177 Depth=2
	s_or_b64 exec, exec, s[66:67]
	s_and_b64 vcc, exec, vcc
	s_or_b64 s[58:59], vcc, s[58:59]
	s_andn2_b64 vcc, s[60:61], exec
	s_and_b64 s[60:61], s[62:63], exec
	s_or_b64 s[60:61], vcc, s[60:61]
	s_andn2_b64 exec, exec, s[58:59]
	s_cbranch_execz .LBB11_181
.LBB11_177:                             ;   Parent Loop BB11_47 Depth=1
                                        ; =>  This Inner Loop Header: Depth=2
	s_add_i32 s68, s68, 1
	s_cmpk_lg_i32 s68, 0x2710
	s_cselect_b64 s[64:65], -1, 0
	s_and_b64 vcc, exec, s[64:65]
                                        ; implicit-def: $sgpr66_sgpr67
	s_cbranch_vccnz .LBB11_179
; %bb.178:                              ;   in Loop: Header=BB11_177 Depth=2
	s_trap 2
	ds_read_b64 v[4:5], v0
	s_andn2_b64 s[64:65], s[64:65], exec
	s_mov_b32 s68, 0
	s_mov_b64 s[66:67], -1
	s_waitcnt vmcnt(0) lgkmcnt(0)
	flat_load_dword v1, v[4:5] sc0 sc1
	s_waitcnt vmcnt(0) lgkmcnt(0)
	buffer_inv sc0 sc1
	v_cmp_eq_u32_e32 vcc, 0, v1
	s_and_b64 vcc, vcc, exec
	s_or_b64 s[64:65], s[64:65], vcc
.LBB11_179:                             ;   in Loop: Header=BB11_177 Depth=2
	s_andn2_b64 s[62:63], s[62:63], exec
	s_and_b64 s[66:67], s[66:67], exec
	s_mov_b64 vcc, -1
	s_or_b64 s[62:63], s[62:63], s[66:67]
	s_and_saveexec_b64 s[66:67], s[64:65]
	s_cbranch_execz .LBB11_176
; %bb.180:                              ;   in Loop: Header=BB11_177 Depth=2
	s_sleep 1
	s_trap 2
	ds_read_b64 v[4:5], v0
	s_andn2_b64 s[62:63], s[62:63], exec
	s_waitcnt lgkmcnt(0)
	v_cmp_ge_u64_e32 vcc, v[4:5], v[26:27]
	s_orn2_b64 vcc, vcc, exec
	s_branch .LBB11_176
.LBB11_181:                             ;   in Loop: Header=BB11_47 Depth=1
	s_or_b64 exec, exec, s[58:59]
	s_and_saveexec_b64 vcc, s[60:61]
	s_xor_b64 vcc, exec, vcc
	s_cbranch_execz .LBB11_183
; %bb.182:                              ;   in Loop: Header=BB11_47 Depth=1
	ds_write_b32 v0, v25
	s_trap 2
.LBB11_183:                             ;   in Loop: Header=BB11_47 Depth=1
	s_or_b64 exec, exec, s[56:57]
	;;#ASMSTART
	s_wakeup
	;;#ASMEND
.LBB11_184:                             ;   in Loop: Header=BB11_47 Depth=1
	s_or_b64 exec, exec, s[54:55]
.LBB11_185:                             ;   in Loop: Header=BB11_47 Depth=1
	s_andn2_saveexec_b64 vcc, s[30:31]
	s_cbranch_execz .LBB11_187
; %bb.186:                              ;   in Loop: Header=BB11_47 Depth=1
	;;#ASMSTART
	s_waitcnt lgkmcnt(0) vmcnt(0)
	;;#ASMEND
	s_barrier
.LBB11_187:                             ;   in Loop: Header=BB11_47 Depth=1
	s_or_b64 exec, exec, vcc
	v_and_b32_e32 v1, 16, v62
	s_or_b64 exec, exec, s[24:25]
	v_cmp_ne_u32_e32 vcc, 0, v1
	s_and_saveexec_b64 s[24:25], vcc
	s_cbranch_execz .LBB11_191
.LBB11_188:                             ;   in Loop: Header=BB11_47 Depth=1
	s_and_saveexec_b64 vcc, s[12:13]
	s_cbranch_execz .LBB11_190
; %bb.189:                              ;   in Loop: Header=BB11_47 Depth=1
	flat_store_dword v[38:39], v25 sc0 sc1
.LBB11_190:                             ;   in Loop: Header=BB11_47 Depth=1
	s_or_b64 exec, exec, vcc
	v_lshl_add_u64 v[44:45], v[44:45], 0, 4
	flat_store_dwordx2 v[42:43], v[44:45] sc0 sc1
.LBB11_191:                             ;   in Loop: Header=BB11_47 Depth=1
	s_or_b64 exec, exec, s[24:25]
	v_mov_b32_e32 v1, v6
.LBB11_192:                             ;   in Loop: Header=BB11_47 Depth=1
	s_or_b64 exec, exec, s[28:29]
	s_and_saveexec_b64 s[28:29], s[26:27]
	s_cbranch_execz .LBB11_262
; %bb.193:                              ;   in Loop: Header=BB11_47 Depth=1
	v_and_b32_e32 v2, 8, v62
	v_cmp_ne_u32_e32 vcc, 0, v2
	s_mov_b64 s[26:27], -1
	s_and_saveexec_b64 s[24:25], vcc
	s_cbranch_execz .LBB11_205
; %bb.194:                              ;   in Loop: Header=BB11_47 Depth=1
	v_lshl_add_u64 v[8:9], v[58:59], 0, 8
	v_lshl_add_u64 v[4:5], v[44:45], 0, 4
	v_cmp_lt_u64_e32 vcc, v[8:9], v[4:5]
	v_mov_b32_e32 v2, 1
	s_and_saveexec_b64 s[26:27], vcc
	s_cbranch_execz .LBB11_204
; %bb.195:                              ;   in Loop: Header=BB11_47 Depth=1
	s_mov_b64 s[30:31], 0
	v_mov_b32_e32 v2, 0
                                        ; implicit-def: $sgpr54_sgpr55
	s_branch .LBB11_199
.LBB11_196:                             ;   in Loop: Header=BB11_199 Depth=2
	s_or_b64 exec, exec, s[62:63]
	v_mov_b32_e32 v7, 0
	s_orn2_b64 s[60:61], s[60:61], exec
.LBB11_197:                             ;   in Loop: Header=BB11_199 Depth=2
	s_or_b64 exec, exec, s[58:59]
	s_andn2_b64 vcc, s[54:55], exec
	s_and_b64 s[54:55], s[60:61], exec
	s_or_b64 s[54:55], vcc, s[54:55]
	v_mov_b32_e32 v2, v7
.LBB11_198:                             ;   in Loop: Header=BB11_199 Depth=2
	s_or_b64 exec, exec, s[56:57]
	s_waitcnt vmcnt(0) lgkmcnt(0)
	v_lshl_add_u64 v[8:9], v[58:59], 0, 8
	v_cmp_ge_u64_e32 vcc, v[8:9], v[4:5]
	s_xor_b64 s[56:57], s[54:55], -1
	s_or_b64 vcc, s[56:57], vcc
	s_and_b64 vcc, exec, vcc
	s_or_b64 s[30:31], vcc, s[30:31]
	s_andn2_b64 exec, exec, s[30:31]
	s_cbranch_execz .LBB11_203
.LBB11_199:                             ;   Parent Loop BB11_47 Depth=1
                                        ; =>  This Inner Loop Header: Depth=2
	s_sleep 1
	flat_load_dwordx2 v[58:59], v[42:43] sc0 sc1
	v_and_b32_e32 v7, 64, v62
	v_cmp_eq_u32_e32 vcc, 0, v7
	s_andn2_b64 s[54:55], s[54:55], exec
	s_and_saveexec_b64 s[56:57], vcc
	s_cbranch_execz .LBB11_198
; %bb.200:                              ;   in Loop: Header=BB11_199 Depth=2
	v_add_u32_e32 v7, 1, v2
	v_cmp_lt_i32_e32 vcc, s82, v2
	s_mov_b64 s[60:61], -1
	s_and_saveexec_b64 s[58:59], vcc
	s_cbranch_execz .LBB11_197
; %bb.201:                              ;   in Loop: Header=BB11_199 Depth=2
	s_trap 2
	ds_read_b64 v[8:9], v0
	s_waitcnt vmcnt(0) lgkmcnt(0)
	flat_load_dword v2, v[8:9] sc0 sc1
	s_waitcnt vmcnt(0) lgkmcnt(0)
	buffer_inv sc0 sc1
	v_cmp_ne_u32_e32 vcc, 0, v2
	s_and_saveexec_b64 s[62:63], vcc
	s_cbranch_execz .LBB11_196
; %bb.202:                              ;   in Loop: Header=BB11_199 Depth=2
	v_or_b32_e32 v62, 64, v62
	s_xor_b64 s[60:61], exec, -1
	ds_write_b32 v0, v2
	s_trap 2
	s_branch .LBB11_196
.LBB11_203:                             ;   in Loop: Header=BB11_47 Depth=1
	s_or_b64 exec, exec, s[30:31]
	v_and_b32_e32 v2, 8, v62
.LBB11_204:                             ;   in Loop: Header=BB11_47 Depth=1
	s_or_b64 exec, exec, s[26:27]
	v_cmp_eq_u32_e32 vcc, 0, v2
	s_orn2_b64 s[26:27], vcc, exec
	;;#ASMSTART
	s_wakeup
	;;#ASMEND
.LBB11_205:                             ;   in Loop: Header=BB11_47 Depth=1
	s_or_b64 exec, exec, s[24:25]
	v_sub_u32_e32 v0, v0, v1
	s_xor_b64 s[24:25], s[26:27], -1
	v_min_i32_e32 v6, v6, v0
	s_and_saveexec_b64 s[26:27], s[24:25]
	s_cbranch_execz .LBB11_220
; %bb.206:                              ;   in Loop: Header=BB11_47 Depth=1
	v_and_b32_e32 v0, 0x100, v62
	v_cmp_ne_u32_e32 vcc, 0, v0
	v_and_b32_e32 v0, 7, v44
	s_mov_b64 s[24:25], -1
                                        ; implicit-def: $vgpr4_vgpr5
	s_and_saveexec_b64 s[30:31], vcc
	s_cbranch_execz .LBB11_210
; %bb.207:                              ;   in Loop: Header=BB11_47 Depth=1
	v_mad_u64_u32 v[8:9], s[24:25], v0, 24, v[48:49]
	flat_load_dword v1, v[8:9]
	v_ashrrev_i32_e32 v7, 31, v6
	v_lshlrev_b64 v[4:5], 1, v[6:7]
	flat_store_dwordx2 v[8:9], v[4:5] offset:8
                                        ; implicit-def: $vgpr4_vgpr5
	s_waitcnt vmcnt(0) lgkmcnt(0)
	v_cmp_ne_u32_e32 vcc, 1, v1
	v_cmp_eq_u32_e64 s[24:25], 1, v1
	s_and_saveexec_b64 s[54:55], s[24:25]
	s_cbranch_execz .LBB11_209
; %bb.208:                              ;   in Loop: Header=BB11_47 Depth=1
	flat_load_dword v4, v[8:9] offset:4 sc0 sc1
	s_waitcnt vmcnt(0) lgkmcnt(0)
	v_ashrrev_i32_e32 v5, 31, v4
	v_lshrrev_b64 v[4:5], 1, v[4:5]
.LBB11_209:                             ;   in Loop: Header=BB11_47 Depth=1
	s_or_b64 exec, exec, s[54:55]
	s_orn2_b64 s[24:25], vcc, exec
.LBB11_210:                             ;   in Loop: Header=BB11_47 Depth=1
	s_or_b64 exec, exec, s[30:31]
	s_and_saveexec_b64 vcc, s[24:25]
; %bb.211:                              ;   in Loop: Header=BB11_47 Depth=1
	v_mad_i64_i32 v[4:5], s[24:25], v0, v40, 0
; %bb.212:                              ;   in Loop: Header=BB11_47 Depth=1
	s_or_b64 exec, exec, vcc
	v_lshl_add_u64 v[0:1], v[4:5], 1, v[36:37]
	ds_write_b64 v0, v[0:1] offset:784
	v_and_b32_e32 v0, 0x2000, v62
	v_cmp_ne_u32_e32 vcc, 0, v0
	s_and_saveexec_b64 s[24:25], vcc
	s_cbranch_execz .LBB11_214
; %bb.213:                              ;   in Loop: Header=BB11_47 Depth=1
	ds_read_b64 v[0:1], v0 offset:584
	s_waitcnt lgkmcnt(0)
	v_lshl_add_u64 v[0:1], v[0:1], 0, 1
	ds_write_b64 v0, v[0:1] offset:584
.LBB11_214:                             ;   in Loop: Header=BB11_47 Depth=1
	s_or_b64 exec, exec, s[24:25]
	v_lshl_add_u64 v[44:45], v[44:45], 0, 4
	s_or_b64 exec, exec, s[26:27]
	s_and_saveexec_b64 s[24:25], s[6:7]
	s_cbranch_execnz .LBB11_221
.LBB11_215:                             ;   in Loop: Header=BB11_47 Depth=1
	s_or_b64 exec, exec, s[24:25]
                                        ; implicit-def: $vgpr0
	s_and_saveexec_b64 s[24:25], s[22:23]
	s_xor_b64 s[24:25], exec, s[24:25]
	s_cbranch_execz .LBB11_239
.LBB11_216:                             ;   in Loop: Header=BB11_47 Depth=1
	s_trap 2
	ds_read_b32 v1, v0
	v_cmp_lt_i32_e32 vcc, 0, v6
	v_and_b32_e32 v2, 16, v62
	v_and_b32_e32 v0, 16, v62
	s_waitcnt lgkmcnt(0)
	v_readfirstlane_b32 s26, v1
	s_cmp_eq_u32 s26, 0
	s_cselect_b64 s[26:27], -1, 0
	s_and_b64 s[26:27], vcc, s[26:27]
	v_cmp_ne_u32_e32 vcc, 0, v2
	s_and_b64 vcc, vcc, s[26:27]
	s_and_saveexec_b64 s[26:27], vcc
	s_cbranch_execz .LBB11_218
; %bb.217:                              ;   in Loop: Header=BB11_47 Depth=1
	v_mov_b32_e32 v0, 1
	buffer_wbl2 sc1
	s_waitcnt vmcnt(0)
	buffer_inv sc1
.LBB11_218:                             ;   in Loop: Header=BB11_47 Depth=1
	s_or_b64 exec, exec, s[26:27]
	s_andn2_saveexec_b64 s[24:25], s[24:25]
	s_cbranch_execnz .LBB11_240
.LBB11_219:                             ;   in Loop: Header=BB11_47 Depth=1
	s_or_b64 exec, exec, s[24:25]
	v_cmp_ne_u32_e32 vcc, 0, v0
	s_and_saveexec_b64 s[24:25], vcc
	s_cbranch_execnz .LBB11_258
	s_branch .LBB11_261
.LBB11_220:                             ;   in Loop: Header=BB11_47 Depth=1
	s_or_b64 exec, exec, s[26:27]
	s_and_saveexec_b64 s[24:25], s[6:7]
	s_cbranch_execz .LBB11_215
.LBB11_221:                             ;   in Loop: Header=BB11_47 Depth=1
	s_and_saveexec_b64 s[26:27], s[40:41]
	s_xor_b64 s[26:27], exec, s[26:27]
	s_cbranch_execz .LBB11_236
; %bb.222:                              ;   in Loop: Header=BB11_47 Depth=1
	s_and_saveexec_b64 s[30:31], s[14:15]
	s_cbranch_execz .LBB11_235
; %bb.223:                              ;   in Loop: Header=BB11_47 Depth=1
	s_mov_b64 s[56:57], exec
	v_mbcnt_lo_u32_b32 v0, s56, 0
	v_mbcnt_hi_u32_b32 v0, s57, v0
	v_cmp_eq_u32_e32 vcc, 0, v0
	s_waitcnt lgkmcnt(0)
	s_and_saveexec_b64 s[54:55], vcc
	s_cbranch_execz .LBB11_225
; %bb.224:                              ;   in Loop: Header=BB11_47 Depth=1
	s_bcnt1_i32_b64 vcc_lo, s[56:57]
	v_mov_b32_e32 v2, vcc_lo
	ds_add_u64 v0, v[2:3]
	s_trap 2
.LBB11_225:                             ;   in Loop: Header=BB11_47 Depth=1
	s_or_b64 exec, exec, s[54:55]
	s_trap 2
	ds_read_b64 v[0:1], v0
	v_lshl_add_u64 v[26:27], v[26:27], 0, v[52:53]
	s_waitcnt lgkmcnt(0)
	v_cmp_lt_u64_e32 vcc, v[0:1], v[26:27]
	s_and_saveexec_b64 s[54:55], vcc
	s_cbranch_execz .LBB11_234
; %bb.226:                              ;   in Loop: Header=BB11_47 Depth=1
	s_mov_b32 s66, 0
	s_mov_b64 s[56:57], 0
                                        ; implicit-def: $sgpr58_sgpr59
                                        ; implicit-def: $sgpr60_sgpr61
	s_branch .LBB11_228
.LBB11_227:                             ;   in Loop: Header=BB11_228 Depth=2
	s_or_b64 exec, exec, s[64:65]
	s_and_b64 vcc, exec, vcc
	s_or_b64 s[56:57], vcc, s[56:57]
	s_andn2_b64 vcc, s[58:59], exec
	s_and_b64 s[58:59], s[60:61], exec
	s_or_b64 s[58:59], vcc, s[58:59]
	s_andn2_b64 exec, exec, s[56:57]
	s_cbranch_execz .LBB11_232
.LBB11_228:                             ;   Parent Loop BB11_47 Depth=1
                                        ; =>  This Inner Loop Header: Depth=2
	s_add_i32 s66, s66, 1
	s_cmpk_lg_i32 s66, 0x2710
	s_cselect_b64 s[62:63], -1, 0
	s_and_b64 vcc, exec, s[62:63]
                                        ; implicit-def: $sgpr64_sgpr65
	s_cbranch_vccnz .LBB11_230
; %bb.229:                              ;   in Loop: Header=BB11_228 Depth=2
	s_trap 2
	ds_read_b64 v[0:1], v0
	s_andn2_b64 s[62:63], s[62:63], exec
	s_mov_b32 s66, 0
	s_mov_b64 s[64:65], -1
	s_waitcnt vmcnt(0) lgkmcnt(0)
	flat_load_dword v0, v[0:1] sc0 sc1
	s_waitcnt vmcnt(0) lgkmcnt(0)
	buffer_inv sc0 sc1
	v_cmp_eq_u32_e32 vcc, 0, v0
	s_and_b64 vcc, vcc, exec
	s_or_b64 s[62:63], s[62:63], vcc
.LBB11_230:                             ;   in Loop: Header=BB11_228 Depth=2
	s_andn2_b64 s[60:61], s[60:61], exec
	s_and_b64 s[64:65], s[64:65], exec
	s_mov_b64 vcc, -1
	s_or_b64 s[60:61], s[60:61], s[64:65]
	s_and_saveexec_b64 s[64:65], s[62:63]
	s_cbranch_execz .LBB11_227
; %bb.231:                              ;   in Loop: Header=BB11_228 Depth=2
	s_sleep 1
	s_trap 2
	ds_read_b64 v[0:1], v0
	s_andn2_b64 s[60:61], s[60:61], exec
	s_waitcnt lgkmcnt(0)
	v_cmp_ge_u64_e32 vcc, v[0:1], v[26:27]
	s_orn2_b64 vcc, vcc, exec
	s_branch .LBB11_227
.LBB11_232:                             ;   in Loop: Header=BB11_47 Depth=1
	s_or_b64 exec, exec, s[56:57]
	s_and_saveexec_b64 vcc, s[58:59]
	s_xor_b64 vcc, exec, vcc
	s_cbranch_execz .LBB11_234
; %bb.233:                              ;   in Loop: Header=BB11_47 Depth=1
	ds_write_b32 v0, v25
	s_trap 2
.LBB11_234:                             ;   in Loop: Header=BB11_47 Depth=1
	s_or_b64 exec, exec, s[54:55]
	;;#ASMSTART
	s_wakeup
	;;#ASMEND
.LBB11_235:                             ;   in Loop: Header=BB11_47 Depth=1
	s_or_b64 exec, exec, s[30:31]
.LBB11_236:                             ;   in Loop: Header=BB11_47 Depth=1
	s_andn2_saveexec_b64 s[26:27], s[26:27]
	s_cbranch_execz .LBB11_238
; %bb.237:                              ;   in Loop: Header=BB11_47 Depth=1
	s_waitcnt lgkmcnt(0)
	s_barrier
.LBB11_238:                             ;   in Loop: Header=BB11_47 Depth=1
	s_or_b64 exec, exec, s[26:27]
	s_or_b64 exec, exec, s[24:25]
                                        ; implicit-def: $vgpr0
	s_and_saveexec_b64 s[24:25], s[22:23]
	s_xor_b64 s[24:25], exec, s[24:25]
	s_cbranch_execnz .LBB11_216
.LBB11_239:                             ;   in Loop: Header=BB11_47 Depth=1
	s_andn2_saveexec_b64 s[24:25], s[24:25]
	s_cbranch_execz .LBB11_219
.LBB11_240:                             ;   in Loop: Header=BB11_47 Depth=1
	s_and_saveexec_b64 s[26:27], s[40:41]
	s_xor_b64 s[26:27], exec, s[26:27]
	s_cbranch_execz .LBB11_255
; %bb.241:                              ;   in Loop: Header=BB11_47 Depth=1
	s_and_saveexec_b64 s[30:31], s[14:15]
	s_cbranch_execz .LBB11_254
; %bb.242:                              ;   in Loop: Header=BB11_47 Depth=1
	s_mov_b64 s[56:57], exec
	v_mbcnt_lo_u32_b32 v0, s56, 0
	v_mbcnt_hi_u32_b32 v0, s57, v0
	v_cmp_eq_u32_e32 vcc, 0, v0
	;;#ASMSTART
	s_waitcnt lgkmcnt(0) vmcnt(0)
	;;#ASMEND
	s_and_saveexec_b64 s[54:55], vcc
	s_cbranch_execz .LBB11_244
; %bb.243:                              ;   in Loop: Header=BB11_47 Depth=1
	s_bcnt1_i32_b64 vcc_lo, s[56:57]
	v_mov_b32_e32 v2, vcc_lo
	ds_add_u64 v0, v[2:3]
	s_trap 2
.LBB11_244:                             ;   in Loop: Header=BB11_47 Depth=1
	s_or_b64 exec, exec, s[54:55]
	s_trap 2
	ds_read_b64 v[0:1], v0
	v_lshl_add_u64 v[26:27], v[26:27], 0, v[52:53]
	s_waitcnt lgkmcnt(0)
	v_cmp_lt_u64_e32 vcc, v[0:1], v[26:27]
	s_and_saveexec_b64 s[54:55], vcc
	s_cbranch_execz .LBB11_253
; %bb.245:                              ;   in Loop: Header=BB11_47 Depth=1
	s_mov_b32 s66, 0
	s_mov_b64 s[56:57], 0
                                        ; implicit-def: $sgpr58_sgpr59
                                        ; implicit-def: $sgpr60_sgpr61
	s_branch .LBB11_247
.LBB11_246:                             ;   in Loop: Header=BB11_247 Depth=2
	s_or_b64 exec, exec, s[64:65]
	s_and_b64 vcc, exec, vcc
	s_or_b64 s[56:57], vcc, s[56:57]
	s_andn2_b64 vcc, s[58:59], exec
	s_and_b64 s[58:59], s[60:61], exec
	s_or_b64 s[58:59], vcc, s[58:59]
	s_andn2_b64 exec, exec, s[56:57]
	s_cbranch_execz .LBB11_251
.LBB11_247:                             ;   Parent Loop BB11_47 Depth=1
                                        ; =>  This Inner Loop Header: Depth=2
	s_add_i32 s66, s66, 1
	s_cmpk_lg_i32 s66, 0x2710
	s_cselect_b64 s[62:63], -1, 0
	s_and_b64 vcc, exec, s[62:63]
                                        ; implicit-def: $sgpr64_sgpr65
	s_cbranch_vccnz .LBB11_249
; %bb.248:                              ;   in Loop: Header=BB11_247 Depth=2
	s_trap 2
	ds_read_b64 v[0:1], v0
	s_andn2_b64 s[62:63], s[62:63], exec
	s_mov_b32 s66, 0
	s_mov_b64 s[64:65], -1
	s_waitcnt vmcnt(0) lgkmcnt(0)
	flat_load_dword v0, v[0:1] sc0 sc1
	s_waitcnt vmcnt(0) lgkmcnt(0)
	buffer_inv sc0 sc1
	v_cmp_eq_u32_e32 vcc, 0, v0
	s_and_b64 vcc, vcc, exec
	s_or_b64 s[62:63], s[62:63], vcc
.LBB11_249:                             ;   in Loop: Header=BB11_247 Depth=2
	s_andn2_b64 s[60:61], s[60:61], exec
	s_and_b64 s[64:65], s[64:65], exec
	s_mov_b64 vcc, -1
	s_or_b64 s[60:61], s[60:61], s[64:65]
	s_and_saveexec_b64 s[64:65], s[62:63]
	s_cbranch_execz .LBB11_246
; %bb.250:                              ;   in Loop: Header=BB11_247 Depth=2
	s_sleep 1
	s_trap 2
	ds_read_b64 v[0:1], v0
	s_andn2_b64 s[60:61], s[60:61], exec
	s_waitcnt lgkmcnt(0)
	v_cmp_ge_u64_e32 vcc, v[0:1], v[26:27]
	s_orn2_b64 vcc, vcc, exec
	s_branch .LBB11_246
.LBB11_251:                             ;   in Loop: Header=BB11_47 Depth=1
	s_or_b64 exec, exec, s[56:57]
	s_and_saveexec_b64 vcc, s[58:59]
	s_xor_b64 vcc, exec, vcc
	s_cbranch_execz .LBB11_253
; %bb.252:                              ;   in Loop: Header=BB11_47 Depth=1
	ds_write_b32 v0, v25
	s_trap 2
.LBB11_253:                             ;   in Loop: Header=BB11_47 Depth=1
	s_or_b64 exec, exec, s[54:55]
	;;#ASMSTART
	s_wakeup
	;;#ASMEND
.LBB11_254:                             ;   in Loop: Header=BB11_47 Depth=1
	s_or_b64 exec, exec, s[30:31]
.LBB11_255:                             ;   in Loop: Header=BB11_47 Depth=1
	s_andn2_saveexec_b64 s[26:27], s[26:27]
	s_cbranch_execz .LBB11_257
; %bb.256:                              ;   in Loop: Header=BB11_47 Depth=1
	;;#ASMSTART
	s_waitcnt lgkmcnt(0) vmcnt(0)
	;;#ASMEND
	s_barrier
.LBB11_257:                             ;   in Loop: Header=BB11_47 Depth=1
	s_or_b64 exec, exec, s[26:27]
	v_and_b32_e32 v0, 16, v62
	s_or_b64 exec, exec, s[24:25]
	v_cmp_ne_u32_e32 vcc, 0, v0
	s_and_saveexec_b64 s[24:25], vcc
	s_cbranch_execz .LBB11_261
.LBB11_258:                             ;   in Loop: Header=BB11_47 Depth=1
	s_and_saveexec_b64 s[26:27], s[12:13]
	s_cbranch_execz .LBB11_260
; %bb.259:                              ;   in Loop: Header=BB11_47 Depth=1
	flat_store_dword v[38:39], v25 sc0 sc1
.LBB11_260:                             ;   in Loop: Header=BB11_47 Depth=1
	s_or_b64 exec, exec, s[26:27]
	v_lshl_add_u64 v[44:45], v[44:45], 0, 4
	flat_store_dwordx2 v[42:43], v[44:45] sc0 sc1
.LBB11_261:                             ;   in Loop: Header=BB11_47 Depth=1
	s_or_b64 exec, exec, s[24:25]
.LBB11_262:                             ;   in Loop: Header=BB11_47 Depth=1
	s_or_b64 exec, exec, s[28:29]
	v_cndmask_b32_e64 v0, 0, 1, s[48:49]
	v_cmp_ne_u32_e64 s[24:25], 1, v0
	s_andn2_b64 vcc, exec, s[48:49]
	s_cbranch_vccnz .LBB11_478
; %bb.263:                              ;   in Loop: Header=BB11_47 Depth=1
	s_mov_b32 s87, 2
	s_branch .LBB11_266
.LBB11_264:                             ;   in Loop: Header=BB11_266 Depth=2
	s_or_b64 exec, exec, s[26:27]
.LBB11_265:                             ;   in Loop: Header=BB11_266 Depth=2
	s_or_b64 exec, exec, s[30:31]
	s_add_i32 s87, s87, 1
	s_cmp_eq_u32 s87, s72
	s_cbranch_scc1 .LBB11_478
.LBB11_266:                             ;   Parent Loop BB11_47 Depth=1
                                        ; =>  This Loop Header: Depth=2
                                        ;       Child Loop BB11_275 Depth 3
                                        ;       Child Loop BB11_301 Depth 3
	;; [unrolled: 1-line block ×12, first 2 shown]
	s_sub_i32 s26, s75, s87
	s_cmp_le_i32 s72, s26
	s_cselect_b32 s27, s72, 0
	s_sub_i32 s26, s26, s27
	s_ashr_i32 s27, s26, 31
	v_mul_lo_u32 v0, v54, s27
	v_mul_lo_u32 v1, v55, s26
	v_mad_u64_u32 v[4:5], s[26:27], v54, s26, 0
	v_add3_u32 v5, v5, v0, v1
	v_sub_co_u32_e32 v0, vcc, v12, v4
	s_nop 1
	v_subb_co_u32_e32 v1, vcc, v13, v5, vcc
	v_cmp_lt_i64_e32 vcc, v[54:55], v[0:1]
	s_nop 1
	v_cndmask_b32_e32 v1, v0, v54, vcc
	v_max_i32_e32 v0, 0, v1
	v_add_u32_e32 v2, 15, v0
	v_ashrrev_i32_e32 v6, 31, v2
	v_lshrrev_b32_e32 v6, 28, v6
	v_add_u32_e32 v2, v2, v6
	v_cmp_gt_i32_e32 vcc, 1, v1
	v_and_b32_e32 v2, -16, v2
	s_or_b64 s[28:29], s[2:3], vcc
	v_max_i32_e32 v6, s78, v2
	s_xor_b64 s[26:27], s[28:29], -1
	v_mov_b32_e32 v1, 0
	s_and_saveexec_b64 s[30:31], s[26:27]
	s_cbranch_execz .LBB11_407
; %bb.267:                              ;   in Loop: Header=BB11_266 Depth=2
	s_and_saveexec_b64 s[26:27], s[0:1]
	s_cbranch_execz .LBB11_269
; %bb.268:                              ;   in Loop: Header=BB11_266 Depth=2
	s_trap 2
	ds_read_b64 v[8:9], v0
	v_accvgpr_read_b32 v10, a46
	v_accvgpr_read_b32 v11, a47
	v_mov_b32_e32 v2, v3
	s_waitcnt lgkmcnt(0)
	v_lshl_add_u64 v[8:9], v[10:11], 1, v[8:9]
	v_lshl_add_u64 v[4:5], v[4:5], 1, v[8:9]
	ds_write_b64 v0, v[4:5]
	ds_write_b64 v0, v[2:3]
.LBB11_269:                             ;   in Loop: Header=BB11_266 Depth=2
	s_or_b64 exec, exec, s[26:27]
	v_and_b32_e32 v1, 12, v62
	v_cmp_ne_u32_e32 vcc, 0, v1
	s_mov_b64 s[54:55], -1
	s_and_saveexec_b64 s[26:27], vcc
	s_cbranch_execz .LBB11_281
; %bb.270:                              ;   in Loop: Header=BB11_266 Depth=2
	v_and_b32_e32 v2, 8, v62
	v_lshl_add_u64 v[8:9], v[58:59], 0, v[2:3]
	v_lshl_add_u64 v[4:5], v[44:45], 0, 4
	v_cmp_lt_u64_e32 vcc, v[8:9], v[4:5]
	v_mov_b32_e32 v1, 1
	s_and_saveexec_b64 s[54:55], vcc
	s_cbranch_execz .LBB11_280
; %bb.271:                              ;   in Loop: Header=BB11_266 Depth=2
	s_mov_b64 s[56:57], 0
	v_mov_b32_e32 v1, 0
                                        ; implicit-def: $sgpr58_sgpr59
	s_branch .LBB11_275
.LBB11_272:                             ;   in Loop: Header=BB11_275 Depth=3
	s_or_b64 exec, exec, s[66:67]
	v_mov_b32_e32 v7, 0
	s_orn2_b64 s[64:65], s[64:65], exec
.LBB11_273:                             ;   in Loop: Header=BB11_275 Depth=3
	s_or_b64 exec, exec, s[62:63]
	s_andn2_b64 vcc, s[58:59], exec
	s_and_b64 s[58:59], s[64:65], exec
	s_or_b64 s[58:59], vcc, s[58:59]
	v_mov_b32_e32 v1, v7
.LBB11_274:                             ;   in Loop: Header=BB11_275 Depth=3
	s_or_b64 exec, exec, s[60:61]
	s_waitcnt vmcnt(0) lgkmcnt(0)
	v_lshl_add_u64 v[8:9], v[58:59], 0, v[2:3]
	v_cmp_ge_u64_e32 vcc, v[8:9], v[4:5]
	s_xor_b64 s[60:61], s[58:59], -1
	s_or_b64 vcc, s[60:61], vcc
	s_and_b64 vcc, exec, vcc
	s_or_b64 s[56:57], vcc, s[56:57]
	s_andn2_b64 exec, exec, s[56:57]
	s_cbranch_execz .LBB11_279
.LBB11_275:                             ;   Parent Loop BB11_47 Depth=1
                                        ;     Parent Loop BB11_266 Depth=2
                                        ; =>    This Inner Loop Header: Depth=3
	s_sleep 1
	flat_load_dwordx2 v[58:59], v[42:43] sc0 sc1
	v_and_b32_e32 v7, 64, v62
	v_cmp_eq_u32_e32 vcc, 0, v7
	s_andn2_b64 s[58:59], s[58:59], exec
	s_and_saveexec_b64 s[60:61], vcc
	s_cbranch_execz .LBB11_274
; %bb.276:                              ;   in Loop: Header=BB11_275 Depth=3
	v_add_u32_e32 v7, 1, v1
	v_cmp_lt_i32_e32 vcc, s82, v1
	s_mov_b64 s[64:65], -1
	s_and_saveexec_b64 s[62:63], vcc
	s_cbranch_execz .LBB11_273
; %bb.277:                              ;   in Loop: Header=BB11_275 Depth=3
	s_trap 2
	ds_read_b64 v[8:9], v0
	s_waitcnt vmcnt(0) lgkmcnt(0)
	flat_load_dword v1, v[8:9] sc0 sc1
	s_waitcnt vmcnt(0) lgkmcnt(0)
	buffer_inv sc0 sc1
	v_cmp_ne_u32_e32 vcc, 0, v1
	s_and_saveexec_b64 s[66:67], vcc
	s_cbranch_execz .LBB11_272
; %bb.278:                              ;   in Loop: Header=BB11_275 Depth=3
	v_or_b32_e32 v62, 64, v62
	s_xor_b64 s[64:65], exec, -1
	ds_write_b32 v0, v1
	s_trap 2
	s_branch .LBB11_272
.LBB11_279:                             ;   in Loop: Header=BB11_266 Depth=2
	s_or_b64 exec, exec, s[56:57]
	v_and_b32_e32 v1, 12, v62
.LBB11_280:                             ;   in Loop: Header=BB11_266 Depth=2
	s_or_b64 exec, exec, s[54:55]
	v_cmp_eq_u32_e32 vcc, 0, v1
	s_orn2_b64 s[54:55], vcc, exec
	;;#ASMSTART
	s_wakeup
	;;#ASMEND
.LBB11_281:                             ;   in Loop: Header=BB11_266 Depth=2
	s_or_b64 exec, exec, s[26:27]
	s_xor_b64 s[26:27], s[54:55], -1
	v_min_i32_e32 v6, v6, v0
	s_and_saveexec_b64 s[54:55], s[26:27]
	s_cbranch_execz .LBB11_293
; %bb.282:                              ;   in Loop: Header=BB11_266 Depth=2
	v_and_b32_e32 v1, 0x108, v62
	v_cmp_ne_u32_e32 vcc, s83, v1
	v_and_b32_e32 v2, 7, v44
	s_and_saveexec_b64 s[26:27], vcc
	s_xor_b64 s[26:27], exec, s[26:27]
	s_andn2_saveexec_b64 s[26:27], s[26:27]
	s_cbranch_execz .LBB11_284
; %bb.283:                              ;   in Loop: Header=BB11_266 Depth=2
	v_ashrrev_i32_e32 v7, 31, v6
	v_mad_u64_u32 v[4:5], vcc, v2, 24, v[48:49]
	v_lshlrev_b64 v[8:9], 1, v[6:7]
	flat_store_dwordx2 v[4:5], v[8:9] offset:8
.LBB11_284:                             ;   in Loop: Header=BB11_266 Depth=2
	s_or_b64 exec, exec, s[26:27]
	v_and_b32_e32 v1, 0x100, v62
	v_cmp_ne_u32_e32 vcc, 0, v1
	s_mov_b64 s[26:27], -1
                                        ; implicit-def: $vgpr4_vgpr5
	s_and_saveexec_b64 s[56:57], vcc
	s_cbranch_execz .LBB11_288
; %bb.285:                              ;   in Loop: Header=BB11_266 Depth=2
	v_mad_u64_u32 v[8:9], s[26:27], v2, 24, v[48:49]
	v_mov_b32_e32 v4, v9
	v_mad_u64_u32 v[4:5], s[26:27], v3, 24, v[4:5]
	v_mov_b32_e32 v9, v4
	flat_load_dword v1, v[8:9]
                                        ; implicit-def: $vgpr4_vgpr5
	s_waitcnt vmcnt(0) lgkmcnt(0)
	v_cmp_ne_u32_e32 vcc, 1, v1
	v_cmp_eq_u32_e64 s[26:27], 1, v1
	s_and_saveexec_b64 s[58:59], s[26:27]
	s_cbranch_execz .LBB11_287
; %bb.286:                              ;   in Loop: Header=BB11_266 Depth=2
	flat_load_dword v4, v[8:9] offset:4 sc0 sc1
	s_waitcnt vmcnt(0) lgkmcnt(0)
	v_ashrrev_i32_e32 v5, 31, v4
	v_lshrrev_b64 v[4:5], 1, v[4:5]
.LBB11_287:                             ;   in Loop: Header=BB11_266 Depth=2
	s_or_b64 exec, exec, s[58:59]
	s_orn2_b64 s[26:27], vcc, exec
.LBB11_288:                             ;   in Loop: Header=BB11_266 Depth=2
	s_or_b64 exec, exec, s[56:57]
	s_and_saveexec_b64 vcc, s[26:27]
; %bb.289:                              ;   in Loop: Header=BB11_266 Depth=2
	v_mul_lo_u32 v1, v3, v40
	v_mul_lo_u32 v7, v2, v51
	v_mad_u64_u32 v[4:5], s[26:27], v2, v40, 0
	v_add3_u32 v5, v5, v7, v1
; %bb.290:                              ;   in Loop: Header=BB11_266 Depth=2
	s_or_b64 exec, exec, vcc
	v_and_b32_e32 v1, 0x2000, v62
	v_lshl_add_u64 v[4:5], v[4:5], 1, v[36:37]
	v_cmp_ne_u32_e32 vcc, 0, v1
	s_trap 2
	ds_write_b64 v0, v[4:5]
	s_and_saveexec_b64 s[26:27], vcc
	s_cbranch_execz .LBB11_292
; %bb.291:                              ;   in Loop: Header=BB11_266 Depth=2
	ds_read_b64 v[4:5], v0 offset:584
	s_waitcnt lgkmcnt(0)
	v_lshl_add_u64 v[4:5], v[4:5], 0, 1
	ds_write_b64 v0, v[4:5] offset:584
.LBB11_292:                             ;   in Loop: Header=BB11_266 Depth=2
	s_or_b64 exec, exec, s[26:27]
	v_lshl_add_u64 v[44:45], v[44:45], 0, 4
.LBB11_293:                             ;   in Loop: Header=BB11_266 Depth=2
	s_or_b64 exec, exec, s[54:55]
	s_and_saveexec_b64 s[26:27], s[6:7]
	s_cbranch_execz .LBB11_312
; %bb.294:                              ;   in Loop: Header=BB11_266 Depth=2
	s_and_saveexec_b64 vcc, s[40:41]
	s_xor_b64 s[54:55], exec, vcc
	s_cbranch_execz .LBB11_309
; %bb.295:                              ;   in Loop: Header=BB11_266 Depth=2
	s_and_saveexec_b64 s[56:57], s[14:15]
	s_cbranch_execz .LBB11_308
; %bb.296:                              ;   in Loop: Header=BB11_266 Depth=2
	s_mov_b64 s[60:61], exec
	v_mbcnt_lo_u32_b32 v1, s60, 0
	v_mbcnt_hi_u32_b32 v1, s61, v1
	v_cmp_eq_u32_e32 vcc, 0, v1
	s_waitcnt lgkmcnt(0)
	s_and_saveexec_b64 s[58:59], vcc
	s_cbranch_execz .LBB11_298
; %bb.297:                              ;   in Loop: Header=BB11_266 Depth=2
	s_bcnt1_i32_b64 vcc_lo, s[60:61]
	v_mov_b32_e32 v2, vcc_lo
	ds_add_u64 v0, v[2:3]
	s_trap 2
.LBB11_298:                             ;   in Loop: Header=BB11_266 Depth=2
	s_or_b64 exec, exec, s[58:59]
	s_trap 2
	ds_read_b64 v[4:5], v0
	v_lshl_add_u64 v[26:27], v[26:27], 0, v[52:53]
	s_waitcnt lgkmcnt(0)
	v_cmp_lt_u64_e32 vcc, v[4:5], v[26:27]
	s_and_saveexec_b64 s[58:59], vcc
	s_cbranch_execz .LBB11_307
; %bb.299:                              ;   in Loop: Header=BB11_266 Depth=2
	s_mov_b32 s70, 0
	s_mov_b64 s[60:61], 0
                                        ; implicit-def: $sgpr62_sgpr63
                                        ; implicit-def: $sgpr64_sgpr65
	s_branch .LBB11_301
.LBB11_300:                             ;   in Loop: Header=BB11_301 Depth=3
	s_or_b64 exec, exec, s[68:69]
	s_and_b64 vcc, exec, vcc
	s_or_b64 s[60:61], vcc, s[60:61]
	s_andn2_b64 vcc, s[62:63], exec
	s_and_b64 s[62:63], s[64:65], exec
	s_or_b64 s[62:63], vcc, s[62:63]
	s_andn2_b64 exec, exec, s[60:61]
	s_cbranch_execz .LBB11_305
.LBB11_301:                             ;   Parent Loop BB11_47 Depth=1
                                        ;     Parent Loop BB11_266 Depth=2
                                        ; =>    This Inner Loop Header: Depth=3
	s_add_i32 s70, s70, 1
	s_cmpk_lg_i32 s70, 0x2710
	s_cselect_b64 s[66:67], -1, 0
	s_and_b64 vcc, exec, s[66:67]
                                        ; implicit-def: $sgpr68_sgpr69
	s_cbranch_vccnz .LBB11_303
; %bb.302:                              ;   in Loop: Header=BB11_301 Depth=3
	s_trap 2
	ds_read_b64 v[4:5], v0
	s_andn2_b64 s[66:67], s[66:67], exec
	s_mov_b32 s70, 0
	s_mov_b64 s[68:69], -1
	s_waitcnt vmcnt(0) lgkmcnt(0)
	flat_load_dword v1, v[4:5] sc0 sc1
	s_waitcnt vmcnt(0) lgkmcnt(0)
	buffer_inv sc0 sc1
	v_cmp_eq_u32_e32 vcc, 0, v1
	s_and_b64 vcc, vcc, exec
	s_or_b64 s[66:67], s[66:67], vcc
.LBB11_303:                             ;   in Loop: Header=BB11_301 Depth=3
	s_andn2_b64 s[64:65], s[64:65], exec
	s_and_b64 s[68:69], s[68:69], exec
	s_mov_b64 vcc, -1
	s_or_b64 s[64:65], s[64:65], s[68:69]
	s_and_saveexec_b64 s[68:69], s[66:67]
	s_cbranch_execz .LBB11_300
; %bb.304:                              ;   in Loop: Header=BB11_301 Depth=3
	s_sleep 1
	s_trap 2
	ds_read_b64 v[4:5], v0
	s_andn2_b64 s[64:65], s[64:65], exec
	s_waitcnt lgkmcnt(0)
	v_cmp_ge_u64_e32 vcc, v[4:5], v[26:27]
	s_orn2_b64 vcc, vcc, exec
	s_branch .LBB11_300
.LBB11_305:                             ;   in Loop: Header=BB11_266 Depth=2
	s_or_b64 exec, exec, s[60:61]
	s_and_saveexec_b64 vcc, s[62:63]
	s_xor_b64 vcc, exec, vcc
	s_cbranch_execz .LBB11_307
; %bb.306:                              ;   in Loop: Header=BB11_266 Depth=2
	ds_write_b32 v0, v25
	s_trap 2
.LBB11_307:                             ;   in Loop: Header=BB11_266 Depth=2
	s_or_b64 exec, exec, s[58:59]
	;;#ASMSTART
	s_wakeup
	;;#ASMEND
.LBB11_308:                             ;   in Loop: Header=BB11_266 Depth=2
	s_or_b64 exec, exec, s[56:57]
.LBB11_309:                             ;   in Loop: Header=BB11_266 Depth=2
	s_andn2_saveexec_b64 vcc, s[54:55]
	s_cbranch_execz .LBB11_311
; %bb.310:                              ;   in Loop: Header=BB11_266 Depth=2
	s_waitcnt lgkmcnt(0)
	s_barrier
.LBB11_311:                             ;   in Loop: Header=BB11_266 Depth=2
	s_or_b64 exec, exec, vcc
.LBB11_312:                             ;   in Loop: Header=BB11_266 Depth=2
	s_or_b64 exec, exec, s[26:27]
	s_trap 2
	ds_read_b32 v1, v0
	v_and_b32_e32 v2, 0x4000, v62
	v_cmp_ne_u32_e32 vcc, 0, v2
	s_xor_b64 s[26:27], s[4:5], -1
	s_and_b64 vcc, s[26:27], vcc
	s_and_saveexec_b64 s[26:27], vcc
	s_cbranch_execz .LBB11_331
; %bb.313:                              ;   in Loop: Header=BB11_266 Depth=2
	s_and_saveexec_b64 vcc, s[40:41]
	s_xor_b64 s[54:55], exec, vcc
	s_cbranch_execz .LBB11_328
; %bb.314:                              ;   in Loop: Header=BB11_266 Depth=2
	s_and_saveexec_b64 s[56:57], s[14:15]
	s_cbranch_execz .LBB11_327
; %bb.315:                              ;   in Loop: Header=BB11_266 Depth=2
	s_mov_b64 s[60:61], exec
	v_mbcnt_lo_u32_b32 v2, s60, 0
	v_mbcnt_hi_u32_b32 v2, s61, v2
	v_cmp_eq_u32_e32 vcc, 0, v2
	s_waitcnt lgkmcnt(0)
	s_and_saveexec_b64 s[58:59], vcc
	s_cbranch_execz .LBB11_317
; %bb.316:                              ;   in Loop: Header=BB11_266 Depth=2
	s_bcnt1_i32_b64 vcc_lo, s[60:61]
	v_mov_b32_e32 v2, vcc_lo
	ds_add_u64 v0, v[2:3]
	s_trap 2
.LBB11_317:                             ;   in Loop: Header=BB11_266 Depth=2
	s_or_b64 exec, exec, s[58:59]
	s_trap 2
	ds_read_b64 v[4:5], v0
	v_lshl_add_u64 v[26:27], v[26:27], 0, v[52:53]
	s_waitcnt lgkmcnt(0)
	v_cmp_lt_u64_e32 vcc, v[4:5], v[26:27]
	s_and_saveexec_b64 s[58:59], vcc
	s_cbranch_execz .LBB11_326
; %bb.318:                              ;   in Loop: Header=BB11_266 Depth=2
	s_mov_b32 s70, 0
	s_mov_b64 s[60:61], 0
                                        ; implicit-def: $sgpr62_sgpr63
                                        ; implicit-def: $sgpr64_sgpr65
	s_branch .LBB11_320
.LBB11_319:                             ;   in Loop: Header=BB11_320 Depth=3
	s_or_b64 exec, exec, s[68:69]
	s_and_b64 vcc, exec, vcc
	s_or_b64 s[60:61], vcc, s[60:61]
	s_andn2_b64 vcc, s[62:63], exec
	s_and_b64 s[62:63], s[64:65], exec
	s_or_b64 s[62:63], vcc, s[62:63]
	s_andn2_b64 exec, exec, s[60:61]
	s_cbranch_execz .LBB11_324
.LBB11_320:                             ;   Parent Loop BB11_47 Depth=1
                                        ;     Parent Loop BB11_266 Depth=2
                                        ; =>    This Inner Loop Header: Depth=3
	s_add_i32 s70, s70, 1
	s_cmpk_lg_i32 s70, 0x2710
	s_cselect_b64 s[66:67], -1, 0
	s_and_b64 vcc, exec, s[66:67]
                                        ; implicit-def: $sgpr68_sgpr69
	s_cbranch_vccnz .LBB11_322
; %bb.321:                              ;   in Loop: Header=BB11_320 Depth=3
	s_trap 2
	ds_read_b64 v[4:5], v0
	s_andn2_b64 s[66:67], s[66:67], exec
	s_mov_b32 s70, 0
	s_mov_b64 s[68:69], -1
	s_waitcnt vmcnt(0) lgkmcnt(0)
	flat_load_dword v2, v[4:5] sc0 sc1
	s_waitcnt vmcnt(0) lgkmcnt(0)
	buffer_inv sc0 sc1
	v_cmp_eq_u32_e32 vcc, 0, v2
	s_and_b64 vcc, vcc, exec
	s_or_b64 s[66:67], s[66:67], vcc
.LBB11_322:                             ;   in Loop: Header=BB11_320 Depth=3
	s_andn2_b64 s[64:65], s[64:65], exec
	s_and_b64 s[68:69], s[68:69], exec
	s_mov_b64 vcc, -1
	s_or_b64 s[64:65], s[64:65], s[68:69]
	s_and_saveexec_b64 s[68:69], s[66:67]
	s_cbranch_execz .LBB11_319
; %bb.323:                              ;   in Loop: Header=BB11_320 Depth=3
	s_sleep 1
	s_trap 2
	ds_read_b64 v[4:5], v0
	s_andn2_b64 s[64:65], s[64:65], exec
	s_waitcnt lgkmcnt(0)
	v_cmp_ge_u64_e32 vcc, v[4:5], v[26:27]
	s_orn2_b64 vcc, vcc, exec
	s_branch .LBB11_319
.LBB11_324:                             ;   in Loop: Header=BB11_266 Depth=2
	s_or_b64 exec, exec, s[60:61]
	s_and_saveexec_b64 vcc, s[62:63]
	s_xor_b64 vcc, exec, vcc
	s_cbranch_execz .LBB11_326
; %bb.325:                              ;   in Loop: Header=BB11_266 Depth=2
	ds_write_b32 v0, v25
	s_trap 2
.LBB11_326:                             ;   in Loop: Header=BB11_266 Depth=2
	s_or_b64 exec, exec, s[58:59]
	;;#ASMSTART
	s_wakeup
	;;#ASMEND
.LBB11_327:                             ;   in Loop: Header=BB11_266 Depth=2
	s_or_b64 exec, exec, s[56:57]
.LBB11_328:                             ;   in Loop: Header=BB11_266 Depth=2
	s_andn2_saveexec_b64 vcc, s[54:55]
	s_cbranch_execz .LBB11_330
; %bb.329:                              ;   in Loop: Header=BB11_266 Depth=2
	s_waitcnt lgkmcnt(0)
	s_barrier
.LBB11_330:                             ;   in Loop: Header=BB11_266 Depth=2
	s_or_b64 exec, exec, vcc
.LBB11_331:                             ;   in Loop: Header=BB11_266 Depth=2
	s_or_b64 exec, exec, s[26:27]
	s_trap 2
	ds_read_b64 v[4:5], v0
	s_waitcnt lgkmcnt(0)
	v_readfirstlane_b32 s26, v4
	v_readfirstlane_b32 s27, v5
	s_cmp_eq_u64 s[26:27], 0
	s_cselect_b64 s[26:27], -1, 0
	s_or_b64 vcc, s[26:27], s[26:27]
	s_mov_b64 s[26:27], 0
	s_and_b64 vcc, exec, vcc
	s_cbranch_vccnz .LBB11_338
; %bb.332:                              ;   in Loop: Header=BB11_266 Depth=2
	s_mov_b64 s[54:55], -1
	s_and_saveexec_b64 s[26:27], s[20:21]
	s_cbranch_execz .LBB11_334
; %bb.333:                              ;   in Loop: Header=BB11_266 Depth=2
	ds_read_b32 v2, v0 offset:720
	s_waitcnt lgkmcnt(0)
	v_and_b32_e32 v2, 15, v2
	v_cmp_eq_u32_e32 vcc, 0, v2
	s_orn2_b64 s[54:55], vcc, exec
.LBB11_334:                             ;   in Loop: Header=BB11_266 Depth=2
	s_or_b64 exec, exec, s[26:27]
	s_and_saveexec_b64 s[26:27], s[18:19]
	s_cbranch_execz .LBB11_336
; %bb.335:                              ;   in Loop: Header=BB11_266 Depth=2
	ds_read_b32 v2, v0 offset:784
	s_waitcnt lgkmcnt(0)
	v_and_b32_e32 v2, 15, v2
	v_cmp_eq_u32_e32 vcc, 0, v2
	s_and_b64 vcc, s[54:55], vcc
	s_andn2_b64 s[54:55], s[54:55], exec
	s_and_b64 vcc, vcc, exec
	s_or_b64 s[54:55], s[54:55], vcc
.LBB11_336:                             ;   in Loop: Header=BB11_266 Depth=2
	s_or_b64 exec, exec, s[26:27]
	v_cmp_eq_u32_e32 vcc, 0, v1
	v_mov_b32_e32 v7, 0
	s_mov_b64 s[26:27], -1
	v_cndmask_b32_e32 v1, 0, v6, vcc
	s_xor_b64 vcc, s[54:55], -1
	v_cndmask_b32_e64 v4, 0, 1, vcc
	v_lshlrev_b32_e32 v2, 1, v1
	;;#ASMSTART
	;;#ASMEND
	s_nop 0
	v_cmp_ne_u32_e32 vcc, 0, v4
	s_cbranch_vccz .LBB11_343
; %bb.337:                              ;   in Loop: Header=BB11_266 Depth=2
	v_mov_b32_e32 v14, v60
	v_mov_b32_e32 v4, v50
	s_and_saveexec_b64 s[54:55], s[26:27]
	s_cbranch_execnz .LBB11_356
	s_branch .LBB11_364
.LBB11_338:                             ;   in Loop: Header=BB11_266 Depth=2
	s_and_saveexec_b64 s[54:55], s[6:7]
	s_cbranch_execnz .LBB11_365
.LBB11_339:                             ;   in Loop: Header=BB11_266 Depth=2
	s_or_b64 exec, exec, s[54:55]
                                        ; implicit-def: $vgpr1
	s_and_saveexec_b64 vcc, s[22:23]
	s_xor_b64 s[54:55], exec, vcc
	s_cbranch_execz .LBB11_383
.LBB11_340:                             ;   in Loop: Header=BB11_266 Depth=2
	v_and_b32_e32 v2, 16, v62
	v_cmp_ne_u32_e32 vcc, 0, v2
	v_and_b32_e32 v1, 16, v62
	s_and_b64 vcc, vcc, s[26:27]
	s_and_saveexec_b64 s[26:27], vcc
	s_cbranch_execz .LBB11_342
; %bb.341:                              ;   in Loop: Header=BB11_266 Depth=2
	v_mov_b32_e32 v1, 1
	buffer_wbl2 sc1
	s_waitcnt vmcnt(0) lgkmcnt(0)
	buffer_inv sc1
.LBB11_342:                             ;   in Loop: Header=BB11_266 Depth=2
	s_or_b64 exec, exec, s[26:27]
	s_andn2_saveexec_b64 s[26:27], s[54:55]
	s_cbranch_execz .LBB11_402
	s_branch .LBB11_384
.LBB11_343:                             ;   in Loop: Header=BB11_266 Depth=2
	v_ashrrev_i32_e32 v4, 31, v2
	v_lshrrev_b32_e32 v4, 21, v4
	v_add_u32_e32 v4, v2, v4
	v_ashrrev_i32_e32 v7, 11, v4
	v_sub_u32_e32 v13, v7, v50
	v_cmp_lt_i32_e32 vcc, 0, v13
	s_and_saveexec_b64 s[26:27], vcc
	s_cbranch_execz .LBB11_347
; %bb.344:                              ;   in Loop: Header=BB11_266 Depth=2
	s_trap 2
	ds_read_b128 v[8:11], v0
	ds_read_b64 v[14:15], v0
	s_waitcnt vmcnt(0)
	v_accvgpr_read_b32 v16, a38
	v_accvgpr_write_b32 a12, v26
	v_accvgpr_read_b32 v17, a39
	v_accvgpr_write_b32 a13, v27
	s_waitcnt lgkmcnt(1)
	v_lshl_add_u64 v[4:5], v[8:9], 0, v[16:17]
	v_lshl_add_u64 v[8:9], v[10:11], 0, v[16:17]
	s_waitcnt lgkmcnt(0)
	v_lshl_add_u64 v[10:11], v[14:15], 0, v[16:17]
	s_mov_b64 s[54:55], 0
.LBB11_345:                             ;   Parent Loop BB11_47 Depth=1
                                        ;     Parent Loop BB11_266 Depth=2
                                        ; =>    This Inner Loop Header: Depth=3
	global_load_dwordx4 v[14:17], v[8:9], off nt
	global_load_dwordx4 v[18:21], v[4:5], off nt
	global_load_dwordx4 v[22:25], v[4:5], off offset:1024 nt
	global_load_dwordx4 v[30:33], v[8:9], off offset:1024 nt
	scratch_load_dwordx2 v[26:27], off, s33 offset:152 ; 8-byte Folded Reload
	v_sub_u32_e32 v13, v13, v52
	v_cmp_gt_i32_e32 vcc, 1, v13
	s_or_b64 s[54:55], vcc, s[54:55]
	s_waitcnt vmcnt(3)
	v_mul_f16_e32 v12, v18, v14
	v_mul_f16_sdwa v14, v18, v14 dst_sel:WORD_1 dst_unused:UNUSED_PAD src0_sel:WORD_1 src1_sel:WORD_1
	v_mul_f16_e32 v18, v19, v15
	s_waitcnt vmcnt(0)
	v_lshl_add_u64 v[4:5], v[4:5], 0, v[26:27]
	scratch_load_dwordx2 v[26:27], off, s33 offset:152 ; 8-byte Folded Reload
	v_mul_f16_sdwa v15, v19, v15 dst_sel:WORD_1 dst_unused:UNUSED_PAD src0_sel:WORD_1 src1_sel:WORD_1
	v_mul_f16_e32 v19, v20, v16
	v_mul_f16_sdwa v16, v20, v16 dst_sel:WORD_1 dst_unused:UNUSED_PAD src0_sel:WORD_1 src1_sel:WORD_1
	v_mul_f16_e32 v20, v21, v17
	;; [unrolled: 2-line block ×4, first 2 shown]
	v_mul_f16_sdwa v25, v25, v33 dst_sel:WORD_1 dst_unused:UNUSED_PAD src0_sel:WORD_1 src1_sel:WORD_1
	v_or_b32_e32 v15, v15, v18
	v_or_b32_e32 v14, v14, v12
	;; [unrolled: 1-line block ×6, first 2 shown]
	s_waitcnt vmcnt(0)
	v_lshl_add_u64 v[8:9], v[8:9], 0, v[26:27]
	v_mul_f16_e32 v26, v23, v31
	v_mul_f16_sdwa v23, v23, v31 dst_sel:WORD_1 dst_unused:UNUSED_PAD src0_sel:WORD_1 src1_sel:WORD_1
	v_mul_f16_e32 v27, v24, v32
	v_mul_f16_sdwa v24, v24, v32 dst_sel:WORD_1 dst_unused:UNUSED_PAD src0_sel:WORD_1 src1_sel:WORD_1
	v_or_b32_e32 v19, v23, v26
	v_or_b32_e32 v20, v24, v27
	global_store_dwordx4 v[10:11], v[14:17], off nt
	global_store_dwordx4 v[10:11], v[18:21], off offset:1024 nt
	scratch_load_dwordx2 v[20:21], off, s33 offset:152 ; 8-byte Folded Reload
	s_waitcnt vmcnt(0)
	v_lshl_add_u64 v[10:11], v[10:11], 0, v[20:21]
	s_andn2_b64 exec, exec, s[54:55]
	s_cbranch_execnz .LBB11_345
; %bb.346:                              ;   in Loop: Header=BB11_266 Depth=2
	s_or_b64 exec, exec, s[54:55]
	v_accvgpr_read_b32 v33, a29
	v_accvgpr_read_b32 v30, a32
	v_accvgpr_read_b32 v27, a13
	v_accvgpr_read_b32 v22, a36
	v_accvgpr_read_b32 v18, a42
	v_accvgpr_read_b32 v32, a28
	v_accvgpr_read_b32 v31, a33
	v_accvgpr_read_b32 v26, a12
	v_accvgpr_read_b32 v23, a37
	v_accvgpr_read_b32 v19, a43
	v_mov_b32_e32 v25, 1
.LBB11_347:                             ;   in Loop: Header=BB11_266 Depth=2
	s_or_b64 exec, exec, s[26:27]
	v_lshlrev_b32_e32 v12, 11, v7
	v_cmp_ne_u32_e32 vcc, v2, v12
	s_mov_b64 s[26:27], 0
	v_mov_b32_e32 v7, 0
                                        ; implicit-def: $vgpr14
                                        ; implicit-def: $vgpr4
	s_and_saveexec_b64 s[54:55], vcc
	s_cbranch_execz .LBB11_355
; %bb.348:                              ;   in Loop: Header=BB11_266 Depth=2
	v_lshlrev_b32_e32 v4, 6, v13
	v_accvgpr_read_b32 v7, a31
	v_sub_u32_e32 v4, v7, v4
	v_sub_u32_e32 v5, v2, v12
	v_ashrrev_i32_e32 v7, 31, v4
	v_lshrrev_b32_e32 v7, 26, v7
	v_ashrrev_i32_e32 v9, 31, v5
	v_add_u32_e32 v7, v4, v7
	v_lshrrev_b32_e32 v9, 22, v9
	v_ashrrev_i32_e32 v8, 6, v7
	v_and_b32_e32 v7, 0xffffffc0, v7
	v_add_u32_e32 v9, v5, v9
	v_sub_u32_e32 v13, v4, v7
	v_and_b32_e32 v15, 0xfffffc00, v9
	v_lshlrev_b32_e32 v4, 4, v13
	s_waitcnt vmcnt(0)
	v_sub_u32_e32 v17, v5, v15
	v_lshl_add_u32 v4, v8, 10, v4
	v_ashrrev_i32_e32 v10, 10, v9
	v_cmp_lt_i32_e32 vcc, 15, v17
	v_sub_u32_e32 v7, v5, v4
	s_nop 0
	v_addc_co_u32_e64 v5, s[26:27], 0, v10, vcc
	v_sub_u32_e32 v16, v5, v8
	v_cmp_lt_i32_e64 s[26:27], 15, v7
	s_and_saveexec_b64 s[56:57], s[26:27]
	s_cbranch_execz .LBB11_352
; %bb.349:                              ;   in Loop: Header=BB11_266 Depth=2
	s_trap 2
	ds_read_b128 v[8:11], v0
	ds_read_b64 v[18:19], v0
	v_add_u32_e32 v20, v4, v12
	v_ashrrev_i32_e32 v21, 31, v20
	s_mov_b64 s[58:59], 0
	s_waitcnt lgkmcnt(1)
	v_lshl_add_u64 v[4:5], v[8:9], 0, v[20:21]
	v_lshl_add_u64 v[8:9], v[10:11], 0, v[20:21]
	s_waitcnt lgkmcnt(0)
	v_lshl_add_u64 v[10:11], v[18:19], 0, v[20:21]
.LBB11_350:                             ;   Parent Loop BB11_47 Depth=1
                                        ;     Parent Loop BB11_266 Depth=2
                                        ; =>    This Inner Loop Header: Depth=3
	global_load_dwordx4 v[18:21], v[4:5], off nt
	global_load_dwordx4 v[22:25], v[8:9], off nt
	v_sub_u32_e32 v7, v7, v61
	v_cmp_gt_i32_e64 s[26:27], 16, v7
	v_lshl_add_u64 v[4:5], v[4:5], 0, v[28:29]
	v_lshl_add_u64 v[8:9], v[8:9], 0, v[28:29]
	v_sub_u32_e32 v16, v16, v52
	s_or_b64 s[58:59], s[26:27], s[58:59]
	s_waitcnt vmcnt(0)
	v_mul_f16_e32 v14, v18, v22
	v_mul_f16_sdwa v18, v18, v22 dst_sel:WORD_1 dst_unused:UNUSED_PAD src0_sel:WORD_1 src1_sel:WORD_1
	v_mul_f16_e32 v22, v19, v23
	v_mul_f16_sdwa v19, v19, v23 dst_sel:WORD_1 dst_unused:UNUSED_PAD src0_sel:WORD_1 src1_sel:WORD_1
	;; [unrolled: 2-line block ×4, first 2 shown]
	v_or_b32_e32 v19, v19, v22
	v_or_b32_e32 v18, v18, v14
	;; [unrolled: 1-line block ×4, first 2 shown]
	global_store_dwordx4 v[10:11], v[18:21], off nt
	v_lshl_add_u64 v[10:11], v[10:11], 0, v[28:29]
	s_andn2_b64 exec, exec, s[58:59]
	s_cbranch_execnz .LBB11_350
; %bb.351:                              ;   in Loop: Header=BB11_266 Depth=2
	s_or_b64 exec, exec, s[58:59]
	scratch_load_dwordx2 v[20:21], off, s33 offset:152 ; 8-byte Folded Reload
	v_accvgpr_read_b32 v22, a36
	v_accvgpr_read_b32 v18, a42
	;; [unrolled: 1-line block ×4, first 2 shown]
	v_mov_b32_e32 v25, 1
.LBB11_352:                             ;   in Loop: Header=BB11_266 Depth=2
	s_or_b64 exec, exec, s[56:57]
	v_and_b32_e32 v5, 14, v2
	v_cndmask_b32_e32 v2, v17, v5, vcc
	v_cmp_ne_u32_e64 s[26:27], 0, v2
	s_mov_b64 s[56:57], 0
	v_mov_b32_e32 v7, 0
                                        ; implicit-def: $vgpr14
                                        ; implicit-def: $vgpr4
	s_and_saveexec_b64 s[58:59], s[26:27]
	s_cbranch_execz .LBB11_354
; %bb.353:                              ;   in Loop: Header=BB11_266 Depth=2
	v_sub_u32_e32 v4, v17, v5
	v_cndmask_b32_e32 v4, 0, v4, vcc
	v_cmp_lt_i32_e32 vcc, 0, v16
	v_add3_u32 v7, v15, v12, v4
	s_mov_b64 s[56:57], exec
	v_cndmask_b32_e32 v4, 0, v52, vcc
	v_sub_u32_e32 v4, v4, v16
	v_lshl_add_u32 v14, v4, 6, v13
	v_ashrrev_i32_e32 v4, 31, v14
	v_lshrrev_b32_e32 v4, 26, v4
	v_add_u32_e32 v4, v14, v4
	v_ashrrev_i32_e32 v4, 6, v4
.LBB11_354:                             ;   in Loop: Header=BB11_266 Depth=2
	s_or_b64 exec, exec, s[58:59]
	s_and_b64 s[26:27], s[56:57], exec
.LBB11_355:                             ;   in Loop: Header=BB11_266 Depth=2
	s_or_b64 exec, exec, s[54:55]
	s_and_saveexec_b64 s[54:55], s[26:27]
	s_cbranch_execz .LBB11_364
.LBB11_356:                             ;   in Loop: Header=BB11_266 Depth=2
	v_ashrrev_i32_e32 v5, 31, v2
	v_lshrrev_b32_e32 v5, 22, v5
	v_add_u32_e32 v5, v2, v5
	s_waitcnt vmcnt(0)
	v_ashrrev_i32_e32 v17, 10, v5
	v_sub_u32_e32 v15, v17, v4
	v_ashrrev_i32_e32 v5, 31, v14
	v_cmp_lt_i32_e32 vcc, 0, v15
	v_lshrrev_b32_e32 v16, 26, v5
	s_and_saveexec_b64 s[56:57], vcc
	s_cbranch_execz .LBB11_360
; %bb.357:                              ;   in Loop: Header=BB11_266 Depth=2
	v_add_u32_e32 v5, v14, v16
	v_and_b32_e32 v5, 0x7fffffc0, v5
	v_sub_u32_e32 v5, v14, v5
	s_trap 2
	v_lshlrev_b32_e32 v12, 1, v5
	ds_read_b128 v[8:11], v0
	v_lshlrev_b32_e32 v13, 10, v4
	ds_read_b64 v[4:5], v0
	v_add3_u32 v12, v12, v7, v13
	v_accvgpr_write_b32 a12, v44
	v_ashrrev_i32_e32 v13, 31, v12
	v_mov_b64_e32 v[56:57], v[26:27]
	s_waitcnt lgkmcnt(0)
	v_lshl_add_u64 v[4:5], v[4:5], 0, s[52:53]
	v_accvgpr_write_b32 a13, v45
	v_lshl_add_u64 v[8:9], v[8:9], 0, v[12:13]
	v_lshl_add_u64 v[10:11], v[10:11], 0, v[12:13]
	;; [unrolled: 1-line block ×3, first 2 shown]
	s_mov_b64 s[58:59], 0
.LBB11_358:                             ;   Parent Loop BB11_47 Depth=1
                                        ;     Parent Loop BB11_266 Depth=2
                                        ; =>    This Inner Loop Header: Depth=3
	flat_load_ushort v32, v[8:9] nt
	flat_load_ushort v33, v[8:9] offset:128 nt
	flat_load_ushort v34, v[8:9] offset:256 nt
	;; [unrolled: 1-line block ×7, first 2 shown]
	flat_load_ushort v48, v[10:11] nt
	flat_load_ushort v49, v[10:11] offset:128 nt
	flat_load_ushort v50, v[10:11] offset:256 nt
	;; [unrolled: 1-line block ×7, first 2 shown]
	v_add_co_u32_e32 v4, vcc, s84, v12
	v_sub_u32_e32 v15, v15, v52
	s_nop 0
	v_addc_co_u32_e32 v5, vcc, -1, v13, vcc
	v_add_co_u32_e32 v18, vcc, s85, v12
	v_cmp_gt_i32_e64 s[26:27], 1, v15
	s_nop 0
	v_addc_co_u32_e32 v19, vcc, -1, v13, vcc
	v_add_co_u32_e32 v20, vcc, s86, v12
	v_lshl_add_u64 v[8:9], v[8:9], 0, v[28:29]
	s_nop 0
	v_addc_co_u32_e32 v21, vcc, -1, v13, vcc
	v_add_co_u32_e32 v22, vcc, 0xfffffe00, v12
	v_lshl_add_u64 v[10:11], v[10:11], 0, v[28:29]
	s_nop 0
	v_addc_co_u32_e32 v23, vcc, -1, v13, vcc
	v_add_co_u32_e32 v24, vcc, 0xfffffe80, v12
	s_or_b64 s[58:59], s[26:27], s[58:59]
	s_nop 0
	v_addc_co_u32_e32 v25, vcc, -1, v13, vcc
	v_add_co_u32_e32 v26, vcc, 0xffffff00, v12
	s_waitcnt vmcnt(0) lgkmcnt(0)
	v_mul_f16_e32 v32, v32, v48
	v_addc_co_u32_e32 v27, vcc, -1, v13, vcc
	v_add_co_u32_e32 v30, vcc, 0xffffff80, v12
	v_mul_f16_e32 v33, v33, v49
	s_nop 0
	v_addc_co_u32_e32 v31, vcc, -1, v13, vcc
	v_mul_f16_e32 v34, v34, v50
	v_mul_f16_e32 v35, v35, v51
	;; [unrolled: 1-line block ×6, first 2 shown]
	flat_store_short v[4:5], v32 nt
	flat_store_short v[18:19], v33 nt
	;; [unrolled: 1-line block ×8, first 2 shown]
	v_lshl_add_u64 v[12:13], v[12:13], 0, v[28:29]
	s_andn2_b64 exec, exec, s[58:59]
	s_cbranch_execnz .LBB11_358
; %bb.359:                              ;   in Loop: Header=BB11_266 Depth=2
	s_or_b64 exec, exec, s[58:59]
	scratch_load_dwordx2 v[20:21], off, s33 offset:152 ; 8-byte Folded Reload
	v_accvgpr_read_b32 v45, a13
	v_accvgpr_read_b32 v49, a15
	;; [unrolled: 1-line block ×20, first 2 shown]
	v_mov_b64_e32 v[26:27], v[56:57]
	v_accvgpr_read_b32 v23, a37
	v_accvgpr_read_b32 v19, a43
	v_mov_b32_e32 v25, 1
.LBB11_360:                             ;   in Loop: Header=BB11_266 Depth=2
	s_or_b64 exec, exec, s[56:57]
	v_lshlrev_b32_e32 v4, 10, v17
	v_cmp_ne_u32_e32 vcc, v2, v4
	s_and_b64 exec, exec, vcc
	s_cbranch_execz .LBB11_364
; %bb.361:                              ;   in Loop: Header=BB11_266 Depth=2
	v_add_u32_e32 v5, v14, v16
	v_and_b32_e32 v5, 0xffffffc0, v5
	v_sub_u32_e32 v5, v14, v5
	v_lshlrev_b32_e32 v8, 6, v15
	v_sub_u32_e32 v5, v5, v8
	v_ashrrev_i32_e32 v8, 31, v5
	v_lshrrev_b32_e32 v8, 26, v8
	v_add_u32_e32 v8, v5, v8
	v_and_b32_e32 v9, 0x7fffffc0, v8
	v_sub_u32_e32 v5, v5, v9
	v_lshlrev_b32_e32 v8, 1, v8
	v_and_b32_e32 v8, 0xffffff80, v8
	v_lshlrev_b32_e32 v5, 1, v5
	v_add3_u32 v4, v8, v5, v4
	v_sub_u32_e32 v2, v2, v4
	v_cmp_lt_i32_e32 vcc, 1, v2
	s_and_b64 exec, exec, vcc
	s_cbranch_execz .LBB11_364
; %bb.362:                              ;   in Loop: Header=BB11_266 Depth=2
	s_trap 2
	ds_read_b128 v[8:11], v0
	ds_read_b64 v[12:13], v0
	v_add_u32_e32 v14, v4, v7
	v_ashrrev_i32_e32 v15, 31, v14
	s_mov_b64 s[26:27], 0
	s_waitcnt lgkmcnt(0)
	v_lshl_add_u64 v[4:5], v[8:9], 0, v[14:15]
	v_lshl_add_u64 v[8:9], v[10:11], 0, v[14:15]
	;; [unrolled: 1-line block ×3, first 2 shown]
.LBB11_363:                             ;   Parent Loop BB11_47 Depth=1
                                        ;     Parent Loop BB11_266 Depth=2
                                        ; =>    This Inner Loop Header: Depth=3
	flat_load_ushort v7, v[4:5] nt
	flat_load_ushort v12, v[8:9] nt
	v_sub_u32_e32 v2, v2, v41
	v_cmp_gt_i32_e32 vcc, 2, v2
	v_lshl_add_u64 v[4:5], v[4:5], 0, v[22:23]
	v_lshl_add_u64 v[8:9], v[8:9], 0, v[22:23]
	s_or_b64 s[26:27], vcc, s[26:27]
	s_waitcnt vmcnt(0) lgkmcnt(0)
	v_mul_f16_e32 v7, v7, v12
	flat_store_short v[10:11], v7 nt
	v_lshl_add_u64 v[10:11], v[10:11], 0, v[22:23]
	s_andn2_b64 exec, exec, s[26:27]
	s_cbranch_execnz .LBB11_363
.LBB11_364:                             ;   in Loop: Header=BB11_266 Depth=2
	s_or_b64 exec, exec, s[54:55]
	scratch_load_dwordx2 v[16:17], off, s33 offset:160 ; 8-byte Folded Reload
	v_accvgpr_read_b32 v12, a44
	v_cmp_lt_i32_e64 s[26:27], 0, v1
	v_accvgpr_read_b32 v13, a45
	s_and_saveexec_b64 s[54:55], s[6:7]
	s_cbranch_execz .LBB11_339
.LBB11_365:                             ;   in Loop: Header=BB11_266 Depth=2
	s_and_saveexec_b64 vcc, s[40:41]
	s_xor_b64 s[56:57], exec, vcc
	s_cbranch_execz .LBB11_380
; %bb.366:                              ;   in Loop: Header=BB11_266 Depth=2
	s_and_saveexec_b64 s[58:59], s[14:15]
	s_cbranch_execz .LBB11_379
; %bb.367:                              ;   in Loop: Header=BB11_266 Depth=2
	s_mov_b64 s[62:63], exec
	v_mbcnt_lo_u32_b32 v1, s62, 0
	v_mbcnt_hi_u32_b32 v1, s63, v1
	v_cmp_eq_u32_e32 vcc, 0, v1
	s_waitcnt lgkmcnt(0)
	s_and_saveexec_b64 s[60:61], vcc
	s_cbranch_execz .LBB11_369
; %bb.368:                              ;   in Loop: Header=BB11_266 Depth=2
	s_bcnt1_i32_b64 vcc_lo, s[62:63]
	v_mov_b32_e32 v2, vcc_lo
	ds_add_u64 v0, v[2:3]
	s_trap 2
.LBB11_369:                             ;   in Loop: Header=BB11_266 Depth=2
	s_or_b64 exec, exec, s[60:61]
	s_trap 2
	ds_read_b64 v[4:5], v0
	v_lshl_add_u64 v[26:27], v[26:27], 0, v[52:53]
	s_waitcnt lgkmcnt(0)
	v_cmp_lt_u64_e32 vcc, v[4:5], v[26:27]
	s_and_saveexec_b64 s[60:61], vcc
	s_cbranch_execz .LBB11_378
; %bb.370:                              ;   in Loop: Header=BB11_266 Depth=2
	s_mov_b32 s88, 0
	s_mov_b64 s[62:63], 0
                                        ; implicit-def: $sgpr64_sgpr65
                                        ; implicit-def: $sgpr66_sgpr67
	s_branch .LBB11_372
.LBB11_371:                             ;   in Loop: Header=BB11_372 Depth=3
	s_or_b64 exec, exec, s[70:71]
	s_and_b64 vcc, exec, vcc
	s_or_b64 s[62:63], vcc, s[62:63]
	s_andn2_b64 vcc, s[64:65], exec
	s_and_b64 s[64:65], s[66:67], exec
	s_or_b64 s[64:65], vcc, s[64:65]
	s_andn2_b64 exec, exec, s[62:63]
	s_cbranch_execz .LBB11_376
.LBB11_372:                             ;   Parent Loop BB11_47 Depth=1
                                        ;     Parent Loop BB11_266 Depth=2
                                        ; =>    This Inner Loop Header: Depth=3
	s_add_i32 s88, s88, 1
	s_cmpk_lg_i32 s88, 0x2710
	s_cselect_b64 s[68:69], -1, 0
	s_and_b64 vcc, exec, s[68:69]
                                        ; implicit-def: $sgpr70_sgpr71
	s_cbranch_vccnz .LBB11_374
; %bb.373:                              ;   in Loop: Header=BB11_372 Depth=3
	s_trap 2
	ds_read_b64 v[4:5], v0
	s_andn2_b64 s[68:69], s[68:69], exec
	s_mov_b32 s88, 0
	s_mov_b64 s[70:71], -1
	s_waitcnt vmcnt(0) lgkmcnt(0)
	flat_load_dword v1, v[4:5] sc0 sc1
	s_waitcnt vmcnt(0) lgkmcnt(0)
	buffer_inv sc0 sc1
	v_cmp_eq_u32_e32 vcc, 0, v1
	s_and_b64 vcc, vcc, exec
	s_or_b64 s[68:69], s[68:69], vcc
.LBB11_374:                             ;   in Loop: Header=BB11_372 Depth=3
	s_andn2_b64 s[66:67], s[66:67], exec
	s_and_b64 s[70:71], s[70:71], exec
	s_mov_b64 vcc, -1
	s_or_b64 s[66:67], s[66:67], s[70:71]
	s_and_saveexec_b64 s[70:71], s[68:69]
	s_cbranch_execz .LBB11_371
; %bb.375:                              ;   in Loop: Header=BB11_372 Depth=3
	s_sleep 1
	s_trap 2
	ds_read_b64 v[4:5], v0
	s_andn2_b64 s[66:67], s[66:67], exec
	s_waitcnt lgkmcnt(0)
	v_cmp_ge_u64_e32 vcc, v[4:5], v[26:27]
	s_orn2_b64 vcc, vcc, exec
	s_branch .LBB11_371
.LBB11_376:                             ;   in Loop: Header=BB11_266 Depth=2
	s_or_b64 exec, exec, s[62:63]
	s_and_saveexec_b64 vcc, s[64:65]
	s_xor_b64 vcc, exec, vcc
	s_cbranch_execz .LBB11_378
; %bb.377:                              ;   in Loop: Header=BB11_266 Depth=2
	ds_write_b32 v0, v25
	s_trap 2
.LBB11_378:                             ;   in Loop: Header=BB11_266 Depth=2
	s_or_b64 exec, exec, s[60:61]
	;;#ASMSTART
	s_wakeup
	;;#ASMEND
.LBB11_379:                             ;   in Loop: Header=BB11_266 Depth=2
	s_or_b64 exec, exec, s[58:59]
.LBB11_380:                             ;   in Loop: Header=BB11_266 Depth=2
	s_andn2_saveexec_b64 vcc, s[56:57]
	s_cbranch_execz .LBB11_382
; %bb.381:                              ;   in Loop: Header=BB11_266 Depth=2
	s_waitcnt lgkmcnt(0)
	s_barrier
.LBB11_382:                             ;   in Loop: Header=BB11_266 Depth=2
	s_or_b64 exec, exec, vcc
	s_or_b64 exec, exec, s[54:55]
                                        ; implicit-def: $vgpr1
	s_and_saveexec_b64 vcc, s[22:23]
	s_xor_b64 s[54:55], exec, vcc
	s_cbranch_execnz .LBB11_340
.LBB11_383:                             ;   in Loop: Header=BB11_266 Depth=2
	s_andn2_saveexec_b64 s[26:27], s[54:55]
	s_cbranch_execz .LBB11_402
.LBB11_384:                             ;   in Loop: Header=BB11_266 Depth=2
	s_and_saveexec_b64 vcc, s[40:41]
	s_xor_b64 s[54:55], exec, vcc
	s_cbranch_execz .LBB11_399
; %bb.385:                              ;   in Loop: Header=BB11_266 Depth=2
	s_and_saveexec_b64 s[56:57], s[14:15]
	s_cbranch_execz .LBB11_398
; %bb.386:                              ;   in Loop: Header=BB11_266 Depth=2
	s_mov_b64 s[60:61], exec
	v_mbcnt_lo_u32_b32 v1, s60, 0
	v_mbcnt_hi_u32_b32 v1, s61, v1
	v_cmp_eq_u32_e32 vcc, 0, v1
	;;#ASMSTART
	s_waitcnt lgkmcnt(0) vmcnt(0)
	;;#ASMEND
	s_and_saveexec_b64 s[58:59], vcc
	s_cbranch_execz .LBB11_388
; %bb.387:                              ;   in Loop: Header=BB11_266 Depth=2
	s_bcnt1_i32_b64 vcc_lo, s[60:61]
	v_mov_b32_e32 v2, vcc_lo
	ds_add_u64 v0, v[2:3]
	s_trap 2
.LBB11_388:                             ;   in Loop: Header=BB11_266 Depth=2
	s_or_b64 exec, exec, s[58:59]
	s_trap 2
	ds_read_b64 v[4:5], v0
	v_lshl_add_u64 v[26:27], v[26:27], 0, v[52:53]
	s_waitcnt lgkmcnt(0)
	v_cmp_lt_u64_e32 vcc, v[4:5], v[26:27]
	s_and_saveexec_b64 s[58:59], vcc
	s_cbranch_execz .LBB11_397
; %bb.389:                              ;   in Loop: Header=BB11_266 Depth=2
	s_mov_b32 s70, 0
	s_mov_b64 s[60:61], 0
                                        ; implicit-def: $sgpr62_sgpr63
                                        ; implicit-def: $sgpr64_sgpr65
	s_branch .LBB11_391
.LBB11_390:                             ;   in Loop: Header=BB11_391 Depth=3
	s_or_b64 exec, exec, s[68:69]
	s_and_b64 vcc, exec, vcc
	s_or_b64 s[60:61], vcc, s[60:61]
	s_andn2_b64 vcc, s[62:63], exec
	s_and_b64 s[62:63], s[64:65], exec
	s_or_b64 s[62:63], vcc, s[62:63]
	s_andn2_b64 exec, exec, s[60:61]
	s_cbranch_execz .LBB11_395
.LBB11_391:                             ;   Parent Loop BB11_47 Depth=1
                                        ;     Parent Loop BB11_266 Depth=2
                                        ; =>    This Inner Loop Header: Depth=3
	s_add_i32 s70, s70, 1
	s_cmpk_lg_i32 s70, 0x2710
	s_cselect_b64 s[66:67], -1, 0
	s_and_b64 vcc, exec, s[66:67]
                                        ; implicit-def: $sgpr68_sgpr69
	s_cbranch_vccnz .LBB11_393
; %bb.392:                              ;   in Loop: Header=BB11_391 Depth=3
	s_trap 2
	ds_read_b64 v[4:5], v0
	s_andn2_b64 s[66:67], s[66:67], exec
	s_mov_b32 s70, 0
	s_mov_b64 s[68:69], -1
	s_waitcnt vmcnt(0) lgkmcnt(0)
	flat_load_dword v1, v[4:5] sc0 sc1
	s_waitcnt vmcnt(0) lgkmcnt(0)
	buffer_inv sc0 sc1
	v_cmp_eq_u32_e32 vcc, 0, v1
	s_and_b64 vcc, vcc, exec
	s_or_b64 s[66:67], s[66:67], vcc
.LBB11_393:                             ;   in Loop: Header=BB11_391 Depth=3
	s_andn2_b64 s[64:65], s[64:65], exec
	s_and_b64 s[68:69], s[68:69], exec
	s_mov_b64 vcc, -1
	s_or_b64 s[64:65], s[64:65], s[68:69]
	s_and_saveexec_b64 s[68:69], s[66:67]
	s_cbranch_execz .LBB11_390
; %bb.394:                              ;   in Loop: Header=BB11_391 Depth=3
	s_sleep 1
	s_trap 2
	ds_read_b64 v[4:5], v0
	s_andn2_b64 s[64:65], s[64:65], exec
	s_waitcnt lgkmcnt(0)
	v_cmp_ge_u64_e32 vcc, v[4:5], v[26:27]
	s_orn2_b64 vcc, vcc, exec
	s_branch .LBB11_390
.LBB11_395:                             ;   in Loop: Header=BB11_266 Depth=2
	s_or_b64 exec, exec, s[60:61]
	s_and_saveexec_b64 vcc, s[62:63]
	s_xor_b64 vcc, exec, vcc
	s_cbranch_execz .LBB11_397
; %bb.396:                              ;   in Loop: Header=BB11_266 Depth=2
	ds_write_b32 v0, v25
	s_trap 2
.LBB11_397:                             ;   in Loop: Header=BB11_266 Depth=2
	s_or_b64 exec, exec, s[58:59]
	;;#ASMSTART
	s_wakeup
	;;#ASMEND
.LBB11_398:                             ;   in Loop: Header=BB11_266 Depth=2
	s_or_b64 exec, exec, s[56:57]
.LBB11_399:                             ;   in Loop: Header=BB11_266 Depth=2
	s_andn2_saveexec_b64 vcc, s[54:55]
	s_cbranch_execz .LBB11_401
; %bb.400:                              ;   in Loop: Header=BB11_266 Depth=2
	;;#ASMSTART
	s_waitcnt lgkmcnt(0) vmcnt(0)
	;;#ASMEND
	s_barrier
.LBB11_401:                             ;   in Loop: Header=BB11_266 Depth=2
	s_or_b64 exec, exec, vcc
	v_and_b32_e32 v1, 16, v62
.LBB11_402:                             ;   in Loop: Header=BB11_266 Depth=2
	s_or_b64 exec, exec, s[26:27]
	v_cmp_ne_u32_e32 vcc, 0, v1
	s_xor_b64 s[26:27], s[10:11], -1
	s_and_b64 vcc, vcc, s[26:27]
	s_and_saveexec_b64 s[26:27], vcc
	s_cbranch_execz .LBB11_404
; %bb.403:                              ;   in Loop: Header=BB11_266 Depth=2
	flat_store_dword v[38:39], v25 sc0 sc1
.LBB11_404:                             ;   in Loop: Header=BB11_266 Depth=2
	s_or_b64 exec, exec, s[26:27]
	v_and_b32_e32 v1, 48, v62
	v_cmp_ne_u32_e32 vcc, 0, v1
	s_and_saveexec_b64 s[26:27], vcc
	s_cbranch_execz .LBB11_406
; %bb.405:                              ;   in Loop: Header=BB11_266 Depth=2
	v_lshl_add_u64 v[44:45], v[44:45], 0, 4
	flat_store_dwordx2 v[42:43], v[44:45] sc0 sc1
.LBB11_406:                             ;   in Loop: Header=BB11_266 Depth=2
	s_or_b64 exec, exec, s[26:27]
	v_mov_b32_e32 v1, v6
.LBB11_407:                             ;   in Loop: Header=BB11_266 Depth=2
	s_or_b64 exec, exec, s[30:31]
	s_and_saveexec_b64 s[30:31], s[28:29]
	s_cbranch_execz .LBB11_265
; %bb.408:                              ;   in Loop: Header=BB11_266 Depth=2
	v_and_b32_e32 v2, 12, v62
	v_cmp_ne_u32_e32 vcc, 0, v2
	s_mov_b64 s[28:29], -1
	s_and_saveexec_b64 s[26:27], vcc
	s_cbranch_execz .LBB11_420
; %bb.409:                              ;   in Loop: Header=BB11_266 Depth=2
	v_and_b32_e32 v2, 8, v62
	v_lshl_add_u64 v[8:9], v[58:59], 0, v[2:3]
	v_lshl_add_u64 v[4:5], v[44:45], 0, 4
	v_cmp_lt_u64_e32 vcc, v[8:9], v[4:5]
	v_mov_b32_e32 v7, 1
	s_and_saveexec_b64 s[28:29], vcc
	s_cbranch_execz .LBB11_419
; %bb.410:                              ;   in Loop: Header=BB11_266 Depth=2
	s_mov_b64 s[54:55], 0
	v_mov_b32_e32 v7, 0
                                        ; implicit-def: $sgpr56_sgpr57
	s_branch .LBB11_414
.LBB11_411:                             ;   in Loop: Header=BB11_414 Depth=3
	s_or_b64 exec, exec, s[64:65]
	v_mov_b32_e32 v8, 0
	s_orn2_b64 s[62:63], s[62:63], exec
.LBB11_412:                             ;   in Loop: Header=BB11_414 Depth=3
	s_or_b64 exec, exec, s[60:61]
	s_andn2_b64 vcc, s[56:57], exec
	s_and_b64 s[56:57], s[62:63], exec
	s_or_b64 s[56:57], vcc, s[56:57]
	v_mov_b32_e32 v7, v8
.LBB11_413:                             ;   in Loop: Header=BB11_414 Depth=3
	s_or_b64 exec, exec, s[58:59]
	s_waitcnt vmcnt(0) lgkmcnt(0)
	v_lshl_add_u64 v[8:9], v[58:59], 0, v[2:3]
	v_cmp_ge_u64_e32 vcc, v[8:9], v[4:5]
	s_xor_b64 s[58:59], s[56:57], -1
	s_or_b64 vcc, s[58:59], vcc
	s_and_b64 vcc, exec, vcc
	s_or_b64 s[54:55], vcc, s[54:55]
	s_andn2_b64 exec, exec, s[54:55]
	s_cbranch_execz .LBB11_418
.LBB11_414:                             ;   Parent Loop BB11_47 Depth=1
                                        ;     Parent Loop BB11_266 Depth=2
                                        ; =>    This Inner Loop Header: Depth=3
	s_sleep 1
	flat_load_dwordx2 v[58:59], v[42:43] sc0 sc1
	v_and_b32_e32 v8, 64, v62
	v_cmp_eq_u32_e32 vcc, 0, v8
	s_andn2_b64 s[56:57], s[56:57], exec
	s_and_saveexec_b64 s[58:59], vcc
	s_cbranch_execz .LBB11_413
; %bb.415:                              ;   in Loop: Header=BB11_414 Depth=3
	v_add_u32_e32 v8, 1, v7
	v_cmp_lt_i32_e32 vcc, s82, v7
	s_mov_b64 s[62:63], -1
	s_and_saveexec_b64 s[60:61], vcc
	s_cbranch_execz .LBB11_412
; %bb.416:                              ;   in Loop: Header=BB11_414 Depth=3
	s_trap 2
	ds_read_b64 v[8:9], v0
	s_waitcnt vmcnt(0) lgkmcnt(0)
	flat_load_dword v7, v[8:9] sc0 sc1
	s_waitcnt vmcnt(0) lgkmcnt(0)
	buffer_inv sc0 sc1
	v_cmp_ne_u32_e32 vcc, 0, v7
	s_and_saveexec_b64 s[64:65], vcc
	s_cbranch_execz .LBB11_411
; %bb.417:                              ;   in Loop: Header=BB11_414 Depth=3
	v_or_b32_e32 v62, 64, v62
	s_xor_b64 s[62:63], exec, -1
	ds_write_b32 v0, v7
	s_trap 2
	s_branch .LBB11_411
.LBB11_418:                             ;   in Loop: Header=BB11_266 Depth=2
	s_or_b64 exec, exec, s[54:55]
	v_and_b32_e32 v7, 12, v62
.LBB11_419:                             ;   in Loop: Header=BB11_266 Depth=2
	s_or_b64 exec, exec, s[28:29]
	v_cmp_eq_u32_e32 vcc, 0, v7
	s_orn2_b64 s[28:29], vcc, exec
	;;#ASMSTART
	s_wakeup
	;;#ASMEND
.LBB11_420:                             ;   in Loop: Header=BB11_266 Depth=2
	s_or_b64 exec, exec, s[26:27]
	v_sub_u32_e32 v0, v0, v1
	s_xor_b64 s[26:27], s[28:29], -1
	v_min_i32_e32 v6, v6, v0
	s_and_saveexec_b64 s[28:29], s[26:27]
	s_cbranch_execz .LBB11_444
; %bb.421:                              ;   in Loop: Header=BB11_266 Depth=2
	v_and_b32_e32 v0, 0x108, v62
	v_cmp_ne_u32_e32 vcc, s83, v0
	v_and_b32_e32 v2, 7, v44
	s_and_saveexec_b64 s[26:27], vcc
	s_xor_b64 s[26:27], exec, s[26:27]
	s_andn2_saveexec_b64 s[26:27], s[26:27]
	s_cbranch_execz .LBB11_423
; %bb.422:                              ;   in Loop: Header=BB11_266 Depth=2
	v_ashrrev_i32_e32 v7, 31, v6
	v_mad_u64_u32 v[0:1], vcc, v2, 24, v[48:49]
	v_lshlrev_b64 v[4:5], 1, v[6:7]
	flat_store_dwordx2 v[0:1], v[4:5] offset:8
.LBB11_423:                             ;   in Loop: Header=BB11_266 Depth=2
	s_or_b64 exec, exec, s[26:27]
	v_and_b32_e32 v0, 0x100, v62
	v_cmp_ne_u32_e32 vcc, 0, v0
	s_mov_b64 s[26:27], -1
                                        ; implicit-def: $vgpr4_vgpr5
	s_and_saveexec_b64 s[54:55], vcc
	s_cbranch_execz .LBB11_427
; %bb.424:                              ;   in Loop: Header=BB11_266 Depth=2
	v_mad_u64_u32 v[8:9], s[26:27], v2, 24, v[48:49]
	v_mov_b32_e32 v0, v9
	v_mad_u64_u32 v[0:1], s[26:27], v3, 24, v[0:1]
	v_mov_b32_e32 v9, v0
	flat_load_dword v0, v[8:9]
                                        ; implicit-def: $vgpr4_vgpr5
	s_waitcnt vmcnt(0) lgkmcnt(0)
	v_cmp_ne_u32_e32 vcc, 1, v0
	v_cmp_eq_u32_e64 s[26:27], 1, v0
	s_and_saveexec_b64 s[56:57], s[26:27]
	s_cbranch_execz .LBB11_426
; %bb.425:                              ;   in Loop: Header=BB11_266 Depth=2
	flat_load_dword v0, v[8:9] offset:4 sc0 sc1
	s_waitcnt vmcnt(0) lgkmcnt(0)
	v_ashrrev_i32_e32 v1, 31, v0
	v_lshrrev_b64 v[4:5], 1, v[0:1]
.LBB11_426:                             ;   in Loop: Header=BB11_266 Depth=2
	s_or_b64 exec, exec, s[56:57]
	s_orn2_b64 s[26:27], vcc, exec
.LBB11_427:                             ;   in Loop: Header=BB11_266 Depth=2
	s_or_b64 exec, exec, s[54:55]
	s_and_saveexec_b64 vcc, s[26:27]
; %bb.428:                              ;   in Loop: Header=BB11_266 Depth=2
	v_mul_lo_u32 v0, v3, v40
	v_mul_lo_u32 v1, v2, v51
	v_mad_u64_u32 v[4:5], s[26:27], v2, v40, 0
	v_add3_u32 v5, v5, v1, v0
; %bb.429:                              ;   in Loop: Header=BB11_266 Depth=2
	s_or_b64 exec, exec, vcc
	v_lshl_add_u64 v[0:1], v[4:5], 1, v[36:37]
	s_trap 2
	ds_write_b64 v0, v[0:1]
	v_and_b32_e32 v0, 0x2000, v62
	v_cmp_ne_u32_e32 vcc, 0, v0
	s_and_saveexec_b64 s[26:27], vcc
	s_cbranch_execz .LBB11_431
; %bb.430:                              ;   in Loop: Header=BB11_266 Depth=2
	ds_read_b64 v[0:1], v0 offset:584
	s_waitcnt lgkmcnt(0)
	v_lshl_add_u64 v[0:1], v[0:1], 0, 1
	ds_write_b64 v0, v[0:1] offset:584
.LBB11_431:                             ;   in Loop: Header=BB11_266 Depth=2
	s_or_b64 exec, exec, s[26:27]
	v_lshl_add_u64 v[44:45], v[44:45], 0, 4
	s_or_b64 exec, exec, s[28:29]
	s_and_saveexec_b64 s[26:27], s[6:7]
	s_cbranch_execnz .LBB11_445
.LBB11_432:                             ;   in Loop: Header=BB11_266 Depth=2
	s_or_b64 exec, exec, s[26:27]
                                        ; implicit-def: $vgpr0
	s_and_saveexec_b64 s[26:27], s[50:51]
	s_xor_b64 s[26:27], exec, s[26:27]
	s_cbranch_execz .LBB11_470
.LBB11_433:                             ;   in Loop: Header=BB11_266 Depth=2
	s_and_saveexec_b64 s[28:29], s[40:41]
	s_xor_b64 s[28:29], exec, s[28:29]
	s_cbranch_execz .LBB11_460
; %bb.434:                              ;   in Loop: Header=BB11_266 Depth=2
	s_and_saveexec_b64 s[54:55], s[14:15]
	s_cbranch_execz .LBB11_459
; %bb.435:                              ;   in Loop: Header=BB11_266 Depth=2
	s_mov_b64 s[58:59], exec
	v_mbcnt_lo_u32_b32 v0, s58, 0
	v_mbcnt_hi_u32_b32 v0, s59, v0
	v_cmp_eq_u32_e32 vcc, 0, v0
	;;#ASMSTART
	s_waitcnt lgkmcnt(0) vmcnt(0)
	;;#ASMEND
	s_and_saveexec_b64 s[56:57], vcc
	s_cbranch_execz .LBB11_437
; %bb.436:                              ;   in Loop: Header=BB11_266 Depth=2
	s_bcnt1_i32_b64 vcc_lo, s[58:59]
	v_mov_b32_e32 v2, vcc_lo
	ds_add_u64 v0, v[2:3]
	s_trap 2
.LBB11_437:                             ;   in Loop: Header=BB11_266 Depth=2
	s_or_b64 exec, exec, s[56:57]
	s_trap 2
	ds_read_b64 v[0:1], v0
	v_lshl_add_u64 v[26:27], v[26:27], 0, v[52:53]
	s_waitcnt lgkmcnt(0)
	v_cmp_lt_u64_e32 vcc, v[0:1], v[26:27]
	s_and_saveexec_b64 s[56:57], vcc
	s_cbranch_execz .LBB11_458
; %bb.438:                              ;   in Loop: Header=BB11_266 Depth=2
	s_mov_b32 s68, 0
	s_mov_b64 s[58:59], 0
                                        ; implicit-def: $sgpr60_sgpr61
                                        ; implicit-def: $sgpr62_sgpr63
	s_branch .LBB11_440
.LBB11_439:                             ;   in Loop: Header=BB11_440 Depth=3
	s_or_b64 exec, exec, s[66:67]
	s_and_b64 vcc, exec, vcc
	s_or_b64 s[58:59], vcc, s[58:59]
	s_andn2_b64 vcc, s[60:61], exec
	s_and_b64 s[60:61], s[62:63], exec
	s_or_b64 s[60:61], vcc, s[60:61]
	s_andn2_b64 exec, exec, s[58:59]
	s_cbranch_execz .LBB11_456
.LBB11_440:                             ;   Parent Loop BB11_47 Depth=1
                                        ;     Parent Loop BB11_266 Depth=2
                                        ; =>    This Inner Loop Header: Depth=3
	s_add_i32 s68, s68, 1
	s_cmpk_lg_i32 s68, 0x2710
	s_cselect_b64 s[64:65], -1, 0
	s_and_b64 vcc, exec, s[64:65]
                                        ; implicit-def: $sgpr66_sgpr67
	s_cbranch_vccnz .LBB11_442
; %bb.441:                              ;   in Loop: Header=BB11_440 Depth=3
	s_trap 2
	ds_read_b64 v[0:1], v0
	s_andn2_b64 s[64:65], s[64:65], exec
	s_mov_b32 s68, 0
	s_mov_b64 s[66:67], -1
	s_waitcnt vmcnt(0) lgkmcnt(0)
	flat_load_dword v0, v[0:1] sc0 sc1
	s_waitcnt vmcnt(0) lgkmcnt(0)
	buffer_inv sc0 sc1
	v_cmp_eq_u32_e32 vcc, 0, v0
	s_and_b64 vcc, vcc, exec
	s_or_b64 s[64:65], s[64:65], vcc
.LBB11_442:                             ;   in Loop: Header=BB11_440 Depth=3
	s_andn2_b64 s[62:63], s[62:63], exec
	s_and_b64 s[66:67], s[66:67], exec
	s_mov_b64 vcc, -1
	s_or_b64 s[62:63], s[62:63], s[66:67]
	s_and_saveexec_b64 s[66:67], s[64:65]
	s_cbranch_execz .LBB11_439
; %bb.443:                              ;   in Loop: Header=BB11_440 Depth=3
	s_sleep 1
	s_trap 2
	ds_read_b64 v[0:1], v0
	s_andn2_b64 s[62:63], s[62:63], exec
	s_waitcnt lgkmcnt(0)
	v_cmp_ge_u64_e32 vcc, v[0:1], v[26:27]
	s_orn2_b64 vcc, vcc, exec
	s_branch .LBB11_439
.LBB11_444:                             ;   in Loop: Header=BB11_266 Depth=2
	s_or_b64 exec, exec, s[28:29]
	s_and_saveexec_b64 s[26:27], s[6:7]
	s_cbranch_execz .LBB11_432
.LBB11_445:                             ;   in Loop: Header=BB11_266 Depth=2
	s_and_saveexec_b64 s[28:29], s[40:41]
	s_xor_b64 s[28:29], exec, s[28:29]
	s_cbranch_execz .LBB11_467
; %bb.446:                              ;   in Loop: Header=BB11_266 Depth=2
	s_and_saveexec_b64 s[54:55], s[14:15]
	s_cbranch_execz .LBB11_466
; %bb.447:                              ;   in Loop: Header=BB11_266 Depth=2
	s_mov_b64 s[58:59], exec
	v_mbcnt_lo_u32_b32 v0, s58, 0
	v_mbcnt_hi_u32_b32 v0, s59, v0
	v_cmp_eq_u32_e32 vcc, 0, v0
	s_waitcnt lgkmcnt(0)
	s_and_saveexec_b64 s[56:57], vcc
	s_cbranch_execz .LBB11_449
; %bb.448:                              ;   in Loop: Header=BB11_266 Depth=2
	s_bcnt1_i32_b64 vcc_lo, s[58:59]
	v_mov_b32_e32 v2, vcc_lo
	ds_add_u64 v0, v[2:3]
	s_trap 2
.LBB11_449:                             ;   in Loop: Header=BB11_266 Depth=2
	s_or_b64 exec, exec, s[56:57]
	s_trap 2
	ds_read_b64 v[0:1], v0
	v_lshl_add_u64 v[26:27], v[26:27], 0, v[52:53]
	s_waitcnt lgkmcnt(0)
	v_cmp_lt_u64_e32 vcc, v[0:1], v[26:27]
	s_and_saveexec_b64 s[56:57], vcc
	s_cbranch_execz .LBB11_465
; %bb.450:                              ;   in Loop: Header=BB11_266 Depth=2
	s_mov_b32 s68, 0
	s_mov_b64 s[58:59], 0
                                        ; implicit-def: $sgpr60_sgpr61
                                        ; implicit-def: $sgpr62_sgpr63
	s_branch .LBB11_452
.LBB11_451:                             ;   in Loop: Header=BB11_452 Depth=3
	s_or_b64 exec, exec, s[66:67]
	s_and_b64 vcc, exec, vcc
	s_or_b64 s[58:59], vcc, s[58:59]
	s_andn2_b64 vcc, s[60:61], exec
	s_and_b64 s[60:61], s[62:63], exec
	s_or_b64 s[60:61], vcc, s[60:61]
	s_andn2_b64 exec, exec, s[58:59]
	s_cbranch_execz .LBB11_463
.LBB11_452:                             ;   Parent Loop BB11_47 Depth=1
                                        ;     Parent Loop BB11_266 Depth=2
                                        ; =>    This Inner Loop Header: Depth=3
	s_add_i32 s68, s68, 1
	s_cmpk_lg_i32 s68, 0x2710
	s_cselect_b64 s[64:65], -1, 0
	s_and_b64 vcc, exec, s[64:65]
                                        ; implicit-def: $sgpr66_sgpr67
	s_cbranch_vccnz .LBB11_454
; %bb.453:                              ;   in Loop: Header=BB11_452 Depth=3
	s_trap 2
	ds_read_b64 v[0:1], v0
	s_andn2_b64 s[64:65], s[64:65], exec
	s_mov_b32 s68, 0
	s_mov_b64 s[66:67], -1
	s_waitcnt vmcnt(0) lgkmcnt(0)
	flat_load_dword v0, v[0:1] sc0 sc1
	s_waitcnt vmcnt(0) lgkmcnt(0)
	buffer_inv sc0 sc1
	v_cmp_eq_u32_e32 vcc, 0, v0
	s_and_b64 vcc, vcc, exec
	s_or_b64 s[64:65], s[64:65], vcc
.LBB11_454:                             ;   in Loop: Header=BB11_452 Depth=3
	s_andn2_b64 s[62:63], s[62:63], exec
	s_and_b64 s[66:67], s[66:67], exec
	s_mov_b64 vcc, -1
	s_or_b64 s[62:63], s[62:63], s[66:67]
	s_and_saveexec_b64 s[66:67], s[64:65]
	s_cbranch_execz .LBB11_451
; %bb.455:                              ;   in Loop: Header=BB11_452 Depth=3
	s_sleep 1
	s_trap 2
	ds_read_b64 v[0:1], v0
	s_andn2_b64 s[62:63], s[62:63], exec
	s_waitcnt lgkmcnt(0)
	v_cmp_ge_u64_e32 vcc, v[0:1], v[26:27]
	s_orn2_b64 vcc, vcc, exec
	s_branch .LBB11_451
.LBB11_456:                             ;   in Loop: Header=BB11_266 Depth=2
	s_or_b64 exec, exec, s[58:59]
	s_and_saveexec_b64 vcc, s[60:61]
	s_xor_b64 vcc, exec, vcc
	s_cbranch_execz .LBB11_458
; %bb.457:                              ;   in Loop: Header=BB11_266 Depth=2
	ds_write_b32 v0, v25
	s_trap 2
.LBB11_458:                             ;   in Loop: Header=BB11_266 Depth=2
	s_or_b64 exec, exec, s[56:57]
	;;#ASMSTART
	s_wakeup
	;;#ASMEND
.LBB11_459:                             ;   in Loop: Header=BB11_266 Depth=2
	s_or_b64 exec, exec, s[54:55]
.LBB11_460:                             ;   in Loop: Header=BB11_266 Depth=2
	s_andn2_saveexec_b64 s[28:29], s[28:29]
	s_cbranch_execz .LBB11_462
; %bb.461:                              ;   in Loop: Header=BB11_266 Depth=2
	;;#ASMSTART
	s_waitcnt lgkmcnt(0) vmcnt(0)
	;;#ASMEND
	s_barrier
.LBB11_462:                             ;   in Loop: Header=BB11_266 Depth=2
	s_or_b64 exec, exec, s[28:29]
	v_and_b32_e32 v0, 16, v62
                                        ; implicit-def: $vgpr6
	s_andn2_saveexec_b64 s[26:27], s[26:27]
	s_cbranch_execz .LBB11_474
	s_branch .LBB11_471
.LBB11_463:                             ;   in Loop: Header=BB11_266 Depth=2
	s_or_b64 exec, exec, s[58:59]
	s_and_saveexec_b64 vcc, s[60:61]
	s_xor_b64 vcc, exec, vcc
	s_cbranch_execz .LBB11_465
; %bb.464:                              ;   in Loop: Header=BB11_266 Depth=2
	ds_write_b32 v0, v25
	s_trap 2
.LBB11_465:                             ;   in Loop: Header=BB11_266 Depth=2
	s_or_b64 exec, exec, s[56:57]
	;;#ASMSTART
	s_wakeup
	;;#ASMEND
.LBB11_466:                             ;   in Loop: Header=BB11_266 Depth=2
	s_or_b64 exec, exec, s[54:55]
.LBB11_467:                             ;   in Loop: Header=BB11_266 Depth=2
	s_andn2_saveexec_b64 s[28:29], s[28:29]
	s_cbranch_execz .LBB11_469
; %bb.468:                              ;   in Loop: Header=BB11_266 Depth=2
	s_waitcnt lgkmcnt(0)
	s_barrier
.LBB11_469:                             ;   in Loop: Header=BB11_266 Depth=2
	s_or_b64 exec, exec, s[28:29]
	s_or_b64 exec, exec, s[26:27]
                                        ; implicit-def: $vgpr0
	s_and_saveexec_b64 s[26:27], s[50:51]
	s_xor_b64 s[26:27], exec, s[26:27]
	s_cbranch_execnz .LBB11_433
.LBB11_470:                             ;   in Loop: Header=BB11_266 Depth=2
	s_andn2_saveexec_b64 s[26:27], s[26:27]
	s_cbranch_execz .LBB11_474
.LBB11_471:                             ;   in Loop: Header=BB11_266 Depth=2
	s_trap 2
	ds_read_b32 v1, v0
	v_cmp_lt_i32_e32 vcc, 0, v6
	v_and_b32_e32 v2, 16, v62
	v_and_b32_e32 v0, 16, v62
	s_waitcnt lgkmcnt(0)
	v_readfirstlane_b32 s28, v1
	s_cmp_eq_u32 s28, 0
	s_cselect_b64 s[28:29], -1, 0
	s_and_b64 s[28:29], vcc, s[28:29]
	v_cmp_ne_u32_e32 vcc, 0, v2
	s_and_b64 vcc, vcc, s[28:29]
	s_and_saveexec_b64 s[28:29], vcc
	s_cbranch_execz .LBB11_473
; %bb.472:                              ;   in Loop: Header=BB11_266 Depth=2
	v_mov_b32_e32 v0, 1
	buffer_wbl2 sc1
	s_waitcnt vmcnt(0)
	buffer_inv sc1
.LBB11_473:                             ;   in Loop: Header=BB11_266 Depth=2
	s_or_b64 exec, exec, s[28:29]
.LBB11_474:                             ;   in Loop: Header=BB11_266 Depth=2
	s_or_b64 exec, exec, s[26:27]
	v_cmp_ne_u32_e32 vcc, 0, v0
	s_xor_b64 s[26:27], s[10:11], -1
	s_and_b64 s[28:29], vcc, s[26:27]
	s_and_saveexec_b64 s[26:27], s[28:29]
	s_cbranch_execz .LBB11_476
; %bb.475:                              ;   in Loop: Header=BB11_266 Depth=2
	flat_store_dword v[38:39], v25 sc0 sc1
.LBB11_476:                             ;   in Loop: Header=BB11_266 Depth=2
	s_or_b64 exec, exec, s[26:27]
	v_and_b32_e32 v0, 48, v62
	v_cmp_ne_u32_e32 vcc, 0, v0
	s_and_saveexec_b64 s[26:27], vcc
	s_cbranch_execz .LBB11_264
; %bb.477:                              ;   in Loop: Header=BB11_266 Depth=2
	v_lshl_add_u64 v[44:45], v[44:45], 0, 4
	flat_store_dwordx2 v[42:43], v[44:45] sc0 sc1
	s_branch .LBB11_264
.LBB11_478:                             ;   in Loop: Header=BB11_47 Depth=1
	v_mul_lo_u32 v0, v55, s72
	v_mul_lo_u32 v1, v54, s73
	v_mad_u64_u32 v[4:5], s[26:27], v54, s72, 0
	v_add3_u32 v5, v5, v1, v0
	v_sub_co_u32_e32 v0, vcc, v12, v4
	s_nop 1
	v_subb_co_u32_e32 v1, vcc, v13, v5, vcc
	v_cmp_lt_i64_e32 vcc, v[54:55], v[0:1]
	s_nop 1
	v_cndmask_b32_e32 v0, v0, v54, vcc
	v_max_i32_e32 v24, 0, v0
	v_add_u32_e32 v1, 15, v24
	v_ashrrev_i32_e32 v2, 31, v1
	v_lshrrev_b32_e32 v2, 28, v2
	v_add_u32_e32 v1, v1, v2
	v_cmp_gt_i32_e32 vcc, 1, v0
	v_and_b32_e32 v1, -16, v1
	s_or_b64 s[54:55], s[2:3], vcc
	v_max_i32_e32 v10, s78, v1
	s_xor_b64 s[26:27], s[54:55], -1
	v_mov_b32_e32 v0, 0
	s_and_saveexec_b64 s[56:57], s[26:27]
	s_cbranch_execz .LBB11_484
; %bb.479:                              ;   in Loop: Header=BB11_47 Depth=1
	s_and_saveexec_b64 s[26:27], s[0:1]
	s_cbranch_execz .LBB11_481
; %bb.480:                              ;   in Loop: Header=BB11_47 Depth=1
	s_trap 2
	ds_read2_b64 v[6:9], v0 offset1:1
	v_accvgpr_read_b32 v0, a46
	v_accvgpr_read_b32 v1, a47
	v_lshl_add_u64 v[0:1], v[4:5], 0, v[0:1]
	ds_read_b64 v[4:5], v0
	v_lshlrev_b64 v[0:1], 1, v[0:1]
	s_waitcnt lgkmcnt(0)
	v_lshl_add_u64 v[6:7], v[6:7], 0, v[0:1]
	ds_write_b64 v0, v[6:7]
	v_lshl_add_u64 v[6:7], v[8:9], 0, v[0:1]
	ds_write_b64 v0, v[6:7]
	v_lshl_add_u64 v[0:1], v[4:5], 0, v[0:1]
	v_cmp_ne_u64_e32 vcc, 0, v[4:5]
	s_nop 1
	v_cndmask_b32_e32 v1, 0, v1, vcc
	v_cndmask_b32_e32 v0, 0, v0, vcc
	ds_write_b64 v0, v[0:1]
.LBB11_481:                             ;   in Loop: Header=BB11_47 Depth=1
	s_or_b64 exec, exec, s[26:27]
	v_and_b32_e32 v0, 12, v62
	v_cmp_ne_u32_e32 vcc, 0, v0
	s_mov_b64 s[28:29], -1
	s_and_saveexec_b64 s[26:27], vcc
	s_cbranch_execz .LBB11_504
; %bb.482:                              ;   in Loop: Header=BB11_47 Depth=1
	v_and_b32_e32 v2, 8, v62
	v_lshl_add_u64 v[0:1], v[58:59], 0, v[2:3]
	v_lshl_add_u64 v[4:5], v[44:45], 0, 4
	v_cmp_lt_u64_e32 vcc, v[0:1], v[4:5]
	v_mov_b32_e32 v0, 1
	s_and_saveexec_b64 s[28:29], vcc
	s_cbranch_execz .LBB11_503
; %bb.483:                              ;   in Loop: Header=BB11_47 Depth=1
	s_mov_b64 s[30:31], 0
	v_mov_b32_e32 v0, 0
                                        ; implicit-def: $sgpr58_sgpr59
	s_branch .LBB11_491
.LBB11_484:                             ;   in Loop: Header=BB11_47 Depth=1
	s_or_b64 exec, exec, s[56:57]
	s_and_saveexec_b64 s[28:29], s[54:55]
	s_cbranch_execz .LBB11_726
.LBB11_485:                             ;   in Loop: Header=BB11_47 Depth=1
	v_and_b32_e32 v1, 12, v62
	v_cmp_ne_u32_e32 vcc, 0, v1
	s_mov_b64 s[30:31], -1
	s_and_saveexec_b64 s[26:27], vcc
	s_cbranch_execz .LBB11_530
; %bb.486:                              ;   in Loop: Header=BB11_47 Depth=1
	v_and_b32_e32 v2, 8, v62
	v_lshl_add_u64 v[6:7], v[58:59], 0, v[2:3]
	v_lshl_add_u64 v[4:5], v[44:45], 0, 4
	v_cmp_lt_u64_e32 vcc, v[6:7], v[4:5]
	v_mov_b32_e32 v1, 1
	s_and_saveexec_b64 s[30:31], vcc
	s_cbranch_execz .LBB11_529
; %bb.487:                              ;   in Loop: Header=BB11_47 Depth=1
	s_mov_b64 s[54:55], 0
	v_mov_b32_e32 v1, 0
                                        ; implicit-def: $sgpr56_sgpr57
	s_branch .LBB11_498
.LBB11_488:                             ;   in Loop: Header=BB11_491 Depth=2
	s_or_b64 exec, exec, s[66:67]
	v_mov_b32_e32 v1, 0
	s_orn2_b64 s[64:65], s[64:65], exec
.LBB11_489:                             ;   in Loop: Header=BB11_491 Depth=2
	s_or_b64 exec, exec, s[62:63]
	s_andn2_b64 vcc, s[58:59], exec
	s_and_b64 s[58:59], s[64:65], exec
	s_or_b64 s[58:59], vcc, s[58:59]
	v_mov_b32_e32 v0, v1
.LBB11_490:                             ;   in Loop: Header=BB11_491 Depth=2
	s_or_b64 exec, exec, s[60:61]
	s_waitcnt vmcnt(0) lgkmcnt(0)
	v_lshl_add_u64 v[6:7], v[58:59], 0, v[2:3]
	v_cmp_ge_u64_e32 vcc, v[6:7], v[4:5]
	s_xor_b64 s[60:61], s[58:59], -1
	s_or_b64 vcc, s[60:61], vcc
	s_and_b64 vcc, exec, vcc
	s_or_b64 s[30:31], vcc, s[30:31]
	s_andn2_b64 exec, exec, s[30:31]
	s_cbranch_execz .LBB11_502
.LBB11_491:                             ;   Parent Loop BB11_47 Depth=1
                                        ; =>  This Inner Loop Header: Depth=2
	s_sleep 1
	flat_load_dwordx2 v[58:59], v[42:43] sc0 sc1
	v_and_b32_e32 v1, 64, v62
	v_cmp_eq_u32_e32 vcc, 0, v1
	s_andn2_b64 s[58:59], s[58:59], exec
	s_and_saveexec_b64 s[60:61], vcc
	s_cbranch_execz .LBB11_490
; %bb.492:                              ;   in Loop: Header=BB11_491 Depth=2
	v_add_u32_e32 v1, 1, v0
	v_cmp_lt_i32_e32 vcc, s82, v0
	s_mov_b64 s[64:65], -1
	s_and_saveexec_b64 s[62:63], vcc
	s_cbranch_execz .LBB11_489
; %bb.493:                              ;   in Loop: Header=BB11_491 Depth=2
	s_trap 2
	ds_read_b64 v[0:1], v0
	s_waitcnt vmcnt(0) lgkmcnt(0)
	flat_load_dword v0, v[0:1] sc0 sc1
	s_waitcnt vmcnt(0) lgkmcnt(0)
	buffer_inv sc0 sc1
	v_cmp_ne_u32_e32 vcc, 0, v0
	s_and_saveexec_b64 s[66:67], vcc
	s_cbranch_execz .LBB11_488
; %bb.494:                              ;   in Loop: Header=BB11_491 Depth=2
	v_or_b32_e32 v62, 64, v62
	s_xor_b64 s[64:65], exec, -1
	ds_write_b32 v0, v0
	s_trap 2
	s_branch .LBB11_488
.LBB11_495:                             ;   in Loop: Header=BB11_498 Depth=2
	s_or_b64 exec, exec, s[64:65]
	v_mov_b32_e32 v6, 0
	s_orn2_b64 s[62:63], s[62:63], exec
.LBB11_496:                             ;   in Loop: Header=BB11_498 Depth=2
	s_or_b64 exec, exec, s[60:61]
	s_andn2_b64 vcc, s[56:57], exec
	s_and_b64 s[56:57], s[62:63], exec
	s_or_b64 s[56:57], vcc, s[56:57]
	v_mov_b32_e32 v1, v6
.LBB11_497:                             ;   in Loop: Header=BB11_498 Depth=2
	s_or_b64 exec, exec, s[58:59]
	s_waitcnt vmcnt(0) lgkmcnt(0)
	v_lshl_add_u64 v[6:7], v[58:59], 0, v[2:3]
	v_cmp_ge_u64_e32 vcc, v[6:7], v[4:5]
	s_xor_b64 s[58:59], s[56:57], -1
	s_or_b64 vcc, s[58:59], vcc
	s_and_b64 vcc, exec, vcc
	s_or_b64 s[54:55], vcc, s[54:55]
	s_andn2_b64 exec, exec, s[54:55]
	s_cbranch_execz .LBB11_528
.LBB11_498:                             ;   Parent Loop BB11_47 Depth=1
                                        ; =>  This Inner Loop Header: Depth=2
	s_sleep 1
	flat_load_dwordx2 v[58:59], v[42:43] sc0 sc1
	v_and_b32_e32 v6, 64, v62
	v_cmp_eq_u32_e32 vcc, 0, v6
	s_andn2_b64 s[56:57], s[56:57], exec
	s_and_saveexec_b64 s[58:59], vcc
	s_cbranch_execz .LBB11_497
; %bb.499:                              ;   in Loop: Header=BB11_498 Depth=2
	v_add_u32_e32 v6, 1, v1
	v_cmp_lt_i32_e32 vcc, s82, v1
	s_mov_b64 s[62:63], -1
	s_and_saveexec_b64 s[60:61], vcc
	s_cbranch_execz .LBB11_496
; %bb.500:                              ;   in Loop: Header=BB11_498 Depth=2
	s_trap 2
	ds_read_b64 v[6:7], v0
	s_waitcnt vmcnt(0) lgkmcnt(0)
	flat_load_dword v1, v[6:7] sc0 sc1
	s_waitcnt vmcnt(0) lgkmcnt(0)
	buffer_inv sc0 sc1
	v_cmp_ne_u32_e32 vcc, 0, v1
	s_and_saveexec_b64 s[64:65], vcc
	s_cbranch_execz .LBB11_495
; %bb.501:                              ;   in Loop: Header=BB11_498 Depth=2
	v_or_b32_e32 v62, 64, v62
	s_xor_b64 s[62:63], exec, -1
	ds_write_b32 v0, v1
	s_trap 2
	s_branch .LBB11_495
.LBB11_502:                             ;   in Loop: Header=BB11_47 Depth=1
	s_or_b64 exec, exec, s[30:31]
	v_and_b32_e32 v0, 12, v62
.LBB11_503:                             ;   in Loop: Header=BB11_47 Depth=1
	s_or_b64 exec, exec, s[28:29]
	v_cmp_eq_u32_e32 vcc, 0, v0
	s_orn2_b64 s[28:29], vcc, exec
	;;#ASMSTART
	s_wakeup
	;;#ASMEND
.LBB11_504:                             ;   in Loop: Header=BB11_47 Depth=1
	s_or_b64 exec, exec, s[26:27]
	s_xor_b64 s[26:27], s[28:29], -1
	v_min_i32_e32 v10, v10, v24
	s_and_saveexec_b64 s[28:29], s[26:27]
	s_cbranch_execz .LBB11_516
; %bb.505:                              ;   in Loop: Header=BB11_47 Depth=1
	v_and_b32_e32 v0, 0x108, v62
	v_cmp_ne_u32_e32 vcc, s83, v0
	v_and_b32_e32 v2, 7, v44
	s_and_saveexec_b64 s[26:27], vcc
	s_xor_b64 s[26:27], exec, s[26:27]
	s_andn2_saveexec_b64 s[26:27], s[26:27]
	s_cbranch_execz .LBB11_507
; %bb.506:                              ;   in Loop: Header=BB11_47 Depth=1
	v_ashrrev_i32_e32 v11, 31, v10
	v_mad_u64_u32 v[0:1], vcc, v2, 24, v[48:49]
	v_lshlrev_b64 v[4:5], 1, v[10:11]
	flat_store_dwordx2 v[0:1], v[4:5] offset:8
.LBB11_507:                             ;   in Loop: Header=BB11_47 Depth=1
	s_or_b64 exec, exec, s[26:27]
	v_and_b32_e32 v0, 0x100, v62
	v_cmp_ne_u32_e32 vcc, 0, v0
	s_mov_b64 s[26:27], -1
                                        ; implicit-def: $vgpr4_vgpr5
	s_and_saveexec_b64 s[30:31], vcc
	s_cbranch_execz .LBB11_511
; %bb.508:                              ;   in Loop: Header=BB11_47 Depth=1
	v_mad_u64_u32 v[6:7], s[26:27], v2, 24, v[48:49]
	v_mov_b32_e32 v0, v7
	v_mad_u64_u32 v[0:1], s[26:27], v3, 24, v[0:1]
	v_mov_b32_e32 v7, v0
	flat_load_dword v0, v[6:7]
                                        ; implicit-def: $vgpr4_vgpr5
	s_waitcnt vmcnt(0) lgkmcnt(0)
	v_cmp_ne_u32_e32 vcc, 1, v0
	v_cmp_eq_u32_e64 s[26:27], 1, v0
	s_and_saveexec_b64 s[58:59], s[26:27]
	s_cbranch_execz .LBB11_510
; %bb.509:                              ;   in Loop: Header=BB11_47 Depth=1
	flat_load_dword v0, v[6:7] offset:4 sc0 sc1
	s_waitcnt vmcnt(0) lgkmcnt(0)
	v_ashrrev_i32_e32 v1, 31, v0
	v_lshrrev_b64 v[4:5], 1, v[0:1]
.LBB11_510:                             ;   in Loop: Header=BB11_47 Depth=1
	s_or_b64 exec, exec, s[58:59]
	s_orn2_b64 s[26:27], vcc, exec
.LBB11_511:                             ;   in Loop: Header=BB11_47 Depth=1
	s_or_b64 exec, exec, s[30:31]
	s_and_saveexec_b64 vcc, s[26:27]
; %bb.512:                              ;   in Loop: Header=BB11_47 Depth=1
	v_mul_lo_u32 v0, v3, v40
	v_mul_lo_u32 v1, v2, v51
	v_mad_u64_u32 v[4:5], s[26:27], v2, v40, 0
	v_add3_u32 v5, v5, v1, v0
; %bb.513:                              ;   in Loop: Header=BB11_47 Depth=1
	s_or_b64 exec, exec, vcc
	v_lshl_add_u64 v[0:1], v[4:5], 1, v[36:37]
	s_trap 2
	ds_write_b64 v0, v[0:1]
	v_and_b32_e32 v0, 0x2000, v62
	v_cmp_ne_u32_e32 vcc, 0, v0
	s_and_saveexec_b64 s[26:27], vcc
	s_cbranch_execz .LBB11_515
; %bb.514:                              ;   in Loop: Header=BB11_47 Depth=1
	ds_read_b64 v[0:1], v0 offset:584
	s_waitcnt lgkmcnt(0)
	v_lshl_add_u64 v[0:1], v[0:1], 0, 1
	ds_write_b64 v0, v[0:1] offset:584
.LBB11_515:                             ;   in Loop: Header=BB11_47 Depth=1
	s_or_b64 exec, exec, s[26:27]
	v_lshl_add_u64 v[44:45], v[44:45], 0, 4
.LBB11_516:                             ;   in Loop: Header=BB11_47 Depth=1
	s_or_b64 exec, exec, s[28:29]
	s_and_saveexec_b64 s[26:27], s[6:7]
	s_cbranch_execz .LBB11_565
; %bb.517:                              ;   in Loop: Header=BB11_47 Depth=1
	s_and_saveexec_b64 s[28:29], s[40:41]
	s_xor_b64 s[28:29], exec, s[28:29]
	s_cbranch_execz .LBB11_562
; %bb.518:                              ;   in Loop: Header=BB11_47 Depth=1
	s_and_saveexec_b64 s[30:31], s[14:15]
	s_cbranch_execz .LBB11_561
; %bb.519:                              ;   in Loop: Header=BB11_47 Depth=1
	s_mov_b64 s[60:61], exec
	v_mbcnt_lo_u32_b32 v0, s60, 0
	v_mbcnt_hi_u32_b32 v0, s61, v0
	v_cmp_eq_u32_e32 vcc, 0, v0
	s_waitcnt lgkmcnt(0)
	s_and_saveexec_b64 s[58:59], vcc
	s_cbranch_execz .LBB11_521
; %bb.520:                              ;   in Loop: Header=BB11_47 Depth=1
	s_bcnt1_i32_b64 vcc_lo, s[60:61]
	v_mov_b32_e32 v2, vcc_lo
	ds_add_u64 v0, v[2:3]
	s_trap 2
.LBB11_521:                             ;   in Loop: Header=BB11_47 Depth=1
	s_or_b64 exec, exec, s[58:59]
	s_trap 2
	ds_read_b64 v[0:1], v0
	v_lshl_add_u64 v[26:27], v[26:27], 0, v[52:53]
	s_waitcnt lgkmcnt(0)
	v_cmp_lt_u64_e32 vcc, v[0:1], v[26:27]
	s_and_saveexec_b64 s[58:59], vcc
	s_cbranch_execz .LBB11_560
; %bb.522:                              ;   in Loop: Header=BB11_47 Depth=1
	s_mov_b32 s70, 0
	s_mov_b64 s[60:61], 0
                                        ; implicit-def: $sgpr62_sgpr63
                                        ; implicit-def: $sgpr64_sgpr65
	s_branch .LBB11_524
.LBB11_523:                             ;   in Loop: Header=BB11_524 Depth=2
	s_or_b64 exec, exec, s[68:69]
	s_and_b64 vcc, exec, vcc
	s_or_b64 s[60:61], vcc, s[60:61]
	s_andn2_b64 vcc, s[62:63], exec
	s_and_b64 s[62:63], s[64:65], exec
	s_or_b64 s[62:63], vcc, s[62:63]
	s_andn2_b64 exec, exec, s[60:61]
	s_cbranch_execz .LBB11_558
.LBB11_524:                             ;   Parent Loop BB11_47 Depth=1
                                        ; =>  This Inner Loop Header: Depth=2
	s_add_i32 s70, s70, 1
	s_cmpk_lg_i32 s70, 0x2710
	s_cselect_b64 s[66:67], -1, 0
	s_and_b64 vcc, exec, s[66:67]
                                        ; implicit-def: $sgpr68_sgpr69
	s_cbranch_vccnz .LBB11_526
; %bb.525:                              ;   in Loop: Header=BB11_524 Depth=2
	s_trap 2
	ds_read_b64 v[0:1], v0
	s_andn2_b64 s[66:67], s[66:67], exec
	s_mov_b32 s70, 0
	s_mov_b64 s[68:69], -1
	s_waitcnt vmcnt(0) lgkmcnt(0)
	flat_load_dword v0, v[0:1] sc0 sc1
	s_waitcnt vmcnt(0) lgkmcnt(0)
	buffer_inv sc0 sc1
	v_cmp_eq_u32_e32 vcc, 0, v0
	s_and_b64 vcc, vcc, exec
	s_or_b64 s[66:67], s[66:67], vcc
.LBB11_526:                             ;   in Loop: Header=BB11_524 Depth=2
	s_andn2_b64 s[64:65], s[64:65], exec
	s_and_b64 s[68:69], s[68:69], exec
	s_mov_b64 vcc, -1
	s_or_b64 s[64:65], s[64:65], s[68:69]
	s_and_saveexec_b64 s[68:69], s[66:67]
	s_cbranch_execz .LBB11_523
; %bb.527:                              ;   in Loop: Header=BB11_524 Depth=2
	s_sleep 1
	s_trap 2
	ds_read_b64 v[0:1], v0
	s_andn2_b64 s[64:65], s[64:65], exec
	s_waitcnt lgkmcnt(0)
	v_cmp_ge_u64_e32 vcc, v[0:1], v[26:27]
	s_orn2_b64 vcc, vcc, exec
	s_branch .LBB11_523
.LBB11_528:                             ;   in Loop: Header=BB11_47 Depth=1
	s_or_b64 exec, exec, s[54:55]
	v_and_b32_e32 v1, 12, v62
.LBB11_529:                             ;   in Loop: Header=BB11_47 Depth=1
	s_or_b64 exec, exec, s[30:31]
	v_cmp_eq_u32_e32 vcc, 0, v1
	s_orn2_b64 s[30:31], vcc, exec
	;;#ASMSTART
	s_wakeup
	;;#ASMEND
.LBB11_530:                             ;   in Loop: Header=BB11_47 Depth=1
	s_or_b64 exec, exec, s[26:27]
	v_sub_u32_e32 v0, v24, v0
	s_xor_b64 s[26:27], s[30:31], -1
	v_min_i32_e32 v6, v10, v0
	s_and_saveexec_b64 s[30:31], s[26:27]
	s_cbranch_execz .LBB11_546
; %bb.531:                              ;   in Loop: Header=BB11_47 Depth=1
	v_and_b32_e32 v0, 0x108, v62
	v_cmp_ne_u32_e32 vcc, s83, v0
	v_and_b32_e32 v2, 7, v44
	s_and_saveexec_b64 s[26:27], vcc
	s_xor_b64 s[26:27], exec, s[26:27]
	s_andn2_saveexec_b64 s[26:27], s[26:27]
	s_cbranch_execz .LBB11_533
; %bb.532:                              ;   in Loop: Header=BB11_47 Depth=1
	v_ashrrev_i32_e32 v7, 31, v6
	v_mad_u64_u32 v[0:1], vcc, v2, 24, v[48:49]
	v_lshlrev_b64 v[4:5], 1, v[6:7]
	flat_store_dwordx2 v[0:1], v[4:5] offset:8
.LBB11_533:                             ;   in Loop: Header=BB11_47 Depth=1
	s_or_b64 exec, exec, s[26:27]
	v_and_b32_e32 v0, 0x100, v62
	v_cmp_ne_u32_e32 vcc, 0, v0
	s_mov_b64 s[26:27], -1
                                        ; implicit-def: $vgpr4_vgpr5
	s_and_saveexec_b64 s[54:55], vcc
	s_cbranch_execz .LBB11_537
; %bb.534:                              ;   in Loop: Header=BB11_47 Depth=1
	v_mad_u64_u32 v[8:9], s[26:27], v2, 24, v[48:49]
	v_mov_b32_e32 v0, v9
	v_mad_u64_u32 v[0:1], s[26:27], v3, 24, v[0:1]
	v_mov_b32_e32 v9, v0
	flat_load_dword v0, v[8:9]
                                        ; implicit-def: $vgpr4_vgpr5
	s_waitcnt vmcnt(0) lgkmcnt(0)
	v_cmp_ne_u32_e32 vcc, 1, v0
	v_cmp_eq_u32_e64 s[26:27], 1, v0
	s_and_saveexec_b64 s[56:57], s[26:27]
	s_cbranch_execz .LBB11_536
; %bb.535:                              ;   in Loop: Header=BB11_47 Depth=1
	flat_load_dword v0, v[8:9] offset:4 sc0 sc1
	s_waitcnt vmcnt(0) lgkmcnt(0)
	v_ashrrev_i32_e32 v1, 31, v0
	v_lshrrev_b64 v[4:5], 1, v[0:1]
.LBB11_536:                             ;   in Loop: Header=BB11_47 Depth=1
	s_or_b64 exec, exec, s[56:57]
	s_orn2_b64 s[26:27], vcc, exec
.LBB11_537:                             ;   in Loop: Header=BB11_47 Depth=1
	s_or_b64 exec, exec, s[54:55]
	s_and_saveexec_b64 vcc, s[26:27]
; %bb.538:                              ;   in Loop: Header=BB11_47 Depth=1
	v_mul_lo_u32 v0, v3, v40
	v_mul_lo_u32 v1, v2, v51
	v_mad_u64_u32 v[4:5], s[26:27], v2, v40, 0
	v_add3_u32 v5, v5, v1, v0
; %bb.539:                              ;   in Loop: Header=BB11_47 Depth=1
	s_or_b64 exec, exec, vcc
	v_lshl_add_u64 v[0:1], v[4:5], 1, v[36:37]
	s_trap 2
	ds_write_b64 v0, v[0:1]
	v_and_b32_e32 v0, 0x2000, v62
	v_cmp_ne_u32_e32 vcc, 0, v0
	s_and_saveexec_b64 s[26:27], vcc
	s_cbranch_execz .LBB11_541
; %bb.540:                              ;   in Loop: Header=BB11_47 Depth=1
	ds_read_b64 v[0:1], v0 offset:584
	s_waitcnt lgkmcnt(0)
	v_lshl_add_u64 v[0:1], v[0:1], 0, 1
	ds_write_b64 v0, v[0:1] offset:584
.LBB11_541:                             ;   in Loop: Header=BB11_47 Depth=1
	s_or_b64 exec, exec, s[26:27]
	v_lshl_add_u64 v[44:45], v[44:45], 0, 4
	s_or_b64 exec, exec, s[30:31]
	s_and_saveexec_b64 s[26:27], s[6:7]
	s_cbranch_execnz .LBB11_547
.LBB11_542:                             ;   in Loop: Header=BB11_47 Depth=1
	s_or_b64 exec, exec, s[26:27]
                                        ; implicit-def: $vgpr0
	s_and_saveexec_b64 s[26:27], s[22:23]
	s_xor_b64 s[26:27], exec, s[26:27]
	s_cbranch_execz .LBB11_584
.LBB11_543:                             ;   in Loop: Header=BB11_47 Depth=1
	s_trap 2
	ds_read_b32 v1, v0
	v_cmp_lt_i32_e32 vcc, 0, v6
	v_and_b32_e32 v2, 16, v62
	v_and_b32_e32 v0, 16, v62
	s_waitcnt lgkmcnt(0)
	v_readfirstlane_b32 s30, v1
	s_cmp_eq_u32 s30, 0
	s_cselect_b64 s[30:31], -1, 0
	s_and_b64 s[30:31], vcc, s[30:31]
	v_cmp_ne_u32_e32 vcc, 0, v2
	s_and_b64 s[30:31], vcc, s[30:31]
	s_and_saveexec_b64 vcc, s[30:31]
	s_cbranch_execz .LBB11_545
; %bb.544:                              ;   in Loop: Header=BB11_47 Depth=1
	v_mov_b32_e32 v0, 1
	buffer_wbl2 sc1
	s_waitcnt vmcnt(0)
	buffer_inv sc1
.LBB11_545:                             ;   in Loop: Header=BB11_47 Depth=1
	s_or_b64 exec, exec, vcc
	s_andn2_saveexec_b64 s[26:27], s[26:27]
	s_cbranch_execz .LBB11_690
	s_branch .LBB11_585
.LBB11_546:                             ;   in Loop: Header=BB11_47 Depth=1
	s_or_b64 exec, exec, s[30:31]
	s_and_saveexec_b64 s[26:27], s[6:7]
	s_cbranch_execz .LBB11_542
.LBB11_547:                             ;   in Loop: Header=BB11_47 Depth=1
	s_and_saveexec_b64 vcc, s[40:41]
	s_xor_b64 s[30:31], exec, vcc
	s_cbranch_execz .LBB11_581
; %bb.548:                              ;   in Loop: Header=BB11_47 Depth=1
	s_and_saveexec_b64 s[54:55], s[14:15]
	s_cbranch_execz .LBB11_580
; %bb.549:                              ;   in Loop: Header=BB11_47 Depth=1
	s_mov_b64 s[58:59], exec
	v_mbcnt_lo_u32_b32 v0, s58, 0
	v_mbcnt_hi_u32_b32 v0, s59, v0
	v_cmp_eq_u32_e32 vcc, 0, v0
	s_waitcnt lgkmcnt(0)
	s_and_saveexec_b64 s[56:57], vcc
	s_cbranch_execz .LBB11_551
; %bb.550:                              ;   in Loop: Header=BB11_47 Depth=1
	s_bcnt1_i32_b64 vcc_lo, s[58:59]
	v_mov_b32_e32 v2, vcc_lo
	ds_add_u64 v0, v[2:3]
	s_trap 2
.LBB11_551:                             ;   in Loop: Header=BB11_47 Depth=1
	s_or_b64 exec, exec, s[56:57]
	s_trap 2
	ds_read_b64 v[0:1], v0
	v_lshl_add_u64 v[26:27], v[26:27], 0, v[52:53]
	s_waitcnt lgkmcnt(0)
	v_cmp_lt_u64_e32 vcc, v[0:1], v[26:27]
	s_and_saveexec_b64 s[56:57], vcc
	s_cbranch_execz .LBB11_579
; %bb.552:                              ;   in Loop: Header=BB11_47 Depth=1
	s_mov_b32 s68, 0
	s_mov_b64 s[58:59], 0
                                        ; implicit-def: $sgpr60_sgpr61
                                        ; implicit-def: $sgpr62_sgpr63
	s_branch .LBB11_554
.LBB11_553:                             ;   in Loop: Header=BB11_554 Depth=2
	s_or_b64 exec, exec, s[66:67]
	s_and_b64 vcc, exec, vcc
	s_or_b64 s[58:59], vcc, s[58:59]
	s_andn2_b64 vcc, s[60:61], exec
	s_and_b64 s[60:61], s[62:63], exec
	s_or_b64 s[60:61], vcc, s[60:61]
	s_andn2_b64 exec, exec, s[58:59]
	s_cbranch_execz .LBB11_577
.LBB11_554:                             ;   Parent Loop BB11_47 Depth=1
                                        ; =>  This Inner Loop Header: Depth=2
	s_add_i32 s68, s68, 1
	s_cmpk_lg_i32 s68, 0x2710
	s_cselect_b64 s[64:65], -1, 0
	s_and_b64 vcc, exec, s[64:65]
                                        ; implicit-def: $sgpr66_sgpr67
	s_cbranch_vccnz .LBB11_556
; %bb.555:                              ;   in Loop: Header=BB11_554 Depth=2
	s_trap 2
	ds_read_b64 v[0:1], v0
	s_andn2_b64 s[64:65], s[64:65], exec
	s_mov_b32 s68, 0
	s_mov_b64 s[66:67], -1
	s_waitcnt vmcnt(0) lgkmcnt(0)
	flat_load_dword v0, v[0:1] sc0 sc1
	s_waitcnt vmcnt(0) lgkmcnt(0)
	buffer_inv sc0 sc1
	v_cmp_eq_u32_e32 vcc, 0, v0
	s_and_b64 vcc, vcc, exec
	s_or_b64 s[64:65], s[64:65], vcc
.LBB11_556:                             ;   in Loop: Header=BB11_554 Depth=2
	s_andn2_b64 s[62:63], s[62:63], exec
	s_and_b64 s[66:67], s[66:67], exec
	s_mov_b64 vcc, -1
	s_or_b64 s[62:63], s[62:63], s[66:67]
	s_and_saveexec_b64 s[66:67], s[64:65]
	s_cbranch_execz .LBB11_553
; %bb.557:                              ;   in Loop: Header=BB11_554 Depth=2
	s_sleep 1
	s_trap 2
	ds_read_b64 v[0:1], v0
	s_andn2_b64 s[62:63], s[62:63], exec
	s_waitcnt lgkmcnt(0)
	v_cmp_ge_u64_e32 vcc, v[0:1], v[26:27]
	s_orn2_b64 vcc, vcc, exec
	s_branch .LBB11_553
.LBB11_558:                             ;   in Loop: Header=BB11_47 Depth=1
	s_or_b64 exec, exec, s[60:61]
	s_and_saveexec_b64 vcc, s[62:63]
	s_xor_b64 vcc, exec, vcc
	s_cbranch_execz .LBB11_560
; %bb.559:                              ;   in Loop: Header=BB11_47 Depth=1
	ds_write_b32 v0, v25
	s_trap 2
.LBB11_560:                             ;   in Loop: Header=BB11_47 Depth=1
	s_or_b64 exec, exec, s[58:59]
	;;#ASMSTART
	s_wakeup
	;;#ASMEND
.LBB11_561:                             ;   in Loop: Header=BB11_47 Depth=1
	s_or_b64 exec, exec, s[30:31]
.LBB11_562:                             ;   in Loop: Header=BB11_47 Depth=1
	s_andn2_saveexec_b64 s[28:29], s[28:29]
	s_cbranch_execz .LBB11_564
; %bb.563:                              ;   in Loop: Header=BB11_47 Depth=1
	s_waitcnt lgkmcnt(0)
	s_barrier
.LBB11_564:                             ;   in Loop: Header=BB11_47 Depth=1
	s_or_b64 exec, exec, s[28:29]
.LBB11_565:                             ;   in Loop: Header=BB11_47 Depth=1
	s_or_b64 exec, exec, s[26:27]
	s_trap 2
	ds_read_b32 v0, v0
	v_and_b32_e32 v1, 0x4000, v62
	v_cmp_ne_u32_e32 vcc, 0, v1
	s_xor_b64 s[26:27], s[4:5], -1
	s_and_b64 s[28:29], s[26:27], vcc
	s_and_saveexec_b64 s[26:27], s[28:29]
	s_cbranch_execz .LBB11_603
; %bb.566:                              ;   in Loop: Header=BB11_47 Depth=1
	s_and_saveexec_b64 s[28:29], s[40:41]
	s_xor_b64 s[28:29], exec, s[28:29]
	s_cbranch_execz .LBB11_600
; %bb.567:                              ;   in Loop: Header=BB11_47 Depth=1
	s_and_saveexec_b64 s[30:31], s[14:15]
	s_cbranch_execz .LBB11_599
; %bb.568:                              ;   in Loop: Header=BB11_47 Depth=1
	s_mov_b64 s[60:61], exec
	v_mbcnt_lo_u32_b32 v1, s60, 0
	v_mbcnt_hi_u32_b32 v1, s61, v1
	v_cmp_eq_u32_e32 vcc, 0, v1
	s_waitcnt lgkmcnt(0)
	s_and_saveexec_b64 s[58:59], vcc
	s_cbranch_execz .LBB11_570
; %bb.569:                              ;   in Loop: Header=BB11_47 Depth=1
	s_bcnt1_i32_b64 vcc_lo, s[60:61]
	v_mov_b32_e32 v2, vcc_lo
	ds_add_u64 v0, v[2:3]
	s_trap 2
.LBB11_570:                             ;   in Loop: Header=BB11_47 Depth=1
	s_or_b64 exec, exec, s[58:59]
	s_trap 2
	ds_read_b64 v[4:5], v0
	v_lshl_add_u64 v[26:27], v[26:27], 0, v[52:53]
	s_waitcnt lgkmcnt(0)
	v_cmp_lt_u64_e32 vcc, v[4:5], v[26:27]
	s_and_saveexec_b64 s[58:59], vcc
	s_cbranch_execz .LBB11_598
; %bb.571:                              ;   in Loop: Header=BB11_47 Depth=1
	s_mov_b32 s70, 0
	s_mov_b64 s[60:61], 0
                                        ; implicit-def: $sgpr62_sgpr63
                                        ; implicit-def: $sgpr64_sgpr65
	s_branch .LBB11_573
.LBB11_572:                             ;   in Loop: Header=BB11_573 Depth=2
	s_or_b64 exec, exec, s[68:69]
	s_and_b64 vcc, exec, vcc
	s_or_b64 s[60:61], vcc, s[60:61]
	s_andn2_b64 vcc, s[62:63], exec
	s_and_b64 s[62:63], s[64:65], exec
	s_or_b64 s[62:63], vcc, s[62:63]
	s_andn2_b64 exec, exec, s[60:61]
	s_cbranch_execz .LBB11_596
.LBB11_573:                             ;   Parent Loop BB11_47 Depth=1
                                        ; =>  This Inner Loop Header: Depth=2
	s_add_i32 s70, s70, 1
	s_cmpk_lg_i32 s70, 0x2710
	s_cselect_b64 s[66:67], -1, 0
	s_and_b64 vcc, exec, s[66:67]
                                        ; implicit-def: $sgpr68_sgpr69
	s_cbranch_vccnz .LBB11_575
; %bb.574:                              ;   in Loop: Header=BB11_573 Depth=2
	s_trap 2
	ds_read_b64 v[4:5], v0
	s_andn2_b64 s[66:67], s[66:67], exec
	s_mov_b32 s70, 0
	s_mov_b64 s[68:69], -1
	s_waitcnt vmcnt(0) lgkmcnt(0)
	flat_load_dword v1, v[4:5] sc0 sc1
	s_waitcnt vmcnt(0) lgkmcnt(0)
	buffer_inv sc0 sc1
	v_cmp_eq_u32_e32 vcc, 0, v1
	s_and_b64 vcc, vcc, exec
	s_or_b64 s[66:67], s[66:67], vcc
.LBB11_575:                             ;   in Loop: Header=BB11_573 Depth=2
	s_andn2_b64 s[64:65], s[64:65], exec
	s_and_b64 s[68:69], s[68:69], exec
	s_mov_b64 vcc, -1
	s_or_b64 s[64:65], s[64:65], s[68:69]
	s_and_saveexec_b64 s[68:69], s[66:67]
	s_cbranch_execz .LBB11_572
; %bb.576:                              ;   in Loop: Header=BB11_573 Depth=2
	s_sleep 1
	s_trap 2
	ds_read_b64 v[4:5], v0
	s_andn2_b64 s[64:65], s[64:65], exec
	s_waitcnt lgkmcnt(0)
	v_cmp_ge_u64_e32 vcc, v[4:5], v[26:27]
	s_orn2_b64 vcc, vcc, exec
	s_branch .LBB11_572
.LBB11_577:                             ;   in Loop: Header=BB11_47 Depth=1
	s_or_b64 exec, exec, s[58:59]
	s_and_saveexec_b64 vcc, s[60:61]
	s_xor_b64 vcc, exec, vcc
	s_cbranch_execz .LBB11_579
; %bb.578:                              ;   in Loop: Header=BB11_47 Depth=1
	ds_write_b32 v0, v25
	s_trap 2
.LBB11_579:                             ;   in Loop: Header=BB11_47 Depth=1
	s_or_b64 exec, exec, s[56:57]
	;;#ASMSTART
	s_wakeup
	;;#ASMEND
.LBB11_580:                             ;   in Loop: Header=BB11_47 Depth=1
	s_or_b64 exec, exec, s[54:55]
.LBB11_581:                             ;   in Loop: Header=BB11_47 Depth=1
	s_andn2_saveexec_b64 vcc, s[30:31]
	s_cbranch_execz .LBB11_583
; %bb.582:                              ;   in Loop: Header=BB11_47 Depth=1
	s_waitcnt lgkmcnt(0)
	s_barrier
.LBB11_583:                             ;   in Loop: Header=BB11_47 Depth=1
	s_or_b64 exec, exec, vcc
	s_or_b64 exec, exec, s[26:27]
                                        ; implicit-def: $vgpr0
	s_and_saveexec_b64 s[26:27], s[22:23]
	s_xor_b64 s[26:27], exec, s[26:27]
	s_cbranch_execnz .LBB11_543
.LBB11_584:                             ;   in Loop: Header=BB11_47 Depth=1
	s_andn2_saveexec_b64 s[26:27], s[26:27]
	s_cbranch_execz .LBB11_690
.LBB11_585:                             ;   in Loop: Header=BB11_47 Depth=1
	s_and_saveexec_b64 vcc, s[40:41]
	s_xor_b64 s[30:31], exec, vcc
	s_cbranch_execz .LBB11_687
; %bb.586:                              ;   in Loop: Header=BB11_47 Depth=1
	s_and_saveexec_b64 s[54:55], s[14:15]
	s_cbranch_execz .LBB11_686
; %bb.587:                              ;   in Loop: Header=BB11_47 Depth=1
	s_mov_b64 s[58:59], exec
	v_mbcnt_lo_u32_b32 v0, s58, 0
	v_mbcnt_hi_u32_b32 v0, s59, v0
	v_cmp_eq_u32_e32 vcc, 0, v0
	;;#ASMSTART
	s_waitcnt lgkmcnt(0) vmcnt(0)
	;;#ASMEND
	s_and_saveexec_b64 s[56:57], vcc
	s_cbranch_execz .LBB11_589
; %bb.588:                              ;   in Loop: Header=BB11_47 Depth=1
	s_bcnt1_i32_b64 vcc_lo, s[58:59]
	v_mov_b32_e32 v2, vcc_lo
	ds_add_u64 v0, v[2:3]
	s_trap 2
.LBB11_589:                             ;   in Loop: Header=BB11_47 Depth=1
	s_or_b64 exec, exec, s[56:57]
	s_trap 2
	ds_read_b64 v[0:1], v0
	v_lshl_add_u64 v[26:27], v[26:27], 0, v[52:53]
	s_waitcnt lgkmcnt(0)
	v_cmp_lt_u64_e32 vcc, v[0:1], v[26:27]
	s_and_saveexec_b64 s[56:57], vcc
	s_cbranch_execz .LBB11_685
; %bb.590:                              ;   in Loop: Header=BB11_47 Depth=1
	s_mov_b32 s68, 0
	s_mov_b64 s[58:59], 0
                                        ; implicit-def: $sgpr60_sgpr61
                                        ; implicit-def: $sgpr62_sgpr63
	s_branch .LBB11_592
.LBB11_591:                             ;   in Loop: Header=BB11_592 Depth=2
	s_or_b64 exec, exec, s[66:67]
	s_and_b64 vcc, exec, vcc
	s_or_b64 s[58:59], vcc, s[58:59]
	s_andn2_b64 vcc, s[60:61], exec
	s_and_b64 s[60:61], s[62:63], exec
	s_or_b64 s[60:61], vcc, s[60:61]
	s_andn2_b64 exec, exec, s[58:59]
	s_cbranch_execz .LBB11_683
.LBB11_592:                             ;   Parent Loop BB11_47 Depth=1
                                        ; =>  This Inner Loop Header: Depth=2
	s_add_i32 s68, s68, 1
	s_cmpk_lg_i32 s68, 0x2710
	s_cselect_b64 s[64:65], -1, 0
	s_and_b64 vcc, exec, s[64:65]
                                        ; implicit-def: $sgpr66_sgpr67
	s_cbranch_vccnz .LBB11_594
; %bb.593:                              ;   in Loop: Header=BB11_592 Depth=2
	s_trap 2
	ds_read_b64 v[0:1], v0
	s_andn2_b64 s[64:65], s[64:65], exec
	s_mov_b32 s68, 0
	s_mov_b64 s[66:67], -1
	s_waitcnt vmcnt(0) lgkmcnt(0)
	flat_load_dword v0, v[0:1] sc0 sc1
	s_waitcnt vmcnt(0) lgkmcnt(0)
	buffer_inv sc0 sc1
	v_cmp_eq_u32_e32 vcc, 0, v0
	s_and_b64 vcc, vcc, exec
	s_or_b64 s[64:65], s[64:65], vcc
.LBB11_594:                             ;   in Loop: Header=BB11_592 Depth=2
	s_andn2_b64 s[62:63], s[62:63], exec
	s_and_b64 s[66:67], s[66:67], exec
	s_mov_b64 vcc, -1
	s_or_b64 s[62:63], s[62:63], s[66:67]
	s_and_saveexec_b64 s[66:67], s[64:65]
	s_cbranch_execz .LBB11_591
; %bb.595:                              ;   in Loop: Header=BB11_592 Depth=2
	s_sleep 1
	s_trap 2
	ds_read_b64 v[0:1], v0
	s_andn2_b64 s[62:63], s[62:63], exec
	s_waitcnt lgkmcnt(0)
	v_cmp_ge_u64_e32 vcc, v[0:1], v[26:27]
	s_orn2_b64 vcc, vcc, exec
	s_branch .LBB11_591
.LBB11_596:                             ;   in Loop: Header=BB11_47 Depth=1
	s_or_b64 exec, exec, s[60:61]
	s_and_saveexec_b64 vcc, s[62:63]
	s_xor_b64 vcc, exec, vcc
	s_cbranch_execz .LBB11_598
; %bb.597:                              ;   in Loop: Header=BB11_47 Depth=1
	ds_write_b32 v0, v25
	s_trap 2
.LBB11_598:                             ;   in Loop: Header=BB11_47 Depth=1
	s_or_b64 exec, exec, s[58:59]
	;;#ASMSTART
	s_wakeup
	;;#ASMEND
.LBB11_599:                             ;   in Loop: Header=BB11_47 Depth=1
	s_or_b64 exec, exec, s[30:31]
.LBB11_600:                             ;   in Loop: Header=BB11_47 Depth=1
	s_andn2_saveexec_b64 s[28:29], s[28:29]
	s_cbranch_execz .LBB11_602
; %bb.601:                              ;   in Loop: Header=BB11_47 Depth=1
	s_waitcnt lgkmcnt(0)
	s_barrier
.LBB11_602:                             ;   in Loop: Header=BB11_47 Depth=1
	s_or_b64 exec, exec, s[28:29]
.LBB11_603:                             ;   in Loop: Header=BB11_47 Depth=1
	s_or_b64 exec, exec, s[26:27]
	s_trap 2
	s_waitcnt lgkmcnt(0)
	ds_read_b64 v[4:5], v0
	s_waitcnt lgkmcnt(0)
	v_readfirstlane_b32 s26, v4
	v_readfirstlane_b32 s27, v5
	s_cmp_eq_u64 s[26:27], 0
	s_cselect_b64 s[26:27], -1, 0
	s_or_b64 s[28:29], s[26:27], s[26:27]
	s_mov_b64 s[26:27], 0
	s_and_b64 vcc, exec, s[28:29]
	s_cbranch_vccnz .LBB11_611
; %bb.604:                              ;   in Loop: Header=BB11_47 Depth=1
	s_trap 2
	ds_read_b64 v[4:5], v0
	v_cmp_eq_u32_e64 s[26:27], 0, v0
	s_waitcnt lgkmcnt(0)
	v_cmp_ne_u64_e32 vcc, 0, v[4:5]
	v_cndmask_b32_e64 v1, 0, v10, s[26:27]
	s_cbranch_vccz .LBB11_616
; %bb.605:                              ;   in Loop: Header=BB11_47 Depth=1
	s_trap 2
	ds_read_b64 v[18:19], v0
	s_mov_b64 s[28:29], -1
	s_and_saveexec_b64 s[26:27], s[20:21]
	s_cbranch_execz .LBB11_607
; %bb.606:                              ;   in Loop: Header=BB11_47 Depth=1
	ds_read_b32 v0, v0 offset:720
	s_waitcnt lgkmcnt(0)
	v_and_b32_e32 v0, 15, v0
	v_cmp_eq_u32_e32 vcc, 0, v0
	s_orn2_b64 s[28:29], vcc, exec
.LBB11_607:                             ;   in Loop: Header=BB11_47 Depth=1
	s_or_b64 exec, exec, s[26:27]
	s_and_saveexec_b64 s[26:27], s[20:21]
	s_cbranch_execz .LBB11_609
; %bb.608:                              ;   in Loop: Header=BB11_47 Depth=1
	ds_read_b32 v0, v0 offset:784
	s_waitcnt lgkmcnt(0)
	v_and_b32_e32 v0, 15, v0
	v_cmp_eq_u32_e32 vcc, 0, v0
	s_and_b64 vcc, s[28:29], vcc
	s_andn2_b64 s[28:29], s[28:29], exec
	s_and_b64 vcc, vcc, exec
	s_or_b64 s[28:29], s[28:29], vcc
.LBB11_609:                             ;   in Loop: Header=BB11_47 Depth=1
	s_or_b64 exec, exec, s[26:27]
	s_xor_b64 s[28:29], s[28:29], -1
	v_cndmask_b32_e64 v0, 0, 1, s[28:29]
	v_accvgpr_write_b32 a35, v1
	v_lshlrev_b32_e32 v1, 1, v1
	s_mov_b64 s[26:27], -1
	;;#ASMSTART
	;;#ASMEND
	v_mov_b32_e32 v2, 0
	v_cmp_ne_u32_e32 vcc, 0, v0
	v_accvgpr_write_b32 a48, v10
	s_cbranch_vccz .LBB11_617
; %bb.610:                              ;   in Loop: Header=BB11_47 Depth=1
	v_mov_b32_e32 v14, v60
	v_mov_b32_e32 v5, v50
	s_and_saveexec_b64 s[30:31], s[26:27]
	s_cbranch_execnz .LBB11_632
	s_branch .LBB11_642
.LBB11_611:                             ;   in Loop: Header=BB11_47 Depth=1
	s_and_saveexec_b64 s[28:29], s[6:7]
	s_cbranch_execnz .LBB11_672
.LBB11_612:                             ;   in Loop: Header=BB11_47 Depth=1
	s_or_b64 exec, exec, s[28:29]
                                        ; implicit-def: $vgpr0
	s_and_saveexec_b64 s[28:29], s[22:23]
	s_xor_b64 s[28:29], exec, s[28:29]
	s_cbranch_execz .LBB11_702
.LBB11_613:                             ;   in Loop: Header=BB11_47 Depth=1
	v_and_b32_e32 v1, 16, v62
	v_cmp_ne_u32_e32 vcc, 0, v1
	v_and_b32_e32 v0, 16, v62
	s_and_b64 vcc, vcc, s[26:27]
	s_and_saveexec_b64 s[26:27], vcc
	s_cbranch_execz .LBB11_615
; %bb.614:                              ;   in Loop: Header=BB11_47 Depth=1
	v_mov_b32_e32 v0, 1
	buffer_wbl2 sc1
	s_waitcnt vmcnt(0) lgkmcnt(0)
	buffer_inv sc1
.LBB11_615:                             ;   in Loop: Header=BB11_47 Depth=1
	s_or_b64 exec, exec, s[26:27]
	s_andn2_saveexec_b64 s[26:27], s[28:29]
	s_cbranch_execz .LBB11_721
	s_branch .LBB11_703
.LBB11_616:                             ;   in Loop: Header=BB11_47 Depth=1
	s_cbranch_execnz .LBB11_643
	s_branch .LBB11_671
.LBB11_617:                             ;   in Loop: Header=BB11_47 Depth=1
	v_ashrrev_i32_e32 v0, 31, v1
	v_lshrrev_b32_e32 v0, 21, v0
	v_add_u32_e32 v0, v1, v0
	v_ashrrev_i32_e32 v0, 11, v0
	v_sub_u32_e32 v4, v0, v50
	v_cmp_lt_i32_e32 vcc, 0, v4
	s_and_saveexec_b64 s[26:27], vcc
	s_cbranch_execz .LBB11_621
; %bb.618:                              ;   in Loop: Header=BB11_47 Depth=1
	s_trap 2
	ds_read_b128 v[6:9], v0
	v_accvgpr_read_b32 v10, a38
	v_accvgpr_read_b32 v11, a39
	v_accvgpr_write_b32 a12, v44
	s_waitcnt lgkmcnt(0)
	v_accvgpr_write_b32 a51, v19
	v_lshl_add_u64 v[6:7], v[6:7], 0, v[10:11]
	v_lshl_add_u64 v[36:37], v[8:9], 0, v[10:11]
	v_accvgpr_write_b32 a49, v0
	v_accvgpr_write_b32 a34, v24
	v_mov_b64_e32 v[56:57], v[26:27]
	v_accvgpr_write_b32 a13, v45
	v_accvgpr_write_b32 a50, v18
	v_lshl_add_u64 v[38:39], v[18:19], 0, v[10:11]
	s_mov_b64 s[28:29], 0
	v_mov_b64_e32 v[48:49], v[6:7]
	v_mov_b64_e32 v[50:51], v[36:37]
.LBB11_619:                             ;   Parent Loop BB11_47 Depth=1
                                        ; =>  This Inner Loop Header: Depth=2
	global_load_dwordx4 v[16:19], v[36:37], off nt
	global_load_dwordx4 v[20:23], v[6:7], off nt
	global_load_dwordx4 v[8:11], v[6:7], off offset:1024 nt
	global_load_dwordx4 v[12:15], v[36:37], off offset:1024 nt
	global_load_dwordx4 v[32:35], v[38:39], off nt
	global_load_dwordx4 v[24:27], v[38:39], off offset:1024 nt
	scratch_load_dwordx2 v[30:31], off, s33 offset:152 ; 8-byte Folded Reload
	v_sub_u32_e32 v4, v4, v52
	v_cmp_gt_i32_e32 vcc, 1, v4
	s_or_b64 s[28:29], vcc, s[28:29]
	s_waitcnt vmcnt(0)
	v_mul_f16_e32 v0, v20, v16
	v_mul_f16_sdwa v5, v20, v16 dst_sel:DWORD dst_unused:UNUSED_PAD src0_sel:WORD_1 src1_sel:WORD_1
	v_mul_f16_e32 v16, v21, v17
	v_mul_f16_sdwa v17, v21, v17 dst_sel:DWORD dst_unused:UNUSED_PAD src0_sel:WORD_1 src1_sel:WORD_1
	v_mul_f16_e32 v20, v22, v18
	v_lshl_add_u64 v[6:7], v[6:7], 0, v[30:31]
	scratch_load_dwordx2 v[30:31], off, s33 offset:152 ; 8-byte Folded Reload
	v_mul_f16_sdwa v18, v22, v18 dst_sel:DWORD dst_unused:UNUSED_PAD src0_sel:WORD_1 src1_sel:WORD_1
	v_mul_f16_e32 v21, v23, v19
	v_mul_f16_sdwa v19, v23, v19 dst_sel:DWORD dst_unused:UNUSED_PAD src0_sel:WORD_1 src1_sel:WORD_1
	v_mul_f16_e32 v22, v8, v12
	;; [unrolled: 2-line block ×5, first 2 shown]
	v_mul_f16_sdwa v11, v11, v15 dst_sel:DWORD dst_unused:UNUSED_PAD src0_sel:WORD_1 src1_sel:WORD_1
	v_lshlrev_b32_e32 v15, 16, v17
	v_lshlrev_b32_e32 v23, 16, v5
	v_mul_f16_e32 v46, v0, v32
	v_mul_f16_sdwa v5, v5, v32 dst_sel:WORD_1 dst_unused:UNUSED_PAD src0_sel:DWORD src1_sel:WORD_1
	v_mul_f16_e32 v32, v16, v33
	v_mul_f16_sdwa v17, v17, v33 dst_sel:WORD_1 dst_unused:UNUSED_PAD src0_sel:DWORD src1_sel:WORD_1
	v_mul_f16_e32 v33, v20, v34
	v_lshlrev_b32_e32 v40, 16, v9
	v_lshlrev_b32_e32 v41, 16, v8
	;; [unrolled: 1-line block ×3, first 2 shown]
	v_mul_f16_e32 v47, v12, v25
	v_mul_f16_sdwa v9, v9, v25 dst_sel:WORD_1 dst_unused:UNUSED_PAD src0_sel:DWORD src1_sel:WORD_1
	v_mul_f16_e32 v25, v13, v26
	v_mul_f16_sdwa v26, v10, v26 dst_sel:WORD_1 dst_unused:UNUSED_PAD src0_sel:DWORD src1_sel:WORD_1
	;; [unrolled: 2-line block ×3, first 2 shown]
	v_or_b32_e32 v15, v15, v16
	v_or_b32_e32 v17, v17, v32
	;; [unrolled: 1-line block ×3, first 2 shown]
	v_lshlrev_b32_e32 v45, 16, v10
	v_or_b32_e32 v27, v40, v12
	v_or3_b32 v12, v41, v22, 0
	s_waitcnt vmcnt(0)
	v_lshl_add_u64 v[36:37], v[36:37], 0, v[30:31]
	scratch_load_dwordx2 v[30:31], off, s33 offset:152 ; 8-byte Folded Reload
	s_waitcnt vmcnt(0)
	v_lshl_add_u64 v[38:39], v[38:39], 0, v[30:31]
	v_lshlrev_b32_e32 v30, 16, v19
	v_lshlrev_b32_e32 v31, 16, v18
	v_mul_f16_sdwa v18, v18, v34 dst_sel:WORD_1 dst_unused:UNUSED_PAD src0_sel:DWORD src1_sel:WORD_1
	v_mul_f16_e32 v34, v21, v35
	v_mul_f16_sdwa v19, v19, v35 dst_sel:WORD_1 dst_unused:UNUSED_PAD src0_sel:DWORD src1_sel:WORD_1
	v_mul_f16_e32 v35, v22, v24
	v_mul_f16_sdwa v24, v8, v24 dst_sel:WORD_1 dst_unused:UNUSED_PAD src0_sel:DWORD src1_sel:WORD_1
	v_or_b32_e32 v19, v19, v34
	v_or_b32_e32 v18, v18, v33
	v_or3_b32 v8, v23, v0, 0
	v_or_b32_e32 v0, v30, v21
	v_or3_b32 v10, v31, v20, 0
	v_or_b32_e32 v21, v9, v47
	v_or_b32_e32 v20, v24, v35
	;; [unrolled: 1-line block ×4, first 2 shown]
	global_store_dwordx4 v[48:49], v[16:19], off nt
	global_store_dwordx4 v[48:49], v[20:23], off offset:1024 nt
	scratch_load_dwordx2 v[16:17], off, s33 offset:152 ; 8-byte Folded Reload
	v_or_b32_e32 v30, v44, v14
	v_or3_b32 v9, 0, 0, v15
	v_or3_b32 v11, 0, 0, v0
	;; [unrolled: 1-line block ×5, first 2 shown]
	global_store_dwordx4 v[50:51], v[8:11], off nt
	global_store_dwordx4 v[50:51], v[12:15], off offset:1024 nt
	s_waitcnt vmcnt(2)
	v_lshl_add_u64 v[48:49], v[48:49], 0, v[16:17]
	v_lshl_add_u64 v[50:51], v[50:51], 0, v[16:17]
	s_andn2_b64 exec, exec, s[28:29]
	s_cbranch_execnz .LBB11_619
; %bb.620:                              ;   in Loop: Header=BB11_47 Depth=1
	s_or_b64 exec, exec, s[28:29]
	v_accvgpr_read_b32 v47, a5
	v_accvgpr_read_b32 v45, a13
	;; [unrolled: 1-line block ×22, first 2 shown]
	v_mov_b64_e32 v[26:27], v[56:57]
	v_accvgpr_read_b32 v23, a37
	v_mov_b32_e32 v25, 1
	v_accvgpr_read_b32 v24, a34
	v_accvgpr_read_b32 v19, a51
	;; [unrolled: 1-line block ×3, first 2 shown]
.LBB11_621:                             ;   in Loop: Header=BB11_47 Depth=1
	s_or_b64 exec, exec, s[26:27]
	s_waitcnt vmcnt(0)
	v_lshlrev_b32_e32 v20, 11, v0
	v_cmp_ne_u32_e32 vcc, v1, v20
	s_mov_b64 s[26:27], 0
	v_mov_b32_e32 v2, 0
                                        ; implicit-def: $vgpr14
                                        ; implicit-def: $vgpr5
	s_and_saveexec_b64 s[58:59], vcc
	s_cbranch_execz .LBB11_631
; %bb.622:                              ;   in Loop: Header=BB11_47 Depth=1
	v_lshlrev_b32_e32 v2, 6, v4
	v_accvgpr_read_b32 v4, a31
	v_sub_u32_e32 v2, v4, v2
	v_ashrrev_i32_e32 v4, 31, v2
	v_lshrrev_b32_e32 v4, 26, v4
	v_add_u32_e32 v4, v2, v4
	v_sub_u32_e32 v0, v1, v20
	v_ashrrev_i32_e32 v5, 6, v4
	v_and_b32_e32 v4, 0xffffffc0, v4
	v_sub_u32_e32 v22, v2, v4
	v_ashrrev_i32_e32 v4, 31, v0
	v_lshrrev_b32_e32 v4, 22, v4
	v_add_u32_e32 v4, v0, v4
	v_and_b32_e32 v23, 0xfffffc00, v4
	v_lshlrev_b32_e32 v2, 4, v22
	v_sub_u32_e32 v25, v0, v23
	v_accvgpr_write_b32 a12, v26
	v_lshl_add_u32 v2, v5, 10, v2
	v_ashrrev_i32_e32 v6, 10, v4
	v_cmp_lt_i32_e64 s[26:27], 15, v25
	v_accvgpr_write_b32 a13, v27
	v_sub_u32_e32 v26, v0, v2
	v_addc_co_u32_e64 v0, vcc, 0, v6, s[26:27]
	v_mov_b32_e32 v56, v24
	v_sub_u32_e32 v24, v0, v5
	v_cmp_lt_i32_e32 vcc, 15, v26
	s_and_saveexec_b64 s[60:61], vcc
	s_cbranch_execz .LBB11_628
; %bb.623:                              ;   in Loop: Header=BB11_47 Depth=1
	s_trap 2
	ds_read_b128 v[4:7], v0
	v_add_u32_e32 v12, v2, v20
	v_ashrrev_i32_e32 v13, 31, v12
	s_waitcnt lgkmcnt(1)
	v_accvgpr_write_b32 a51, v19
	v_lshl_add_u64 v[8:9], v[12:13], 0, v[18:19]
	s_waitcnt lgkmcnt(0)
	v_lshl_add_u64 v[10:11], v[4:5], 0, v[12:13]
	v_lshl_add_u64 v[12:13], v[6:7], 0, v[12:13]
	v_accvgpr_write_b32 a50, v18
	s_mov_b64 s[62:63], 0
	v_mov_b64_e32 v[14:15], v[10:11]
	v_mov_b64_e32 v[16:17], v[12:13]
.LBB11_624:                             ;   Parent Loop BB11_47 Depth=1
                                        ; =>  This Loop Header: Depth=2
                                        ;       Child Loop BB11_625 Depth 3
	global_load_dwordx4 v[4:7], v[14:15], off nt
	global_load_dwordx4 v[32:35], v[16:17], off nt
	;; [unrolled: 1-line block ×3, first 2 shown]
	s_mov_b64 s[64:65], -1
	s_mov_b64 s[66:67], 0
	s_waitcnt vmcnt(1)
	v_mul_f16_e32 v0, v4, v32
	v_mul_f16_sdwa v2, v4, v32 dst_sel:DWORD dst_unused:UNUSED_PAD src0_sel:WORD_1 src1_sel:WORD_1
	v_mul_f16_e32 v4, v5, v33
	v_mul_f16_sdwa v5, v5, v33 dst_sel:DWORD dst_unused:UNUSED_PAD src0_sel:WORD_1 src1_sel:WORD_1
	;; [unrolled: 2-line block ×4, first 2 shown]
	v_lshlrev_b32_e32 v21, 16, v5
	v_lshlrev_b32_e32 v27, 16, v2
	;; [unrolled: 1-line block ×4, first 2 shown]
	s_waitcnt vmcnt(0)
	v_mul_f16_e32 v32, v0, v36
	v_mul_f16_sdwa v33, v2, v36 dst_sel:WORD_1 dst_unused:UNUSED_PAD src0_sel:DWORD src1_sel:WORD_1
	v_mul_f16_e32 v34, v4, v37
	v_mul_f16_sdwa v5, v5, v37 dst_sel:WORD_1 dst_unused:UNUSED_PAD src0_sel:DWORD src1_sel:WORD_1
	;; [unrolled: 2-line block ×4, first 2 shown]
	v_or_b32_e32 v21, v21, v4
	v_or3_b32 v2, v27, v0, 0
	v_or_b32_e32 v0, v30, v19
	v_or3_b32 v4, v31, v18, 0
	v_or_b32_e32 v5, v5, v34
	v_or_b32_e32 v6, v33, v32
	;; [unrolled: 1-line block ×4, first 2 shown]
	v_or3_b32 v19, 0, 0, v21
	v_or3_b32 v21, 0, 0, v0
.LBB11_625:                             ;   Parent Loop BB11_47 Depth=1
                                        ;     Parent Loop BB11_624 Depth=2
                                        ; =>    This Inner Loop Header: Depth=3
	v_cndmask_b32_e64 v0, 0, 1, s[64:65]
	v_cndmask_b32_e64 v33, v19, v5, s[64:65]
	v_readfirstlane_b32 s28, v0
	s_cmp_lg_u32 s28, 1
	s_cselect_b64 vcc, -1, 0
	s_cmp_eq_u32 s66, 1
	s_cselect_b64 s[28:29], -1, 0
	v_cndmask_b32_e64 v32, v2, v6, s[64:65]
	v_cndmask_b32_e64 v35, v21, v7, s[64:65]
	;; [unrolled: 1-line block ×3, first 2 shown]
	v_cndmask_b32_e32 v37, v11, v13, vcc
	v_cndmask_b32_e32 v36, v10, v12, vcc
	v_cndmask_b32_e64 v39, v11, v13, s[28:29]
	s_cmp_eq_u32 s66, 0
	v_cndmask_b32_e64 v38, v10, v12, s[28:29]
	global_store_dwordx4 v[36:37], v[32:35], off nt
	s_cselect_b64 s[30:31], -1, 0
	s_mov_b64 s[64:65], 0
	v_lshl_add_u64 v[32:33], v[38:39], 0, s[42:43]
	s_mov_b64 s[66:67], 1
	s_and_b64 vcc, exec, vcc
	v_cndmask_b32_e64 v13, v13, v33, s[28:29]
	v_cndmask_b32_e64 v12, v12, v32, s[28:29]
	;; [unrolled: 1-line block ×4, first 2 shown]
	s_cbranch_vccz .LBB11_625
; %bb.626:                              ;   in Loop: Header=BB11_624 Depth=2
	v_accvgpr_read_b32 v4, a26
	v_sub_u32_e32 v26, v26, v61
	v_accvgpr_read_b32 v5, a27
	v_cmp_gt_i32_e32 vcc, 16, v26
	v_lshl_add_u64 v[14:15], v[14:15], 0, v[28:29]
	v_lshl_add_u64 v[16:17], v[16:17], 0, v[28:29]
	;; [unrolled: 1-line block ×5, first 2 shown]
	s_or_b64 s[62:63], vcc, s[62:63]
	v_sub_u32_e32 v24, v24, v52
	s_andn2_b64 exec, exec, s[62:63]
	s_cbranch_execnz .LBB11_624
; %bb.627:                              ;   in Loop: Header=BB11_47 Depth=1
	s_or_b64 exec, exec, s[62:63]
	v_accvgpr_read_b32 v37, a19
	v_accvgpr_read_b32 v39, a21
	;; [unrolled: 1-line block ×12, first 2 shown]
.LBB11_628:                             ;   in Loop: Header=BB11_47 Depth=1
	s_or_b64 exec, exec, s[60:61]
	v_and_b32_e32 v4, 14, v1
	v_cndmask_b32_e64 v1, v25, v4, s[26:27]
	s_mov_b64 s[28:29], 0
	v_mov_b32_e32 v2, 0
	v_cmp_ne_u32_e32 vcc, 0, v1
                                        ; implicit-def: $vgpr14
                                        ; implicit-def: $vgpr5
	s_mov_b64 s[30:31], exec
	v_accvgpr_read_b32 v27, a13
	s_and_b64 vcc, s[30:31], vcc
	v_accvgpr_read_b32 v26, a12
	s_mov_b64 exec, vcc
	s_cbranch_execz .LBB11_630
; %bb.629:                              ;   in Loop: Header=BB11_47 Depth=1
	v_sub_u32_e32 v0, v25, v4
	v_cndmask_b32_e64 v0, 0, v0, s[26:27]
	v_cmp_lt_i32_e32 vcc, 0, v24
	v_add3_u32 v2, v23, v20, v0
	s_mov_b64 s[28:29], exec
	v_cndmask_b32_e32 v0, 0, v52, vcc
	v_sub_u32_e32 v0, v0, v24
	v_lshl_add_u32 v14, v0, 6, v22
	v_ashrrev_i32_e32 v0, 31, v14
	v_lshrrev_b32_e32 v0, 26, v0
	v_add_u32_e32 v0, v14, v0
	v_ashrrev_i32_e32 v5, 6, v0
.LBB11_630:                             ;   in Loop: Header=BB11_47 Depth=1
	s_or_b64 exec, exec, s[30:31]
	v_accvgpr_read_b32 v22, a36
	s_and_b64 s[26:27], s[28:29], exec
	v_accvgpr_read_b32 v23, a37
	v_mov_b32_e32 v25, 1
	v_mov_b32_e32 v24, v56
.LBB11_631:                             ;   in Loop: Header=BB11_47 Depth=1
	s_or_b64 exec, exec, s[58:59]
	scratch_load_dwordx2 v[20:21], off, s33 offset:152 ; 8-byte Folded Reload
	s_and_saveexec_b64 s[30:31], s[26:27]
	s_cbranch_execz .LBB11_642
.LBB11_632:                             ;   in Loop: Header=BB11_47 Depth=1
	v_ashrrev_i32_e32 v0, 31, v1
	v_lshrrev_b32_e32 v0, 22, v0
	v_add_u32_e32 v0, v1, v0
	s_waitcnt vmcnt(0)
	v_ashrrev_i32_e32 v17, 10, v0
	v_sub_u32_e32 v15, v17, v5
	v_ashrrev_i32_e32 v0, 31, v14
	v_cmp_lt_i32_e32 vcc, 0, v15
	v_lshrrev_b32_e32 v16, 26, v0
	s_and_saveexec_b64 s[26:27], vcc
	s_cbranch_execz .LBB11_636
; %bb.633:                              ;   in Loop: Header=BB11_47 Depth=1
	v_add_u32_e32 v0, v14, v16
	v_and_b32_e32 v0, 0x7fffffc0, v0
	v_sub_u32_e32 v0, v14, v0
	v_lshlrev_b32_e32 v0, 1, v0
	s_trap 2
	ds_read_b128 v[8:11], v0
	v_lshlrev_b32_e32 v4, 10, v5
	v_add3_u32 v4, v0, v2, v4
	v_ashrrev_i32_e32 v5, 31, v4
	v_accvgpr_write_b32 a12, v26
	s_waitcnt lgkmcnt(1)
	v_accvgpr_write_b32 a51, v19
	v_lshl_add_u64 v[6:7], v[4:5], 0, v[18:19]
	s_waitcnt lgkmcnt(0)
	v_lshl_add_u64 v[8:9], v[8:9], 0, v[4:5]
	v_lshl_add_u64 v[4:5], v[10:11], 0, v[4:5]
	v_mov_b32_e32 v56, v24
	v_accvgpr_write_b32 a13, v27
	v_accvgpr_write_b32 a50, v18
	s_mov_b64 s[28:29], 0
	v_mov_b64_e32 v[10:11], v[8:9]
	v_mov_b64_e32 v[12:13], v[4:5]
.LBB11_634:                             ;   Parent Loop BB11_47 Depth=1
                                        ; =>  This Inner Loop Header: Depth=2
	flat_load_ushort v0, v[8:9] nt
	flat_load_ushort v18, v[8:9] offset:128 nt
	flat_load_ushort v19, v[8:9] offset:256 nt
	;; [unrolled: 1-line block ×13, first 2 shown]
	flat_load_ushort v33, v[4:5] nt
	flat_load_ushort v34, v[4:5] offset:128 nt
	flat_load_ushort v35, v[4:5] offset:256 nt
	;; [unrolled: 1-line block ×7, first 2 shown]
	flat_load_ushort v49, v[6:7] nt
	flat_load_ushort v50, v[6:7] offset:128 nt
	v_sub_u32_e32 v15, v15, v52
	v_cmp_gt_i32_e32 vcc, 1, v15
	v_lshl_add_u64 v[8:9], v[8:9], 0, v[28:29]
	v_lshl_add_u64 v[4:5], v[4:5], 0, v[28:29]
	;; [unrolled: 1-line block ×3, first 2 shown]
	s_or_b64 s[28:29], vcc, s[28:29]
	s_waitcnt vmcnt(0) lgkmcnt(0)
	v_mul_f16_e32 v0, v0, v33
	v_mul_f16_e32 v18, v18, v34
	;; [unrolled: 1-line block ×16, first 2 shown]
	flat_store_short v[10:11], v33 nt
	flat_store_short v[10:11], v34 offset:128 nt
	flat_store_short v[10:11], v25 offset:256 nt
	;; [unrolled: 1-line block ×7, first 2 shown]
	flat_store_short v[12:13], v0 nt
	flat_store_short v[12:13], v18 offset:128 nt
	flat_store_short v[12:13], v19 offset:256 nt
	;; [unrolled: 1-line block ×7, first 2 shown]
	v_lshl_add_u64 v[10:11], v[10:11], 0, v[28:29]
	v_lshl_add_u64 v[12:13], v[12:13], 0, v[28:29]
	s_andn2_b64 exec, exec, s[28:29]
	s_cbranch_execnz .LBB11_634
; %bb.635:                              ;   in Loop: Header=BB11_47 Depth=1
	s_or_b64 exec, exec, s[28:29]
	scratch_load_dwordx2 v[20:21], off, s33 offset:152 ; 8-byte Folded Reload
	v_accvgpr_read_b32 v49, a15
	v_accvgpr_read_b32 v37, a19
	;; [unrolled: 1-line block ×19, first 2 shown]
	v_mov_b32_e32 v25, 1
	v_mov_b32_e32 v24, v56
	v_accvgpr_read_b32 v19, a51
.LBB11_636:                             ;   in Loop: Header=BB11_47 Depth=1
	s_or_b64 exec, exec, s[26:27]
	v_lshlrev_b32_e32 v4, 10, v17
	v_cmp_ne_u32_e32 vcc, v1, v4
	s_and_b64 exec, exec, vcc
	s_cbranch_execz .LBB11_642
; %bb.637:                              ;   in Loop: Header=BB11_47 Depth=1
	v_add_u32_e32 v0, v14, v16
	v_and_b32_e32 v0, 0xffffffc0, v0
	v_sub_u32_e32 v0, v14, v0
	v_lshlrev_b32_e32 v5, 6, v15
	v_sub_u32_e32 v0, v0, v5
	v_ashrrev_i32_e32 v5, 31, v0
	v_lshrrev_b32_e32 v5, 26, v5
	v_add_u32_e32 v5, v0, v5
	v_and_b32_e32 v6, 0x7fffffc0, v5
	v_sub_u32_e32 v0, v0, v6
	v_lshlrev_b32_e32 v5, 1, v5
	v_and_b32_e32 v5, 0xffffff80, v5
	v_lshlrev_b32_e32 v0, 1, v0
	v_add3_u32 v4, v5, v0, v4
	v_sub_u32_e32 v1, v1, v4
	v_cmp_lt_i32_e32 vcc, 1, v1
	s_and_b64 exec, exec, vcc
	s_cbranch_execz .LBB11_642
; %bb.638:                              ;   in Loop: Header=BB11_47 Depth=1
	s_trap 2
	ds_read_b128 v[8:11], v0
	v_add_u32_e32 v12, v4, v2
	v_ashrrev_i32_e32 v13, 31, v12
	s_waitcnt lgkmcnt(0)
	v_lshl_add_u64 v[6:7], v[12:13], 0, v[18:19]
	s_mov_b64 s[58:59], 0
	v_lshl_add_u64 v[4:5], v[8:9], 0, v[12:13]
	v_lshl_add_u64 v[8:9], v[10:11], 0, v[12:13]
	v_mov_b64_e32 v[10:11], v[4:5]
	v_mov_b64_e32 v[12:13], v[8:9]
.LBB11_639:                             ;   Parent Loop BB11_47 Depth=1
                                        ; =>  This Loop Header: Depth=2
                                        ;       Child Loop BB11_640 Depth 3
	flat_load_ushort v0, v[10:11] nt
	flat_load_ushort v2, v[12:13] nt
	;; [unrolled: 1-line block ×3, first 2 shown]
	s_mov_b64 s[62:63], -1
	s_mov_b64 s[60:61], 0
	s_waitcnt vmcnt(0) lgkmcnt(0)
	v_mul_f16_e32 v2, v0, v2
	v_mul_f16_e32 v14, v14, v2
.LBB11_640:                             ;   Parent Loop BB11_47 Depth=1
                                        ;     Parent Loop BB11_639 Depth=2
                                        ; =>    This Inner Loop Header: Depth=3
	v_cndmask_b32_e64 v15, 0, 1, s[62:63]
	v_cndmask_b32_e64 v0, v2, v14, s[62:63]
	v_readfirstlane_b32 s26, v15
	s_cmp_lg_u32 s26, 1
	s_cselect_b64 vcc, -1, 0
	s_cmp_eq_u32 s60, 1
	s_cselect_b64 s[26:27], -1, 0
	v_cndmask_b32_e32 v17, v5, v9, vcc
	v_cndmask_b32_e32 v16, v4, v8, vcc
	v_cndmask_b32_e64 v19, v5, v9, s[26:27]
	s_cmp_eq_u32 s60, 0
	v_cndmask_b32_e64 v18, v4, v8, s[26:27]
	flat_store_short v[16:17], v0 nt
	v_lshl_add_u64 v[16:17], v[18:19], 0, s[44:45]
	s_cselect_b64 s[28:29], -1, 0
	s_mov_b64 s[62:63], 0
	s_mov_b64 s[60:61], 1
	s_and_b64 vcc, exec, vcc
	v_cndmask_b32_e64 v9, v9, v17, s[26:27]
	v_cndmask_b32_e64 v8, v8, v16, s[26:27]
	;; [unrolled: 1-line block ×4, first 2 shown]
	s_cbranch_vccz .LBB11_640
; %bb.641:                              ;   in Loop: Header=BB11_639 Depth=2
	v_sub_u32_e32 v1, v1, v41
	v_cmp_gt_i32_e32 vcc, 2, v1
	v_lshl_add_u64 v[10:11], v[10:11], 0, v[22:23]
	v_lshl_add_u64 v[12:13], v[12:13], 0, v[22:23]
	;; [unrolled: 1-line block ×4, first 2 shown]
	s_or_b64 s[58:59], vcc, s[58:59]
	v_lshl_add_u64 v[6:7], v[6:7], 0, v[22:23]
	s_andn2_b64 exec, exec, s[58:59]
	s_cbranch_execnz .LBB11_639
.LBB11_642:                             ;   in Loop: Header=BB11_47 Depth=1
	s_or_b64 exec, exec, s[30:31]
	scratch_load_dwordx2 v[16:17], off, s33 offset:160 ; 8-byte Folded Reload
	s_waitcnt lgkmcnt(0)
	v_accvgpr_read_b32 v18, a42
	v_accvgpr_read_b32 v12, a44
	;; [unrolled: 1-line block ×6, first 2 shown]
	s_branch .LBB11_671
.LBB11_643:                             ;   in Loop: Header=BB11_47 Depth=1
	s_mov_b64 s[26:27], -1
	s_and_saveexec_b64 s[28:29], s[20:21]
	s_cbranch_execz .LBB11_645
; %bb.644:                              ;   in Loop: Header=BB11_47 Depth=1
	ds_read_b32 v0, v0 offset:720
	s_waitcnt lgkmcnt(0)
	v_and_b32_e32 v0, 15, v0
	v_cmp_eq_u32_e32 vcc, 0, v0
	s_orn2_b64 s[26:27], vcc, exec
.LBB11_645:                             ;   in Loop: Header=BB11_47 Depth=1
	s_or_b64 exec, exec, s[28:29]
	s_and_saveexec_b64 s[28:29], s[16:17]
	s_cbranch_execz .LBB11_647
; %bb.646:                              ;   in Loop: Header=BB11_47 Depth=1
	ds_read_b32 v0, v0 offset:784
	s_waitcnt lgkmcnt(0)
	v_and_b32_e32 v0, 15, v0
	v_cmp_eq_u32_e32 vcc, 0, v0
	s_and_b64 vcc, s[26:27], vcc
	s_andn2_b64 s[26:27], s[26:27], exec
	s_and_b64 vcc, vcc, exec
	s_or_b64 s[26:27], s[26:27], vcc
.LBB11_647:                             ;   in Loop: Header=BB11_47 Depth=1
	s_or_b64 exec, exec, s[28:29]
	s_xor_b64 s[26:27], s[26:27], -1
	v_cndmask_b32_e64 v0, 0, 1, s[26:27]
	v_lshlrev_b32_e32 v7, 1, v1
	s_mov_b64 s[30:31], -1
	;;#ASMSTART
	;;#ASMEND
	v_mov_b32_e32 v6, 0
	v_cmp_ne_u32_e32 vcc, 0, v0
	v_accvgpr_write_b32 a35, v1
	s_cbranch_vccz .LBB11_649
; %bb.648:                              ;   in Loop: Header=BB11_47 Depth=1
	v_accvgpr_write_b32 a48, v10
	v_mov_b32_e32 v1, v60
	v_mov_b32_e32 v4, v50
	s_and_saveexec_b64 s[26:27], s[30:31]
	s_cbranch_execnz .LBB11_662
	s_branch .LBB11_670
.LBB11_649:                             ;   in Loop: Header=BB11_47 Depth=1
	v_ashrrev_i32_e32 v0, 31, v7
	v_lshrrev_b32_e32 v0, 21, v0
	v_add_u32_e32 v0, v7, v0
	v_ashrrev_i32_e32 v2, 11, v0
	v_sub_u32_e32 v31, v2, v50
	v_cmp_lt_i32_e32 vcc, 0, v31
	s_and_saveexec_b64 s[26:27], vcc
	s_cbranch_execz .LBB11_653
; %bb.650:                              ;   in Loop: Header=BB11_47 Depth=1
	v_accvgpr_write_b32 a48, v7
	s_trap 2
	ds_read_b128 v[6:9], v0
	ds_read_b64 v[4:5], v0
	v_accvgpr_read_b32 v38, a38
	v_accvgpr_write_b32 a12, v26
	v_accvgpr_read_b32 v39, a39
	v_accvgpr_write_b32 a34, v10
	v_mov_b32_e32 v30, v24
	v_accvgpr_write_b32 a13, v27
	s_mov_b64 s[28:29], 0
	s_waitcnt lgkmcnt(0)
	v_lshl_add_u64 v[6:7], v[6:7], 0, v[38:39]
	v_lshl_add_u64 v[36:37], v[8:9], 0, v[38:39]
	s_waitcnt vmcnt(0)
	v_mov_b64_e32 v[56:57], v[20:21]
.LBB11_651:                             ;   Parent Loop BB11_47 Depth=1
                                        ; =>  This Inner Loop Header: Depth=2
	global_load_dwordx4 v[24:27], v[36:37], off nt
	global_load_dwordx4 v[32:35], v[6:7], off nt
	global_load_dwordx4 v[16:19], v[6:7], off offset:1024 nt
	global_load_dwordx4 v[20:23], v[36:37], off offset:1024 nt
	global_load_dwordx4 v[12:15], v[38:39], off nt
	global_load_dwordx4 v[8:11], v[38:39], off offset:1024 nt
	v_sub_u32_e32 v31, v31, v52
	v_cmp_gt_i32_e32 vcc, 1, v31
	v_lshl_add_u64 v[48:49], v[4:5], 0, v[38:39]
	v_lshl_add_u64 v[6:7], v[6:7], 0, v[56:57]
	v_lshl_add_u64 v[36:37], v[36:37], 0, v[56:57]
	v_lshl_add_u64 v[38:39], v[38:39], 0, v[56:57]
	s_or_b64 s[28:29], vcc, s[28:29]
	s_waitcnt vmcnt(4)
	v_mul_f16_e32 v0, v32, v24
	v_mul_f16_sdwa v1, v32, v24 dst_sel:DWORD dst_unused:UNUSED_PAD src0_sel:WORD_1 src1_sel:WORD_1
	v_mul_f16_e32 v24, v33, v25
	v_mul_f16_sdwa v25, v33, v25 dst_sel:DWORD dst_unused:UNUSED_PAD src0_sel:WORD_1 src1_sel:WORD_1
	;; [unrolled: 2-line block ×4, first 2 shown]
	s_waitcnt vmcnt(2)
	v_mul_f16_e32 v34, v16, v20
	v_mul_f16_sdwa v16, v16, v20 dst_sel:DWORD dst_unused:UNUSED_PAD src0_sel:WORD_1 src1_sel:WORD_1
	v_mul_f16_e32 v20, v17, v21
	v_mul_f16_sdwa v17, v17, v21 dst_sel:DWORD dst_unused:UNUSED_PAD src0_sel:WORD_1 src1_sel:WORD_1
	;; [unrolled: 2-line block ×4, first 2 shown]
	s_waitcnt vmcnt(1)
	v_mul_f16_e32 v0, v0, v12
	v_mul_f16_sdwa v1, v1, v12 dst_sel:WORD_1 dst_unused:UNUSED_PAD src0_sel:DWORD src1_sel:WORD_1
	v_mul_f16_e32 v12, v24, v13
	v_mul_f16_sdwa v13, v25, v13 dst_sel:WORD_1 dst_unused:UNUSED_PAD src0_sel:DWORD src1_sel:WORD_1
	v_mul_f16_e32 v23, v32, v14
	v_mul_f16_sdwa v14, v26, v14 dst_sel:WORD_1 dst_unused:UNUSED_PAD src0_sel:DWORD src1_sel:WORD_1
	v_mul_f16_e32 v24, v33, v15
	v_mul_f16_sdwa v15, v27, v15 dst_sel:WORD_1 dst_unused:UNUSED_PAD src0_sel:DWORD src1_sel:WORD_1
	s_waitcnt vmcnt(0)
	v_mul_f16_e32 v25, v34, v8
	v_mul_f16_sdwa v16, v16, v8 dst_sel:WORD_1 dst_unused:UNUSED_PAD src0_sel:DWORD src1_sel:WORD_1
	v_mul_f16_e32 v20, v20, v9
	v_mul_f16_sdwa v17, v17, v9 dst_sel:WORD_1 dst_unused:UNUSED_PAD src0_sel:DWORD src1_sel:WORD_1
	;; [unrolled: 2-line block ×4, first 2 shown]
	v_or_b32_e32 v9, v13, v12
	v_or_b32_e32 v8, v1, v0
	v_or_b32_e32 v11, v15, v24
	v_or_b32_e32 v10, v14, v23
	v_or_b32_e32 v13, v17, v20
	v_or_b32_e32 v12, v16, v25
	v_or_b32_e32 v15, v19, v22
	v_or_b32_e32 v14, v18, v21
	global_store_dwordx4 v[48:49], v[8:11], off nt
	global_store_dwordx4 v[48:49], v[12:15], off offset:1024 nt
	s_andn2_b64 exec, exec, s[28:29]
	s_cbranch_execnz .LBB11_651
; %bb.652:                              ;   in Loop: Header=BB11_47 Depth=1
	s_or_b64 exec, exec, s[28:29]
	scratch_load_dwordx2 v[16:17], off, s33 offset:160 ; 8-byte Folded Reload
	v_accvgpr_read_b32 v49, a15
	v_accvgpr_read_b32 v37, a19
	;; [unrolled: 1-line block ×14, first 2 shown]
	v_mov_b64_e32 v[20:21], v[56:57]
	v_accvgpr_read_b32 v23, a37
	v_accvgpr_read_b32 v19, a43
	v_mov_b32_e32 v25, 1
	v_mov_b32_e32 v24, v30
	v_accvgpr_read_b32 v10, a34
	v_accvgpr_read_b32 v7, a48
.LBB11_653:                             ;   in Loop: Header=BB11_47 Depth=1
	s_or_b64 exec, exec, s[26:27]
	v_lshlrev_b32_e32 v12, 11, v2
	v_accvgpr_write_b32 a48, v10
	v_cmp_ne_u32_e32 vcc, v7, v12
	s_mov_b64 s[30:31], 0
	v_mov_b32_e32 v6, 0
                                        ; implicit-def: $vgpr1
                                        ; implicit-def: $vgpr4
	s_and_saveexec_b64 s[28:29], vcc
	s_cbranch_execz .LBB11_661
; %bb.654:                              ;   in Loop: Header=BB11_47 Depth=1
	v_lshlrev_b32_e32 v1, 6, v31
	v_accvgpr_read_b32 v2, a31
	v_sub_u32_e32 v1, v2, v1
	v_ashrrev_i32_e32 v2, 31, v1
	v_lshrrev_b32_e32 v2, 26, v2
	v_add_u32_e32 v2, v1, v2
	v_ashrrev_i32_e32 v5, 6, v2
	v_and_b32_e32 v2, 0xffffffc0, v2
	v_sub_u32_e32 v13, v1, v2
	v_sub_u32_e32 v0, v7, v12
	v_lshlrev_b32_e32 v1, 4, v13
	v_lshl_add_u32 v4, v5, 10, v1
	v_ashrrev_i32_e32 v1, 31, v0
	v_lshrrev_b32_e32 v1, 22, v1
	v_add_u32_e32 v1, v0, v1
	v_and_b32_e32 v15, 0xfffffc00, v1
	s_waitcnt vmcnt(0)
	v_sub_u32_e32 v17, v0, v15
	v_ashrrev_i32_e32 v6, 10, v1
	v_cmp_lt_i32_e32 vcc, 15, v17
	v_sub_u32_e32 v2, v0, v4
	s_nop 0
	v_addc_co_u32_e64 v0, s[26:27], 0, v6, vcc
	v_sub_u32_e32 v16, v0, v5
	v_cmp_lt_i32_e64 s[26:27], 15, v2
	s_and_saveexec_b64 s[30:31], s[26:27]
	s_cbranch_execz .LBB11_658
; %bb.655:                              ;   in Loop: Header=BB11_47 Depth=1
	s_trap 2
	ds_read_b128 v[8:11], v0
	v_accvgpr_write_b32 a13, v7
	ds_read_b64 v[6:7], v0
	v_add_u32_e32 v4, v4, v12
	v_ashrrev_i32_e32 v5, 31, v4
	v_accvgpr_write_b32 a12, v24
	v_mov_b64_e32 v[30:31], v[26:27]
	s_waitcnt lgkmcnt(1)
	v_lshl_add_u64 v[8:9], v[8:9], 0, v[4:5]
	v_lshl_add_u64 v[10:11], v[10:11], 0, v[4:5]
	s_mov_b64 s[58:59], 0
.LBB11_656:                             ;   Parent Loop BB11_47 Depth=1
                                        ; =>  This Inner Loop Header: Depth=2
	global_load_dwordx4 v[18:21], v[8:9], off nt
	global_load_dwordx4 v[22:25], v[10:11], off nt
	;; [unrolled: 1-line block ×3, first 2 shown]
	v_sub_u32_e32 v2, v2, v61
	v_cmp_gt_i32_e64 s[26:27], 16, v2
	s_waitcnt lgkmcnt(0)
	v_lshl_add_u64 v[26:27], v[6:7], 0, v[4:5]
	v_lshl_add_u64 v[8:9], v[8:9], 0, v[28:29]
	;; [unrolled: 1-line block ×4, first 2 shown]
	v_sub_u32_e32 v16, v16, v52
	s_or_b64 s[58:59], s[26:27], s[58:59]
	s_waitcnt vmcnt(1)
	v_mul_f16_e32 v0, v18, v22
	v_mul_f16_sdwa v1, v18, v22 dst_sel:DWORD dst_unused:UNUSED_PAD src0_sel:WORD_1 src1_sel:WORD_1
	v_mul_f16_e32 v14, v19, v23
	v_mul_f16_sdwa v18, v19, v23 dst_sel:DWORD dst_unused:UNUSED_PAD src0_sel:WORD_1 src1_sel:WORD_1
	;; [unrolled: 2-line block ×4, first 2 shown]
	s_waitcnt vmcnt(0)
	v_mul_f16_e32 v0, v0, v32
	v_mul_f16_sdwa v1, v1, v32 dst_sel:WORD_1 dst_unused:UNUSED_PAD src0_sel:DWORD src1_sel:WORD_1
	v_mul_f16_e32 v14, v14, v33
	v_mul_f16_sdwa v18, v18, v33 dst_sel:WORD_1 dst_unused:UNUSED_PAD src0_sel:DWORD src1_sel:WORD_1
	;; [unrolled: 2-line block ×4, first 2 shown]
	v_or_b32_e32 v19, v18, v14
	v_or_b32_e32 v18, v1, v0
	;; [unrolled: 1-line block ×4, first 2 shown]
	global_store_dwordx4 v[26:27], v[18:21], off nt
	s_andn2_b64 exec, exec, s[58:59]
	s_cbranch_execnz .LBB11_656
; %bb.657:                              ;   in Loop: Header=BB11_47 Depth=1
	s_or_b64 exec, exec, s[58:59]
	scratch_load_dwordx2 v[20:21], off, s33 offset:152 ; 8-byte Folded Reload
	v_accvgpr_read_b32 v35, a23
	v_accvgpr_read_b32 v33, a29
	;; [unrolled: 1-line block ×6, first 2 shown]
	v_mov_b64_e32 v[26:27], v[30:31]
	v_accvgpr_read_b32 v23, a37
	v_accvgpr_read_b32 v19, a43
	v_mov_b32_e32 v25, 1
	v_accvgpr_read_b32 v24, a12
	v_accvgpr_read_b32 v7, a13
.LBB11_658:                             ;   in Loop: Header=BB11_47 Depth=1
	s_or_b64 exec, exec, s[30:31]
	v_and_b32_e32 v5, 14, v7
	v_cndmask_b32_e32 v7, v17, v5, vcc
	v_cmp_ne_u32_e64 s[26:27], 0, v7
	s_mov_b64 s[30:31], 0
	v_mov_b32_e32 v6, 0
                                        ; implicit-def: $vgpr1
                                        ; implicit-def: $vgpr4
	s_and_saveexec_b64 s[58:59], s[26:27]
	s_cbranch_execz .LBB11_660
; %bb.659:                              ;   in Loop: Header=BB11_47 Depth=1
	v_sub_u32_e32 v0, v17, v5
	v_cndmask_b32_e32 v0, 0, v0, vcc
	v_cmp_lt_i32_e32 vcc, 0, v16
	v_add3_u32 v6, v15, v12, v0
	s_mov_b64 s[30:31], exec
	v_cndmask_b32_e32 v0, 0, v52, vcc
	v_sub_u32_e32 v0, v0, v16
	v_lshl_add_u32 v1, v0, 6, v13
	v_ashrrev_i32_e32 v0, 31, v1
	v_lshrrev_b32_e32 v0, 26, v0
	v_add_u32_e32 v0, v1, v0
	v_ashrrev_i32_e32 v4, 6, v0
.LBB11_660:                             ;   in Loop: Header=BB11_47 Depth=1
	s_or_b64 exec, exec, s[58:59]
	scratch_load_dwordx2 v[16:17], off, s33 offset:160 ; 8-byte Folded Reload
	s_and_b64 s[30:31], s[30:31], exec
.LBB11_661:                             ;   in Loop: Header=BB11_47 Depth=1
	s_or_b64 exec, exec, s[28:29]
	v_accvgpr_read_b32 v30, a32
	v_accvgpr_read_b32 v31, a33
	s_and_saveexec_b64 s[26:27], s[30:31]
	s_cbranch_execz .LBB11_670
.LBB11_662:                             ;   in Loop: Header=BB11_47 Depth=1
	v_ashrrev_i32_e32 v0, 31, v7
	v_lshrrev_b32_e32 v0, 22, v0
	v_add_u32_e32 v0, v7, v0
	v_ashrrev_i32_e32 v0, 10, v0
	v_sub_u32_e32 v15, v0, v4
	v_cmp_lt_i32_e32 vcc, 0, v15
	s_and_saveexec_b64 s[28:29], vcc
	s_cbranch_execz .LBB11_666
; %bb.663:                              ;   in Loop: Header=BB11_47 Depth=1
	v_accvgpr_write_b32 a52, v0
	v_ashrrev_i32_e32 v0, 31, v1
	v_lshrrev_b32_e32 v0, 26, v0
	v_add_u32_e32 v0, v1, v0
	v_and_b32_e32 v0, 0x7fffffc0, v0
	v_sub_u32_e32 v0, v1, v0
	v_lshlrev_b32_e32 v0, 1, v0
	s_trap 2
	ds_read_b128 v[8:11], v0
	ds_read_b64 a[54:55], v0
	v_accvgpr_write_b32 a51, v1
	v_lshlrev_b32_e32 v1, 10, v4
	v_add3_u32 v4, v0, v6, v1
	v_accvgpr_write_b32 a12, v44
	v_ashrrev_i32_e32 v5, 31, v4
	v_accvgpr_write_b32 a49, v7
	v_accvgpr_write_b32 a34, v24
	v_mov_b64_e32 v[56:57], v[26:27]
	v_accvgpr_write_b32 a13, v45
	v_accvgpr_write_b32 a50, v6
	s_waitcnt lgkmcnt(0)
	v_lshl_add_u64 v[8:9], v[8:9], 0, v[4:5]
	v_lshl_add_u64 v[10:11], v[10:11], 0, v[4:5]
	;; [unrolled: 1-line block ×3, first 2 shown]
	s_mov_b64 s[30:31], 0
.LBB11_664:                             ;   Parent Loop BB11_47 Depth=1
                                        ; =>  This Inner Loop Header: Depth=2
	v_add_co_u32_e32 v4, vcc, 0xfffffc80, v12
	s_waitcnt vmcnt(0)
	flat_load_ushort v17, v[8:9] nt
	flat_load_ushort v18, v[8:9] offset:128 nt
	flat_load_ushort v19, v[8:9] offset:256 nt
	;; [unrolled: 1-line block ×7, first 2 shown]
	flat_load_ushort v25, v[12:13] nt
	flat_load_ushort v26, v[10:11] nt
	flat_load_ushort v27, v[10:11] offset:128 nt
	flat_load_ushort v31, v[10:11] offset:256 nt
	;; [unrolled: 1-line block ×7, first 2 shown]
	v_addc_co_u32_e32 v5, vcc, -1, v13, vcc
	v_add_co_u32_e32 v38, vcc, 0xfffffd00, v12
	flat_load_ushort v37, v[4:5] nt
	s_nop 0
	v_addc_co_u32_e32 v39, vcc, -1, v13, vcc
	v_add_co_u32_e32 v4, vcc, 0xfffffd80, v12
	flat_load_ushort v16, v[38:39] nt
	s_nop 0
	;; [unrolled: 4-line block ×6, first 2 shown]
	v_addc_co_u32_e32 v5, vcc, -1, v13, vcc
	flat_load_ushort v41, v[4:5] nt
	v_accvgpr_read_b32 v0, a54
	v_accvgpr_read_b32 v1, a55
	v_sub_u32_e32 v15, v15, v52
	v_lshl_add_u64 v[4:5], v[0:1], 0, v[12:13]
	v_cmp_gt_i32_e32 vcc, 1, v15
	s_or_b64 s[30:31], vcc, s[30:31]
	v_add_co_u32_e32 v38, vcc, s84, v4
	v_lshl_add_u64 v[8:9], v[8:9], 0, v[28:29]
	s_nop 0
	v_addc_co_u32_e32 v39, vcc, -1, v5, vcc
	v_add_co_u32_e32 v48, vcc, s85, v4
	v_lshl_add_u64 v[10:11], v[10:11], 0, v[28:29]
	s_nop 0
	v_addc_co_u32_e32 v49, vcc, -1, v5, vcc
	;; [unrolled: 4-line block ×3, first 2 shown]
	v_add_co_u32_e32 v44, vcc, 0xfffffe00, v4
	s_waitcnt vmcnt(0) lgkmcnt(0)
	v_mul_f16_e32 v17, v17, v26
	v_addc_co_u32_e32 v45, vcc, -1, v5, vcc
	v_add_co_u32_e32 v0, vcc, 0xfffffe80, v4
	v_mul_f16_e32 v18, v18, v27
	v_mul_f16_e32 v19, v19, v31
	v_addc_co_u32_e32 v1, vcc, -1, v5, vcc
	v_mul_f16_e32 v20, v20, v32
	v_add_co_u32_e32 v6, vcc, 0xffffff00, v4
	v_mul_f16_e32 v17, v37, v17
	v_mul_f16_e32 v21, v21, v33
	flat_store_short v[38:39], v17 nt
	v_addc_co_u32_e32 v7, vcc, -1, v5, vcc
	v_mul_f16_e32 v16, v16, v18
	flat_store_short v[48:49], v16 nt
	v_mul_f16_e32 v22, v22, v34
	v_add_co_u32_e32 v46, vcc, 0xffffff80, v4
	v_mul_f16_e32 v2, v2, v19
	flat_store_short v[50:51], v2 nt
	v_mul_f16_e32 v23, v23, v35
	v_addc_co_u32_e32 v47, vcc, -1, v5, vcc
	v_mul_f16_e32 v2, v14, v20
	flat_store_short v[44:45], v2 nt
	v_mul_f16_e32 v24, v24, v36
	v_mul_f16_e32 v24, v25, v24
	;; [unrolled: 1-line block ×3, first 2 shown]
	flat_store_short v[0:1], v2 nt
	v_mul_f16_e32 v0, v40, v22
	flat_store_short v[6:7], v0 nt
	v_mul_f16_e32 v0, v41, v23
	flat_store_short v[46:47], v0 nt
	flat_store_short v[4:5], v24 nt
	s_andn2_b64 exec, exec, s[30:31]
	s_cbranch_execnz .LBB11_664
; %bb.665:                              ;   in Loop: Header=BB11_47 Depth=1
	s_or_b64 exec, exec, s[30:31]
	scratch_load_dwordx2 v[20:21], off, s33 offset:152 ; 8-byte Folded Reload
	scratch_load_dwordx2 v[16:17], off, s33 offset:160 ; 8-byte Folded Reload
	v_accvgpr_read_b32 v47, a5
	v_accvgpr_read_b32 v45, a13
	;; [unrolled: 1-line block ×22, first 2 shown]
	v_mov_b64_e32 v[26:27], v[56:57]
	v_accvgpr_read_b32 v23, a37
	v_accvgpr_read_b32 v19, a43
	v_mov_b32_e32 v25, 1
	v_accvgpr_read_b32 v24, a34
	v_accvgpr_read_b32 v7, a49
	;; [unrolled: 1-line block ×5, first 2 shown]
.LBB11_666:                             ;   in Loop: Header=BB11_47 Depth=1
	s_or_b64 exec, exec, s[28:29]
	v_lshlrev_b32_e32 v4, 10, v0
	v_cmp_ne_u32_e32 vcc, v7, v4
	s_and_b64 exec, exec, vcc
	s_cbranch_execz .LBB11_670
; %bb.667:                              ;   in Loop: Header=BB11_47 Depth=1
	v_ashrrev_i32_e32 v0, 31, v1
	v_lshrrev_b32_e32 v0, 26, v0
	v_add_u32_e32 v0, v1, v0
	v_and_b32_e32 v0, 0xffffffc0, v0
	v_sub_u32_e32 v0, v1, v0
	v_lshlrev_b32_e32 v1, 6, v15
	v_sub_u32_e32 v0, v0, v1
	v_ashrrev_i32_e32 v1, 31, v0
	v_lshrrev_b32_e32 v1, 26, v1
	v_add_u32_e32 v1, v0, v1
	v_and_b32_e32 v2, 0x7fffffc0, v1
	v_sub_u32_e32 v0, v0, v2
	v_lshlrev_b32_e32 v1, 1, v1
	v_and_b32_e32 v1, 0xffffff80, v1
	v_lshlrev_b32_e32 v0, 1, v0
	v_add3_u32 v4, v1, v0, v4
	v_sub_u32_e32 v1, v7, v4
	v_cmp_lt_i32_e32 vcc, 1, v1
	s_and_b64 exec, exec, vcc
	s_cbranch_execz .LBB11_670
; %bb.668:                              ;   in Loop: Header=BB11_47 Depth=1
	s_trap 2
	ds_read_b128 v[8:11], v0
	v_add_u32_e32 v4, v4, v6
	ds_read_b64 v[6:7], v0
	v_ashrrev_i32_e32 v5, 31, v4
	s_mov_b64 s[28:29], 0
	s_waitcnt lgkmcnt(0)
	v_lshl_add_u64 v[8:9], v[8:9], 0, v[4:5]
	v_lshl_add_u64 v[10:11], v[10:11], 0, v[4:5]
.LBB11_669:                             ;   Parent Loop BB11_47 Depth=1
                                        ; =>  This Inner Loop Header: Depth=2
	flat_load_ushort v0, v[8:9] nt
	flat_load_ushort v2, v[10:11] nt
	;; [unrolled: 1-line block ×3, first 2 shown]
	v_sub_u32_e32 v1, v1, v41
	v_cmp_gt_i32_e32 vcc, 2, v1
	v_lshl_add_u64 v[12:13], v[6:7], 0, v[4:5]
	v_lshl_add_u64 v[8:9], v[8:9], 0, v[22:23]
	;; [unrolled: 1-line block ×4, first 2 shown]
	s_or_b64 s[28:29], vcc, s[28:29]
	s_waitcnt vmcnt(0) lgkmcnt(0)
	v_mul_f16_e32 v0, v0, v2
	v_mul_f16_e32 v0, v14, v0
	flat_store_short v[12:13], v0 nt
	s_andn2_b64 exec, exec, s[28:29]
	s_cbranch_execnz .LBB11_669
.LBB11_670:                             ;   in Loop: Header=BB11_47 Depth=1
	s_or_b64 exec, exec, s[26:27]
	v_accvgpr_read_b32 v12, a44
	v_accvgpr_read_b32 v13, a45
	;; [unrolled: 1-line block ×4, first 2 shown]
.LBB11_671:                             ;   in Loop: Header=BB11_47 Depth=1
	v_cmp_lt_i32_e64 s[26:27], 0, v1
	s_and_saveexec_b64 s[28:29], s[6:7]
	s_cbranch_execz .LBB11_612
.LBB11_672:                             ;   in Loop: Header=BB11_47 Depth=1
	s_and_saveexec_b64 vcc, s[40:41]
	s_xor_b64 s[30:31], exec, vcc
	s_cbranch_execz .LBB11_699
; %bb.673:                              ;   in Loop: Header=BB11_47 Depth=1
	s_and_saveexec_b64 s[58:59], s[14:15]
	s_cbranch_execz .LBB11_698
; %bb.674:                              ;   in Loop: Header=BB11_47 Depth=1
	s_mov_b64 s[62:63], exec
	v_mbcnt_lo_u32_b32 v0, s62, 0
	v_mbcnt_hi_u32_b32 v0, s63, v0
	v_cmp_eq_u32_e32 vcc, 0, v0
	s_waitcnt lgkmcnt(0)
	s_and_saveexec_b64 s[60:61], vcc
	s_cbranch_execz .LBB11_676
; %bb.675:                              ;   in Loop: Header=BB11_47 Depth=1
	s_bcnt1_i32_b64 vcc_lo, s[62:63]
	v_mov_b32_e32 v2, vcc_lo
	ds_add_u64 v0, v[2:3]
	s_trap 2
.LBB11_676:                             ;   in Loop: Header=BB11_47 Depth=1
	s_or_b64 exec, exec, s[60:61]
	s_trap 2
	ds_read_b64 v[0:1], v0
	v_lshl_add_u64 v[26:27], v[26:27], 0, v[52:53]
	s_waitcnt lgkmcnt(0)
	v_cmp_lt_u64_e32 vcc, v[0:1], v[26:27]
	s_and_saveexec_b64 s[60:61], vcc
	s_cbranch_execz .LBB11_697
; %bb.677:                              ;   in Loop: Header=BB11_47 Depth=1
	s_mov_b32 s87, 0
	s_mov_b64 s[62:63], 0
                                        ; implicit-def: $sgpr64_sgpr65
                                        ; implicit-def: $sgpr66_sgpr67
	s_branch .LBB11_679
.LBB11_678:                             ;   in Loop: Header=BB11_679 Depth=2
	s_or_b64 exec, exec, s[70:71]
	s_and_b64 vcc, exec, vcc
	s_or_b64 s[62:63], vcc, s[62:63]
	s_andn2_b64 vcc, s[64:65], exec
	s_and_b64 s[64:65], s[66:67], exec
	s_or_b64 s[64:65], vcc, s[64:65]
	s_andn2_b64 exec, exec, s[62:63]
	s_cbranch_execz .LBB11_695
.LBB11_679:                             ;   Parent Loop BB11_47 Depth=1
                                        ; =>  This Inner Loop Header: Depth=2
	s_add_i32 s87, s87, 1
	s_cmpk_lg_i32 s87, 0x2710
	s_cselect_b64 s[68:69], -1, 0
	s_and_b64 vcc, exec, s[68:69]
                                        ; implicit-def: $sgpr70_sgpr71
	s_cbranch_vccnz .LBB11_681
; %bb.680:                              ;   in Loop: Header=BB11_679 Depth=2
	s_trap 2
	ds_read_b64 v[0:1], v0
	s_andn2_b64 s[68:69], s[68:69], exec
	s_mov_b32 s87, 0
	s_mov_b64 s[70:71], -1
	s_waitcnt vmcnt(0) lgkmcnt(0)
	flat_load_dword v0, v[0:1] sc0 sc1
	s_waitcnt vmcnt(0) lgkmcnt(0)
	buffer_inv sc0 sc1
	v_cmp_eq_u32_e32 vcc, 0, v0
	s_and_b64 vcc, vcc, exec
	s_or_b64 s[68:69], s[68:69], vcc
.LBB11_681:                             ;   in Loop: Header=BB11_679 Depth=2
	s_andn2_b64 s[66:67], s[66:67], exec
	s_and_b64 s[70:71], s[70:71], exec
	s_mov_b64 vcc, -1
	s_or_b64 s[66:67], s[66:67], s[70:71]
	s_and_saveexec_b64 s[70:71], s[68:69]
	s_cbranch_execz .LBB11_678
; %bb.682:                              ;   in Loop: Header=BB11_679 Depth=2
	s_sleep 1
	s_trap 2
	ds_read_b64 v[0:1], v0
	s_andn2_b64 s[66:67], s[66:67], exec
	s_waitcnt lgkmcnt(0)
	v_cmp_ge_u64_e32 vcc, v[0:1], v[26:27]
	s_orn2_b64 vcc, vcc, exec
	s_branch .LBB11_678
.LBB11_683:                             ;   in Loop: Header=BB11_47 Depth=1
	s_or_b64 exec, exec, s[58:59]
	s_and_saveexec_b64 vcc, s[60:61]
	s_xor_b64 vcc, exec, vcc
	s_cbranch_execz .LBB11_685
; %bb.684:                              ;   in Loop: Header=BB11_47 Depth=1
	ds_write_b32 v0, v25
	s_trap 2
.LBB11_685:                             ;   in Loop: Header=BB11_47 Depth=1
	s_or_b64 exec, exec, s[56:57]
	;;#ASMSTART
	s_wakeup
	;;#ASMEND
.LBB11_686:                             ;   in Loop: Header=BB11_47 Depth=1
	s_or_b64 exec, exec, s[54:55]
.LBB11_687:                             ;   in Loop: Header=BB11_47 Depth=1
	s_andn2_saveexec_b64 vcc, s[30:31]
	s_cbranch_execz .LBB11_689
; %bb.688:                              ;   in Loop: Header=BB11_47 Depth=1
	;;#ASMSTART
	s_waitcnt lgkmcnt(0) vmcnt(0)
	;;#ASMEND
	s_barrier
.LBB11_689:                             ;   in Loop: Header=BB11_47 Depth=1
	s_or_b64 exec, exec, vcc
	v_and_b32_e32 v0, 16, v62
.LBB11_690:                             ;   in Loop: Header=BB11_47 Depth=1
	s_or_b64 exec, exec, s[26:27]
	v_cmp_ne_u32_e32 vcc, 0, v0
	s_xor_b64 s[26:27], s[10:11], -1
	s_and_b64 vcc, vcc, s[26:27]
	s_and_saveexec_b64 s[26:27], vcc
	s_cbranch_execz .LBB11_692
; %bb.691:                              ;   in Loop: Header=BB11_47 Depth=1
	flat_store_dword v[38:39], v25 sc0 sc1
.LBB11_692:                             ;   in Loop: Header=BB11_47 Depth=1
	s_or_b64 exec, exec, s[26:27]
	v_and_b32_e32 v0, 48, v62
	v_cmp_ne_u32_e32 vcc, 0, v0
	s_and_saveexec_b64 s[26:27], vcc
	s_cbranch_execz .LBB11_694
; %bb.693:                              ;   in Loop: Header=BB11_47 Depth=1
	v_lshl_add_u64 v[44:45], v[44:45], 0, 4
	flat_store_dwordx2 v[42:43], v[44:45] sc0 sc1
.LBB11_694:                             ;   in Loop: Header=BB11_47 Depth=1
	s_or_b64 exec, exec, s[26:27]
	s_or_b64 exec, exec, s[28:29]
	s_and_b64 vcc, exec, s[24:25]
	s_cbranch_vccnz .LBB11_978
	s_branch .LBB11_727
.LBB11_695:                             ;   in Loop: Header=BB11_47 Depth=1
	s_or_b64 exec, exec, s[62:63]
	s_and_saveexec_b64 vcc, s[64:65]
	s_xor_b64 vcc, exec, vcc
	s_cbranch_execz .LBB11_697
; %bb.696:                              ;   in Loop: Header=BB11_47 Depth=1
	ds_write_b32 v0, v25
	s_trap 2
.LBB11_697:                             ;   in Loop: Header=BB11_47 Depth=1
	s_or_b64 exec, exec, s[60:61]
	;;#ASMSTART
	s_wakeup
	;;#ASMEND
.LBB11_698:                             ;   in Loop: Header=BB11_47 Depth=1
	s_or_b64 exec, exec, s[58:59]
.LBB11_699:                             ;   in Loop: Header=BB11_47 Depth=1
	s_andn2_saveexec_b64 vcc, s[30:31]
	s_cbranch_execz .LBB11_701
; %bb.700:                              ;   in Loop: Header=BB11_47 Depth=1
	s_waitcnt lgkmcnt(0)
	s_barrier
.LBB11_701:                             ;   in Loop: Header=BB11_47 Depth=1
	s_or_b64 exec, exec, vcc
	s_or_b64 exec, exec, s[28:29]
                                        ; implicit-def: $vgpr0
	s_and_saveexec_b64 s[28:29], s[22:23]
	s_xor_b64 s[28:29], exec, s[28:29]
	s_cbranch_execnz .LBB11_613
.LBB11_702:                             ;   in Loop: Header=BB11_47 Depth=1
	s_andn2_saveexec_b64 s[26:27], s[28:29]
	s_cbranch_execz .LBB11_721
.LBB11_703:                             ;   in Loop: Header=BB11_47 Depth=1
	s_and_saveexec_b64 s[28:29], s[40:41]
	s_xor_b64 s[28:29], exec, s[28:29]
	s_cbranch_execz .LBB11_718
; %bb.704:                              ;   in Loop: Header=BB11_47 Depth=1
	s_and_saveexec_b64 s[30:31], s[14:15]
	s_cbranch_execz .LBB11_717
; %bb.705:                              ;   in Loop: Header=BB11_47 Depth=1
	s_mov_b64 s[60:61], exec
	v_mbcnt_lo_u32_b32 v0, s60, 0
	v_mbcnt_hi_u32_b32 v0, s61, v0
	v_cmp_eq_u32_e32 vcc, 0, v0
	;;#ASMSTART
	s_waitcnt lgkmcnt(0) vmcnt(0)
	;;#ASMEND
	s_and_saveexec_b64 s[58:59], vcc
	s_cbranch_execz .LBB11_707
; %bb.706:                              ;   in Loop: Header=BB11_47 Depth=1
	s_bcnt1_i32_b64 vcc_lo, s[60:61]
	v_mov_b32_e32 v2, vcc_lo
	ds_add_u64 v0, v[2:3]
	s_trap 2
.LBB11_707:                             ;   in Loop: Header=BB11_47 Depth=1
	s_or_b64 exec, exec, s[58:59]
	s_trap 2
	ds_read_b64 v[0:1], v0
	v_lshl_add_u64 v[26:27], v[26:27], 0, v[52:53]
	s_waitcnt lgkmcnt(0)
	v_cmp_lt_u64_e32 vcc, v[0:1], v[26:27]
	s_and_saveexec_b64 s[58:59], vcc
	s_cbranch_execz .LBB11_716
; %bb.708:                              ;   in Loop: Header=BB11_47 Depth=1
	s_mov_b32 s70, 0
	s_mov_b64 s[60:61], 0
                                        ; implicit-def: $sgpr62_sgpr63
                                        ; implicit-def: $sgpr64_sgpr65
	s_branch .LBB11_710
.LBB11_709:                             ;   in Loop: Header=BB11_710 Depth=2
	s_or_b64 exec, exec, s[68:69]
	s_and_b64 vcc, exec, vcc
	s_or_b64 s[60:61], vcc, s[60:61]
	s_andn2_b64 vcc, s[62:63], exec
	s_and_b64 s[62:63], s[64:65], exec
	s_or_b64 s[62:63], vcc, s[62:63]
	s_andn2_b64 exec, exec, s[60:61]
	s_cbranch_execz .LBB11_714
.LBB11_710:                             ;   Parent Loop BB11_47 Depth=1
                                        ; =>  This Inner Loop Header: Depth=2
	s_add_i32 s70, s70, 1
	s_cmpk_lg_i32 s70, 0x2710
	s_cselect_b64 s[66:67], -1, 0
	s_and_b64 vcc, exec, s[66:67]
                                        ; implicit-def: $sgpr68_sgpr69
	s_cbranch_vccnz .LBB11_712
; %bb.711:                              ;   in Loop: Header=BB11_710 Depth=2
	s_trap 2
	ds_read_b64 v[0:1], v0
	s_andn2_b64 s[66:67], s[66:67], exec
	s_mov_b32 s70, 0
	s_mov_b64 s[68:69], -1
	s_waitcnt vmcnt(0) lgkmcnt(0)
	flat_load_dword v0, v[0:1] sc0 sc1
	s_waitcnt vmcnt(0) lgkmcnt(0)
	buffer_inv sc0 sc1
	v_cmp_eq_u32_e32 vcc, 0, v0
	s_and_b64 vcc, vcc, exec
	s_or_b64 s[66:67], s[66:67], vcc
.LBB11_712:                             ;   in Loop: Header=BB11_710 Depth=2
	s_andn2_b64 s[64:65], s[64:65], exec
	s_and_b64 s[68:69], s[68:69], exec
	s_mov_b64 vcc, -1
	s_or_b64 s[64:65], s[64:65], s[68:69]
	s_and_saveexec_b64 s[68:69], s[66:67]
	s_cbranch_execz .LBB11_709
; %bb.713:                              ;   in Loop: Header=BB11_710 Depth=2
	s_sleep 1
	s_trap 2
	ds_read_b64 v[0:1], v0
	s_andn2_b64 s[64:65], s[64:65], exec
	s_waitcnt lgkmcnt(0)
	v_cmp_ge_u64_e32 vcc, v[0:1], v[26:27]
	s_orn2_b64 vcc, vcc, exec
	s_branch .LBB11_709
.LBB11_714:                             ;   in Loop: Header=BB11_47 Depth=1
	s_or_b64 exec, exec, s[60:61]
	s_and_saveexec_b64 vcc, s[62:63]
	s_xor_b64 vcc, exec, vcc
	s_cbranch_execz .LBB11_716
; %bb.715:                              ;   in Loop: Header=BB11_47 Depth=1
	ds_write_b32 v0, v25
	s_trap 2
.LBB11_716:                             ;   in Loop: Header=BB11_47 Depth=1
	s_or_b64 exec, exec, s[58:59]
	;;#ASMSTART
	s_wakeup
	;;#ASMEND
.LBB11_717:                             ;   in Loop: Header=BB11_47 Depth=1
	s_or_b64 exec, exec, s[30:31]
.LBB11_718:                             ;   in Loop: Header=BB11_47 Depth=1
	s_andn2_saveexec_b64 s[28:29], s[28:29]
	s_cbranch_execz .LBB11_720
; %bb.719:                              ;   in Loop: Header=BB11_47 Depth=1
	;;#ASMSTART
	s_waitcnt lgkmcnt(0) vmcnt(0)
	;;#ASMEND
	s_barrier
.LBB11_720:                             ;   in Loop: Header=BB11_47 Depth=1
	s_or_b64 exec, exec, s[28:29]
	v_and_b32_e32 v0, 16, v62
.LBB11_721:                             ;   in Loop: Header=BB11_47 Depth=1
	s_or_b64 exec, exec, s[26:27]
	v_cmp_ne_u32_e32 vcc, 0, v0
	s_xor_b64 s[26:27], s[10:11], -1
	s_and_b64 s[28:29], vcc, s[26:27]
	s_and_saveexec_b64 s[26:27], s[28:29]
	s_cbranch_execz .LBB11_723
; %bb.722:                              ;   in Loop: Header=BB11_47 Depth=1
	flat_store_dword v[38:39], v25 sc0 sc1
.LBB11_723:                             ;   in Loop: Header=BB11_47 Depth=1
	s_or_b64 exec, exec, s[26:27]
	v_and_b32_e32 v0, 48, v62
	v_cmp_ne_u32_e32 vcc, 0, v0
	s_and_saveexec_b64 s[26:27], vcc
	s_cbranch_execz .LBB11_725
; %bb.724:                              ;   in Loop: Header=BB11_47 Depth=1
	v_lshl_add_u64 v[44:45], v[44:45], 0, 4
	flat_store_dwordx2 v[42:43], v[44:45] sc0 sc1
.LBB11_725:                             ;   in Loop: Header=BB11_47 Depth=1
	s_or_b64 exec, exec, s[26:27]
	v_mov_b32_e32 v0, v10
	s_or_b64 exec, exec, s[56:57]
	s_and_saveexec_b64 s[28:29], s[54:55]
	s_cbranch_execnz .LBB11_485
.LBB11_726:                             ;   in Loop: Header=BB11_47 Depth=1
	s_or_b64 exec, exec, s[28:29]
	s_and_b64 vcc, exec, s[24:25]
	s_cbranch_vccnz .LBB11_978
.LBB11_727:                             ;   in Loop: Header=BB11_47 Depth=1
	s_mov_b32 s70, 1
.LBB11_728:                             ;   Parent Loop BB11_47 Depth=1
                                        ; =>  This Loop Header: Depth=2
                                        ;       Child Loop BB11_741 Depth 3
                                        ;       Child Loop BB11_774 Depth 3
	;; [unrolled: 1-line block ×9, first 2 shown]
                                        ;         Child Loop BB11_875 Depth 4
                                        ;       Child Loop BB11_884 Depth 3
                                        ;       Child Loop BB11_889 Depth 3
                                        ;         Child Loop BB11_890 Depth 4
                                        ;       Child Loop BB11_929 Depth 3
                                        ;       Child Loop BB11_960 Depth 3
	;; [unrolled: 1-line block ×5, first 2 shown]
	s_sub_i32 s24, s75, s70
	s_cmp_le_i32 s72, s24
	s_cselect_b32 s25, s72, 0
	s_sub_i32 s24, s24, s25
	s_ashr_i32 s25, s24, 31
	v_mul_lo_u32 v0, v54, s25
	v_mul_lo_u32 v1, v55, s24
	v_mad_u64_u32 v[4:5], s[24:25], v54, s24, 0
	v_add3_u32 v5, v5, v0, v1
	v_sub_co_u32_e32 v0, vcc, v12, v4
	s_nop 1
	v_subb_co_u32_e32 v1, vcc, v13, v5, vcc
	v_cmp_lt_i64_e32 vcc, v[54:55], v[0:1]
	s_nop 1
	v_cndmask_b32_e32 v1, v0, v54, vcc
	v_max_i32_e32 v14, 0, v1
	v_add_u32_e32 v2, 15, v14
	v_ashrrev_i32_e32 v6, 31, v2
	v_lshrrev_b32_e32 v6, 28, v6
	v_add_u32_e32 v2, v2, v6
	v_cmp_gt_i32_e32 vcc, 1, v1
	v_and_b32_e32 v2, -16, v2
	s_or_b64 s[30:31], s[2:3], vcc
	v_max_i32_e32 v6, s78, v2
	s_xor_b64 s[24:25], s[30:31], -1
	v_mov_b32_e32 v1, 0
	s_and_saveexec_b64 s[54:55], s[24:25]
	s_cbranch_execz .LBB11_734
; %bb.729:                              ;   in Loop: Header=BB11_728 Depth=2
	s_and_saveexec_b64 s[24:25], s[0:1]
	s_cbranch_execz .LBB11_731
; %bb.730:                              ;   in Loop: Header=BB11_728 Depth=2
	s_trap 2
	ds_read_b128 v[8:11], v0
	v_accvgpr_read_b32 v0, a46
	v_accvgpr_read_b32 v1, a47
	v_lshl_add_u64 v[4:5], v[4:5], 0, v[0:1]
	v_lshlrev_b64 v[4:5], 1, v[4:5]
	s_waitcnt lgkmcnt(0)
	v_lshl_add_u64 v[8:9], v[8:9], 0, v[4:5]
	v_lshl_add_u64 v[4:5], v[10:11], 0, v[4:5]
	v_cmp_ne_u64_e32 vcc, 0, v[10:11]
	ds_write_b64 v0, v[8:9]
	s_nop 0
	v_cndmask_b32_e32 v5, 0, v5, vcc
	v_cndmask_b32_e32 v4, 0, v4, vcc
	ds_write_b64 v0, v[4:5]
.LBB11_731:                             ;   in Loop: Header=BB11_728 Depth=2
	s_or_b64 exec, exec, s[24:25]
	v_and_b32_e32 v1, 12, v62
	v_cmp_ne_u32_e32 vcc, 0, v1
	s_mov_b64 s[26:27], -1
	s_and_saveexec_b64 s[24:25], vcc
	s_cbranch_execz .LBB11_754
; %bb.732:                              ;   in Loop: Header=BB11_728 Depth=2
	v_and_b32_e32 v2, 8, v62
	v_lshl_add_u64 v[8:9], v[58:59], 0, v[2:3]
	v_lshl_add_u64 v[4:5], v[44:45], 0, 4
	v_cmp_lt_u64_e32 vcc, v[8:9], v[4:5]
	v_mov_b32_e32 v1, 1
	s_and_saveexec_b64 s[26:27], vcc
	s_cbranch_execz .LBB11_753
; %bb.733:                              ;   in Loop: Header=BB11_728 Depth=2
	s_mov_b64 s[28:29], 0
	v_mov_b32_e32 v1, 0
                                        ; implicit-def: $sgpr56_sgpr57
	s_branch .LBB11_741
.LBB11_734:                             ;   in Loop: Header=BB11_728 Depth=2
	s_or_b64 exec, exec, s[54:55]
	s_and_saveexec_b64 s[26:27], s[30:31]
	s_cbranch_execz .LBB11_976
.LBB11_735:                             ;   in Loop: Header=BB11_728 Depth=2
	v_and_b32_e32 v0, 12, v62
	v_cmp_ne_u32_e32 vcc, 0, v0
	s_mov_b64 s[28:29], -1
	s_and_saveexec_b64 s[24:25], vcc
	s_cbranch_execz .LBB11_780
; %bb.736:                              ;   in Loop: Header=BB11_728 Depth=2
	v_and_b32_e32 v2, 8, v62
	v_lshl_add_u64 v[8:9], v[58:59], 0, v[2:3]
	v_lshl_add_u64 v[4:5], v[44:45], 0, 4
	v_cmp_lt_u64_e32 vcc, v[8:9], v[4:5]
	v_mov_b32_e32 v7, 1
	s_and_saveexec_b64 s[28:29], vcc
	s_cbranch_execz .LBB11_779
; %bb.737:                              ;   in Loop: Header=BB11_728 Depth=2
	s_mov_b64 s[30:31], 0
	v_mov_b32_e32 v7, 0
                                        ; implicit-def: $sgpr54_sgpr55
	s_branch .LBB11_748
.LBB11_738:                             ;   in Loop: Header=BB11_741 Depth=3
	s_or_b64 exec, exec, s[64:65]
	v_mov_b32_e32 v7, 0
	s_orn2_b64 s[62:63], s[62:63], exec
.LBB11_739:                             ;   in Loop: Header=BB11_741 Depth=3
	s_or_b64 exec, exec, s[60:61]
	s_andn2_b64 vcc, s[56:57], exec
	s_and_b64 s[56:57], s[62:63], exec
	s_or_b64 s[56:57], vcc, s[56:57]
	v_mov_b32_e32 v1, v7
.LBB11_740:                             ;   in Loop: Header=BB11_741 Depth=3
	s_or_b64 exec, exec, s[58:59]
	s_waitcnt vmcnt(0) lgkmcnt(0)
	v_lshl_add_u64 v[8:9], v[58:59], 0, v[2:3]
	v_cmp_ge_u64_e32 vcc, v[8:9], v[4:5]
	s_xor_b64 s[58:59], s[56:57], -1
	s_or_b64 vcc, s[58:59], vcc
	s_and_b64 vcc, exec, vcc
	s_or_b64 s[28:29], vcc, s[28:29]
	s_andn2_b64 exec, exec, s[28:29]
	s_cbranch_execz .LBB11_752
.LBB11_741:                             ;   Parent Loop BB11_47 Depth=1
                                        ;     Parent Loop BB11_728 Depth=2
                                        ; =>    This Inner Loop Header: Depth=3
	s_sleep 1
	flat_load_dwordx2 v[58:59], v[42:43] sc0 sc1
	v_and_b32_e32 v7, 64, v62
	v_cmp_eq_u32_e32 vcc, 0, v7
	s_andn2_b64 s[56:57], s[56:57], exec
	s_and_saveexec_b64 s[58:59], vcc
	s_cbranch_execz .LBB11_740
; %bb.742:                              ;   in Loop: Header=BB11_741 Depth=3
	v_add_u32_e32 v7, 1, v1
	v_cmp_lt_i32_e32 vcc, s82, v1
	s_mov_b64 s[62:63], -1
	s_and_saveexec_b64 s[60:61], vcc
	s_cbranch_execz .LBB11_739
; %bb.743:                              ;   in Loop: Header=BB11_741 Depth=3
	s_trap 2
	ds_read_b64 v[8:9], v0
	s_waitcnt vmcnt(0) lgkmcnt(0)
	flat_load_dword v1, v[8:9] sc0 sc1
	s_waitcnt vmcnt(0) lgkmcnt(0)
	buffer_inv sc0 sc1
	v_cmp_ne_u32_e32 vcc, 0, v1
	s_and_saveexec_b64 s[64:65], vcc
	s_cbranch_execz .LBB11_738
; %bb.744:                              ;   in Loop: Header=BB11_741 Depth=3
	v_or_b32_e32 v62, 64, v62
	s_xor_b64 s[62:63], exec, -1
	ds_write_b32 v0, v1
	s_trap 2
	s_branch .LBB11_738
.LBB11_745:                             ;   in Loop: Header=BB11_748 Depth=3
	s_or_b64 exec, exec, s[62:63]
	v_mov_b32_e32 v8, 0
	s_orn2_b64 s[60:61], s[60:61], exec
.LBB11_746:                             ;   in Loop: Header=BB11_748 Depth=3
	s_or_b64 exec, exec, s[58:59]
	s_andn2_b64 vcc, s[54:55], exec
	s_and_b64 s[54:55], s[60:61], exec
	s_or_b64 s[54:55], vcc, s[54:55]
	v_mov_b32_e32 v7, v8
.LBB11_747:                             ;   in Loop: Header=BB11_748 Depth=3
	s_or_b64 exec, exec, s[56:57]
	s_waitcnt vmcnt(0) lgkmcnt(0)
	v_lshl_add_u64 v[8:9], v[58:59], 0, v[2:3]
	v_cmp_ge_u64_e32 vcc, v[8:9], v[4:5]
	s_xor_b64 s[56:57], s[54:55], -1
	s_or_b64 vcc, s[56:57], vcc
	s_and_b64 vcc, exec, vcc
	s_or_b64 s[30:31], vcc, s[30:31]
	s_andn2_b64 exec, exec, s[30:31]
	s_cbranch_execz .LBB11_778
.LBB11_748:                             ;   Parent Loop BB11_47 Depth=1
                                        ;     Parent Loop BB11_728 Depth=2
                                        ; =>    This Inner Loop Header: Depth=3
	s_sleep 1
	flat_load_dwordx2 v[58:59], v[42:43] sc0 sc1
	v_and_b32_e32 v0, 64, v62
	v_cmp_eq_u32_e32 vcc, 0, v0
	s_andn2_b64 s[54:55], s[54:55], exec
	s_and_saveexec_b64 s[56:57], vcc
	s_cbranch_execz .LBB11_747
; %bb.749:                              ;   in Loop: Header=BB11_748 Depth=3
	v_add_u32_e32 v8, 1, v7
	v_cmp_lt_i32_e32 vcc, s82, v7
	s_mov_b64 s[60:61], -1
	s_and_saveexec_b64 s[58:59], vcc
	s_cbranch_execz .LBB11_746
; %bb.750:                              ;   in Loop: Header=BB11_748 Depth=3
	s_trap 2
	ds_read_b64 v[8:9], v0
	s_waitcnt vmcnt(0) lgkmcnt(0)
	flat_load_dword v7, v[8:9] sc0 sc1
	s_waitcnt vmcnt(0) lgkmcnt(0)
	buffer_inv sc0 sc1
	v_cmp_ne_u32_e32 vcc, 0, v7
	s_and_saveexec_b64 s[62:63], vcc
	s_cbranch_execz .LBB11_745
; %bb.751:                              ;   in Loop: Header=BB11_748 Depth=3
	v_or_b32_e32 v62, 64, v62
	s_xor_b64 s[60:61], exec, -1
	ds_write_b32 v0, v7
	s_trap 2
	s_branch .LBB11_745
.LBB11_752:                             ;   in Loop: Header=BB11_728 Depth=2
	s_or_b64 exec, exec, s[28:29]
	v_and_b32_e32 v1, 12, v62
.LBB11_753:                             ;   in Loop: Header=BB11_728 Depth=2
	s_or_b64 exec, exec, s[26:27]
	v_cmp_eq_u32_e32 vcc, 0, v1
	s_orn2_b64 s[26:27], vcc, exec
	;;#ASMSTART
	s_wakeup
	;;#ASMEND
.LBB11_754:                             ;   in Loop: Header=BB11_728 Depth=2
	s_or_b64 exec, exec, s[24:25]
	s_xor_b64 s[24:25], s[26:27], -1
	v_min_i32_e32 v6, v6, v14
	s_and_saveexec_b64 s[26:27], s[24:25]
	s_cbranch_execz .LBB11_766
; %bb.755:                              ;   in Loop: Header=BB11_728 Depth=2
	v_and_b32_e32 v1, 0x108, v62
	v_cmp_ne_u32_e32 vcc, s83, v1
	v_and_b32_e32 v2, 7, v44
	s_and_saveexec_b64 s[24:25], vcc
	s_xor_b64 s[24:25], exec, s[24:25]
	s_andn2_saveexec_b64 s[24:25], s[24:25]
	s_cbranch_execz .LBB11_757
; %bb.756:                              ;   in Loop: Header=BB11_728 Depth=2
	v_ashrrev_i32_e32 v7, 31, v6
	v_mad_u64_u32 v[4:5], s[28:29], v2, 24, v[48:49]
	v_lshlrev_b64 v[8:9], 1, v[6:7]
	flat_store_dwordx2 v[4:5], v[8:9] offset:8
.LBB11_757:                             ;   in Loop: Header=BB11_728 Depth=2
	s_or_b64 exec, exec, s[24:25]
	v_and_b32_e32 v1, 0x100, v62
	v_cmp_ne_u32_e32 vcc, 0, v1
	s_mov_b64 s[24:25], -1
                                        ; implicit-def: $vgpr4_vgpr5
	s_and_saveexec_b64 s[28:29], vcc
	s_cbranch_execz .LBB11_761
; %bb.758:                              ;   in Loop: Header=BB11_728 Depth=2
	v_mad_u64_u32 v[8:9], s[24:25], v2, 24, v[48:49]
	v_mov_b32_e32 v4, v9
	v_mad_u64_u32 v[4:5], s[24:25], v3, 24, v[4:5]
	v_mov_b32_e32 v9, v4
	flat_load_dword v1, v[8:9]
                                        ; implicit-def: $vgpr4_vgpr5
	s_waitcnt vmcnt(0) lgkmcnt(0)
	v_cmp_ne_u32_e32 vcc, 1, v1
	v_cmp_eq_u32_e64 s[24:25], 1, v1
	s_and_saveexec_b64 s[56:57], s[24:25]
	s_cbranch_execz .LBB11_760
; %bb.759:                              ;   in Loop: Header=BB11_728 Depth=2
	flat_load_dword v4, v[8:9] offset:4 sc0 sc1
	s_waitcnt vmcnt(0) lgkmcnt(0)
	v_ashrrev_i32_e32 v5, 31, v4
	v_lshrrev_b64 v[4:5], 1, v[4:5]
.LBB11_760:                             ;   in Loop: Header=BB11_728 Depth=2
	s_or_b64 exec, exec, s[56:57]
	s_orn2_b64 s[24:25], vcc, exec
.LBB11_761:                             ;   in Loop: Header=BB11_728 Depth=2
	s_or_b64 exec, exec, s[28:29]
	s_and_saveexec_b64 s[28:29], s[24:25]
; %bb.762:                              ;   in Loop: Header=BB11_728 Depth=2
	v_mul_lo_u32 v1, v3, v40
	v_mul_lo_u32 v7, v2, v51
	v_mad_u64_u32 v[4:5], s[24:25], v2, v40, 0
	v_add3_u32 v5, v5, v7, v1
; %bb.763:                              ;   in Loop: Header=BB11_728 Depth=2
	s_or_b64 exec, exec, s[28:29]
	v_and_b32_e32 v1, 0x2000, v62
	v_lshl_add_u64 v[4:5], v[4:5], 1, v[36:37]
	v_cmp_ne_u32_e32 vcc, 0, v1
	s_trap 2
	ds_write_b64 v0, v[4:5]
	s_and_saveexec_b64 s[24:25], vcc
	s_cbranch_execz .LBB11_765
; %bb.764:                              ;   in Loop: Header=BB11_728 Depth=2
	ds_read_b64 v[4:5], v0 offset:584
	s_waitcnt lgkmcnt(0)
	v_lshl_add_u64 v[4:5], v[4:5], 0, 1
	ds_write_b64 v0, v[4:5] offset:584
.LBB11_765:                             ;   in Loop: Header=BB11_728 Depth=2
	s_or_b64 exec, exec, s[24:25]
	v_lshl_add_u64 v[44:45], v[44:45], 0, 4
.LBB11_766:                             ;   in Loop: Header=BB11_728 Depth=2
	s_or_b64 exec, exec, s[26:27]
	s_and_saveexec_b64 s[24:25], s[6:7]
	s_cbranch_execz .LBB11_815
; %bb.767:                              ;   in Loop: Header=BB11_728 Depth=2
	s_and_saveexec_b64 s[26:27], s[40:41]
	s_xor_b64 s[26:27], exec, s[26:27]
	s_cbranch_execz .LBB11_812
; %bb.768:                              ;   in Loop: Header=BB11_728 Depth=2
	s_and_saveexec_b64 s[28:29], s[14:15]
	s_cbranch_execz .LBB11_811
; %bb.769:                              ;   in Loop: Header=BB11_728 Depth=2
	s_mov_b64 s[58:59], exec
	v_mbcnt_lo_u32_b32 v1, s58, 0
	v_mbcnt_hi_u32_b32 v1, s59, v1
	v_cmp_eq_u32_e32 vcc, 0, v1
	s_waitcnt lgkmcnt(0)
	s_and_saveexec_b64 s[56:57], vcc
	s_cbranch_execz .LBB11_771
; %bb.770:                              ;   in Loop: Header=BB11_728 Depth=2
	s_bcnt1_i32_b64 vcc_lo, s[58:59]
	v_mov_b32_e32 v2, vcc_lo
	ds_add_u64 v0, v[2:3]
	s_trap 2
.LBB11_771:                             ;   in Loop: Header=BB11_728 Depth=2
	s_or_b64 exec, exec, s[56:57]
	s_trap 2
	ds_read_b64 v[4:5], v0
	v_lshl_add_u64 v[26:27], v[26:27], 0, v[52:53]
	s_waitcnt lgkmcnt(0)
	v_cmp_lt_u64_e32 vcc, v[4:5], v[26:27]
	s_and_saveexec_b64 s[56:57], vcc
	s_cbranch_execz .LBB11_810
; %bb.772:                              ;   in Loop: Header=BB11_728 Depth=2
	s_mov_b32 s68, 0
	s_mov_b64 s[58:59], 0
                                        ; implicit-def: $sgpr60_sgpr61
                                        ; implicit-def: $sgpr62_sgpr63
	s_branch .LBB11_774
.LBB11_773:                             ;   in Loop: Header=BB11_774 Depth=3
	s_or_b64 exec, exec, s[66:67]
	s_and_b64 vcc, exec, vcc
	s_or_b64 s[58:59], vcc, s[58:59]
	s_andn2_b64 vcc, s[60:61], exec
	s_and_b64 s[60:61], s[62:63], exec
	s_or_b64 s[60:61], vcc, s[60:61]
	s_andn2_b64 exec, exec, s[58:59]
	s_cbranch_execz .LBB11_808
.LBB11_774:                             ;   Parent Loop BB11_47 Depth=1
                                        ;     Parent Loop BB11_728 Depth=2
                                        ; =>    This Inner Loop Header: Depth=3
	s_add_i32 s68, s68, 1
	s_cmpk_lg_i32 s68, 0x2710
	s_cselect_b64 s[64:65], -1, 0
	s_and_b64 vcc, exec, s[64:65]
                                        ; implicit-def: $sgpr66_sgpr67
	s_cbranch_vccnz .LBB11_776
; %bb.775:                              ;   in Loop: Header=BB11_774 Depth=3
	s_trap 2
	ds_read_b64 v[4:5], v0
	s_andn2_b64 s[64:65], s[64:65], exec
	s_mov_b32 s68, 0
	s_mov_b64 s[66:67], -1
	s_waitcnt vmcnt(0) lgkmcnt(0)
	flat_load_dword v1, v[4:5] sc0 sc1
	s_waitcnt vmcnt(0) lgkmcnt(0)
	buffer_inv sc0 sc1
	v_cmp_eq_u32_e32 vcc, 0, v1
	s_and_b64 vcc, vcc, exec
	s_or_b64 s[64:65], s[64:65], vcc
.LBB11_776:                             ;   in Loop: Header=BB11_774 Depth=3
	s_andn2_b64 s[62:63], s[62:63], exec
	s_and_b64 s[66:67], s[66:67], exec
	s_mov_b64 vcc, -1
	s_or_b64 s[62:63], s[62:63], s[66:67]
	s_and_saveexec_b64 s[66:67], s[64:65]
	s_cbranch_execz .LBB11_773
; %bb.777:                              ;   in Loop: Header=BB11_774 Depth=3
	s_sleep 1
	s_trap 2
	ds_read_b64 v[4:5], v0
	s_andn2_b64 s[62:63], s[62:63], exec
	s_waitcnt lgkmcnt(0)
	v_cmp_ge_u64_e32 vcc, v[4:5], v[26:27]
	s_orn2_b64 vcc, vcc, exec
	s_branch .LBB11_773
.LBB11_778:                             ;   in Loop: Header=BB11_728 Depth=2
	s_or_b64 exec, exec, s[30:31]
	v_and_b32_e32 v7, 12, v62
.LBB11_779:                             ;   in Loop: Header=BB11_728 Depth=2
	s_or_b64 exec, exec, s[28:29]
	v_cmp_eq_u32_e32 vcc, 0, v7
	s_orn2_b64 s[28:29], vcc, exec
	;;#ASMSTART
	s_wakeup
	;;#ASMEND
.LBB11_780:                             ;   in Loop: Header=BB11_728 Depth=2
	s_or_b64 exec, exec, s[24:25]
	v_sub_u32_e32 v0, v14, v1
	s_xor_b64 s[24:25], s[28:29], -1
	v_min_i32_e32 v6, v6, v0
	s_and_saveexec_b64 s[28:29], s[24:25]
	s_cbranch_execz .LBB11_796
; %bb.781:                              ;   in Loop: Header=BB11_728 Depth=2
	v_and_b32_e32 v0, 0x108, v62
	v_cmp_ne_u32_e32 vcc, s83, v0
	v_and_b32_e32 v2, 7, v44
	s_and_saveexec_b64 s[24:25], vcc
	s_xor_b64 s[24:25], exec, s[24:25]
	s_andn2_saveexec_b64 s[24:25], s[24:25]
	s_cbranch_execz .LBB11_783
; %bb.782:                              ;   in Loop: Header=BB11_728 Depth=2
	v_ashrrev_i32_e32 v7, 31, v6
	v_mad_u64_u32 v[0:1], vcc, v2, 24, v[48:49]
	v_lshlrev_b64 v[4:5], 1, v[6:7]
	flat_store_dwordx2 v[0:1], v[4:5] offset:8
.LBB11_783:                             ;   in Loop: Header=BB11_728 Depth=2
	s_or_b64 exec, exec, s[24:25]
	v_and_b32_e32 v0, 0x100, v62
	v_cmp_ne_u32_e32 vcc, 0, v0
	s_mov_b64 s[24:25], -1
                                        ; implicit-def: $vgpr4_vgpr5
	s_and_saveexec_b64 s[30:31], vcc
	s_cbranch_execz .LBB11_787
; %bb.784:                              ;   in Loop: Header=BB11_728 Depth=2
	v_mad_u64_u32 v[8:9], s[24:25], v2, 24, v[48:49]
	v_mov_b32_e32 v0, v9
	v_mad_u64_u32 v[0:1], s[24:25], v3, 24, v[0:1]
	v_mov_b32_e32 v9, v0
	flat_load_dword v0, v[8:9]
                                        ; implicit-def: $vgpr4_vgpr5
	s_waitcnt vmcnt(0) lgkmcnt(0)
	v_cmp_ne_u32_e32 vcc, 1, v0
	v_cmp_eq_u32_e64 s[24:25], 1, v0
	s_and_saveexec_b64 s[54:55], s[24:25]
	s_cbranch_execz .LBB11_786
; %bb.785:                              ;   in Loop: Header=BB11_728 Depth=2
	flat_load_dword v0, v[8:9] offset:4 sc0 sc1
	s_waitcnt vmcnt(0) lgkmcnt(0)
	v_ashrrev_i32_e32 v1, 31, v0
	v_lshrrev_b64 v[4:5], 1, v[0:1]
.LBB11_786:                             ;   in Loop: Header=BB11_728 Depth=2
	s_or_b64 exec, exec, s[54:55]
	s_orn2_b64 s[24:25], vcc, exec
.LBB11_787:                             ;   in Loop: Header=BB11_728 Depth=2
	s_or_b64 exec, exec, s[30:31]
	s_and_saveexec_b64 vcc, s[24:25]
; %bb.788:                              ;   in Loop: Header=BB11_728 Depth=2
	v_mul_lo_u32 v0, v3, v40
	v_mul_lo_u32 v1, v2, v51
	v_mad_u64_u32 v[4:5], s[24:25], v2, v40, 0
	v_add3_u32 v5, v5, v1, v0
; %bb.789:                              ;   in Loop: Header=BB11_728 Depth=2
	s_or_b64 exec, exec, vcc
	v_lshl_add_u64 v[0:1], v[4:5], 1, v[36:37]
	s_trap 2
	ds_write_b64 v0, v[0:1]
	v_and_b32_e32 v0, 0x2000, v62
	v_cmp_ne_u32_e32 vcc, 0, v0
	s_and_saveexec_b64 s[24:25], vcc
	s_cbranch_execz .LBB11_791
; %bb.790:                              ;   in Loop: Header=BB11_728 Depth=2
	ds_read_b64 v[0:1], v0 offset:584
	s_waitcnt lgkmcnt(0)
	v_lshl_add_u64 v[0:1], v[0:1], 0, 1
	ds_write_b64 v0, v[0:1] offset:584
.LBB11_791:                             ;   in Loop: Header=BB11_728 Depth=2
	s_or_b64 exec, exec, s[24:25]
	v_lshl_add_u64 v[44:45], v[44:45], 0, 4
	s_or_b64 exec, exec, s[28:29]
	s_and_saveexec_b64 s[24:25], s[6:7]
	s_cbranch_execnz .LBB11_797
.LBB11_792:                             ;   in Loop: Header=BB11_728 Depth=2
	s_or_b64 exec, exec, s[24:25]
                                        ; implicit-def: $vgpr0
	s_and_saveexec_b64 s[24:25], s[22:23]
	s_xor_b64 s[24:25], exec, s[24:25]
	s_cbranch_execz .LBB11_834
.LBB11_793:                             ;   in Loop: Header=BB11_728 Depth=2
	s_trap 2
	ds_read_b32 v1, v0
	v_cmp_lt_i32_e32 vcc, 0, v6
	v_and_b32_e32 v2, 16, v62
	v_and_b32_e32 v0, 16, v62
	s_waitcnt lgkmcnt(0)
	v_readfirstlane_b32 s28, v1
	s_cmp_eq_u32 s28, 0
	s_cselect_b64 s[28:29], -1, 0
	s_and_b64 s[28:29], vcc, s[28:29]
	v_cmp_ne_u32_e32 vcc, 0, v2
	s_and_b64 vcc, vcc, s[28:29]
	s_and_saveexec_b64 s[28:29], vcc
	s_cbranch_execz .LBB11_795
; %bb.794:                              ;   in Loop: Header=BB11_728 Depth=2
	v_mov_b32_e32 v0, 1
	buffer_wbl2 sc1
	s_waitcnt vmcnt(0)
	buffer_inv sc1
.LBB11_795:                             ;   in Loop: Header=BB11_728 Depth=2
	s_or_b64 exec, exec, s[28:29]
	s_andn2_saveexec_b64 s[24:25], s[24:25]
	s_cbranch_execz .LBB11_940
	s_branch .LBB11_835
.LBB11_796:                             ;   in Loop: Header=BB11_728 Depth=2
	s_or_b64 exec, exec, s[28:29]
	s_and_saveexec_b64 s[24:25], s[6:7]
	s_cbranch_execz .LBB11_792
.LBB11_797:                             ;   in Loop: Header=BB11_728 Depth=2
	s_and_saveexec_b64 s[28:29], s[40:41]
	s_xor_b64 s[28:29], exec, s[28:29]
	s_cbranch_execz .LBB11_831
; %bb.798:                              ;   in Loop: Header=BB11_728 Depth=2
	s_and_saveexec_b64 s[30:31], s[14:15]
	s_cbranch_execz .LBB11_830
; %bb.799:                              ;   in Loop: Header=BB11_728 Depth=2
	s_mov_b64 s[56:57], exec
	v_mbcnt_lo_u32_b32 v0, s56, 0
	v_mbcnt_hi_u32_b32 v0, s57, v0
	v_cmp_eq_u32_e32 vcc, 0, v0
	s_waitcnt lgkmcnt(0)
	s_and_saveexec_b64 s[54:55], vcc
	s_cbranch_execz .LBB11_801
; %bb.800:                              ;   in Loop: Header=BB11_728 Depth=2
	s_bcnt1_i32_b64 vcc_lo, s[56:57]
	v_mov_b32_e32 v2, vcc_lo
	ds_add_u64 v0, v[2:3]
	s_trap 2
.LBB11_801:                             ;   in Loop: Header=BB11_728 Depth=2
	s_or_b64 exec, exec, s[54:55]
	s_trap 2
	ds_read_b64 v[0:1], v0
	v_lshl_add_u64 v[26:27], v[26:27], 0, v[52:53]
	s_waitcnt lgkmcnt(0)
	v_cmp_lt_u64_e32 vcc, v[0:1], v[26:27]
	s_and_saveexec_b64 s[54:55], vcc
	s_cbranch_execz .LBB11_829
; %bb.802:                              ;   in Loop: Header=BB11_728 Depth=2
	s_mov_b32 s66, 0
	s_mov_b64 s[56:57], 0
                                        ; implicit-def: $sgpr58_sgpr59
                                        ; implicit-def: $sgpr60_sgpr61
	s_branch .LBB11_804
.LBB11_803:                             ;   in Loop: Header=BB11_804 Depth=3
	s_or_b64 exec, exec, s[64:65]
	s_and_b64 vcc, exec, vcc
	s_or_b64 s[56:57], vcc, s[56:57]
	s_andn2_b64 vcc, s[58:59], exec
	s_and_b64 s[58:59], s[60:61], exec
	s_or_b64 s[58:59], vcc, s[58:59]
	s_andn2_b64 exec, exec, s[56:57]
	s_cbranch_execz .LBB11_827
.LBB11_804:                             ;   Parent Loop BB11_47 Depth=1
                                        ;     Parent Loop BB11_728 Depth=2
                                        ; =>    This Inner Loop Header: Depth=3
	s_add_i32 s66, s66, 1
	s_cmpk_lg_i32 s66, 0x2710
	s_cselect_b64 s[62:63], -1, 0
	s_and_b64 vcc, exec, s[62:63]
                                        ; implicit-def: $sgpr64_sgpr65
	s_cbranch_vccnz .LBB11_806
; %bb.805:                              ;   in Loop: Header=BB11_804 Depth=3
	s_trap 2
	ds_read_b64 v[0:1], v0
	s_andn2_b64 s[62:63], s[62:63], exec
	s_mov_b32 s66, 0
	s_mov_b64 s[64:65], -1
	s_waitcnt vmcnt(0) lgkmcnt(0)
	flat_load_dword v0, v[0:1] sc0 sc1
	s_waitcnt vmcnt(0) lgkmcnt(0)
	buffer_inv sc0 sc1
	v_cmp_eq_u32_e32 vcc, 0, v0
	s_and_b64 vcc, vcc, exec
	s_or_b64 s[62:63], s[62:63], vcc
.LBB11_806:                             ;   in Loop: Header=BB11_804 Depth=3
	s_andn2_b64 s[60:61], s[60:61], exec
	s_and_b64 s[64:65], s[64:65], exec
	s_mov_b64 vcc, -1
	s_or_b64 s[60:61], s[60:61], s[64:65]
	s_and_saveexec_b64 s[64:65], s[62:63]
	s_cbranch_execz .LBB11_803
; %bb.807:                              ;   in Loop: Header=BB11_804 Depth=3
	s_sleep 1
	s_trap 2
	ds_read_b64 v[0:1], v0
	s_andn2_b64 s[60:61], s[60:61], exec
	s_waitcnt lgkmcnt(0)
	v_cmp_ge_u64_e32 vcc, v[0:1], v[26:27]
	s_orn2_b64 vcc, vcc, exec
	s_branch .LBB11_803
.LBB11_808:                             ;   in Loop: Header=BB11_728 Depth=2
	s_or_b64 exec, exec, s[58:59]
	s_and_saveexec_b64 vcc, s[60:61]
	s_xor_b64 vcc, exec, vcc
	s_cbranch_execz .LBB11_810
; %bb.809:                              ;   in Loop: Header=BB11_728 Depth=2
	ds_write_b32 v0, v25
	s_trap 2
.LBB11_810:                             ;   in Loop: Header=BB11_728 Depth=2
	s_or_b64 exec, exec, s[56:57]
	;;#ASMSTART
	s_wakeup
	;;#ASMEND
.LBB11_811:                             ;   in Loop: Header=BB11_728 Depth=2
	s_or_b64 exec, exec, s[28:29]
.LBB11_812:                             ;   in Loop: Header=BB11_728 Depth=2
	s_andn2_saveexec_b64 s[26:27], s[26:27]
	s_cbranch_execz .LBB11_814
; %bb.813:                              ;   in Loop: Header=BB11_728 Depth=2
	s_waitcnt lgkmcnt(0)
	s_barrier
.LBB11_814:                             ;   in Loop: Header=BB11_728 Depth=2
	s_or_b64 exec, exec, s[26:27]
.LBB11_815:                             ;   in Loop: Header=BB11_728 Depth=2
	s_or_b64 exec, exec, s[24:25]
	s_trap 2
	ds_read_b32 v1, v0
	v_and_b32_e32 v2, 0x4000, v62
	v_cmp_ne_u32_e32 vcc, 0, v2
	s_xor_b64 s[24:25], s[4:5], -1
	s_and_b64 s[26:27], s[24:25], vcc
	s_and_saveexec_b64 s[24:25], s[26:27]
	s_cbranch_execz .LBB11_853
; %bb.816:                              ;   in Loop: Header=BB11_728 Depth=2
	s_and_saveexec_b64 s[26:27], s[40:41]
	s_xor_b64 s[26:27], exec, s[26:27]
	s_cbranch_execz .LBB11_850
; %bb.817:                              ;   in Loop: Header=BB11_728 Depth=2
	s_and_saveexec_b64 s[28:29], s[14:15]
	s_cbranch_execz .LBB11_849
; %bb.818:                              ;   in Loop: Header=BB11_728 Depth=2
	s_mov_b64 s[58:59], exec
	v_mbcnt_lo_u32_b32 v2, s58, 0
	v_mbcnt_hi_u32_b32 v2, s59, v2
	v_cmp_eq_u32_e32 vcc, 0, v2
	s_waitcnt lgkmcnt(0)
	s_and_saveexec_b64 s[56:57], vcc
	s_cbranch_execz .LBB11_820
; %bb.819:                              ;   in Loop: Header=BB11_728 Depth=2
	s_bcnt1_i32_b64 vcc_lo, s[58:59]
	v_mov_b32_e32 v2, vcc_lo
	ds_add_u64 v0, v[2:3]
	s_trap 2
.LBB11_820:                             ;   in Loop: Header=BB11_728 Depth=2
	s_or_b64 exec, exec, s[56:57]
	s_trap 2
	ds_read_b64 v[4:5], v0
	v_lshl_add_u64 v[26:27], v[26:27], 0, v[52:53]
	s_waitcnt lgkmcnt(0)
	v_cmp_lt_u64_e32 vcc, v[4:5], v[26:27]
	s_and_saveexec_b64 s[56:57], vcc
	s_cbranch_execz .LBB11_848
; %bb.821:                              ;   in Loop: Header=BB11_728 Depth=2
	s_mov_b32 s68, 0
	s_mov_b64 s[58:59], 0
                                        ; implicit-def: $sgpr60_sgpr61
                                        ; implicit-def: $sgpr62_sgpr63
	s_branch .LBB11_823
.LBB11_822:                             ;   in Loop: Header=BB11_823 Depth=3
	s_or_b64 exec, exec, s[66:67]
	s_and_b64 vcc, exec, vcc
	s_or_b64 s[58:59], vcc, s[58:59]
	s_andn2_b64 vcc, s[60:61], exec
	s_and_b64 s[60:61], s[62:63], exec
	s_or_b64 s[60:61], vcc, s[60:61]
	s_andn2_b64 exec, exec, s[58:59]
	s_cbranch_execz .LBB11_846
.LBB11_823:                             ;   Parent Loop BB11_47 Depth=1
                                        ;     Parent Loop BB11_728 Depth=2
                                        ; =>    This Inner Loop Header: Depth=3
	s_add_i32 s68, s68, 1
	s_cmpk_lg_i32 s68, 0x2710
	s_cselect_b64 s[64:65], -1, 0
	s_and_b64 vcc, exec, s[64:65]
                                        ; implicit-def: $sgpr66_sgpr67
	s_cbranch_vccnz .LBB11_825
; %bb.824:                              ;   in Loop: Header=BB11_823 Depth=3
	s_trap 2
	ds_read_b64 v[4:5], v0
	s_andn2_b64 s[64:65], s[64:65], exec
	s_mov_b32 s68, 0
	s_mov_b64 s[66:67], -1
	s_waitcnt vmcnt(0) lgkmcnt(0)
	flat_load_dword v2, v[4:5] sc0 sc1
	s_waitcnt vmcnt(0) lgkmcnt(0)
	buffer_inv sc0 sc1
	v_cmp_eq_u32_e32 vcc, 0, v2
	s_and_b64 vcc, vcc, exec
	s_or_b64 s[64:65], s[64:65], vcc
.LBB11_825:                             ;   in Loop: Header=BB11_823 Depth=3
	s_andn2_b64 s[62:63], s[62:63], exec
	s_and_b64 s[66:67], s[66:67], exec
	s_mov_b64 vcc, -1
	s_or_b64 s[62:63], s[62:63], s[66:67]
	s_and_saveexec_b64 s[66:67], s[64:65]
	s_cbranch_execz .LBB11_822
; %bb.826:                              ;   in Loop: Header=BB11_823 Depth=3
	s_sleep 1
	s_trap 2
	ds_read_b64 v[4:5], v0
	s_andn2_b64 s[62:63], s[62:63], exec
	s_waitcnt lgkmcnt(0)
	v_cmp_ge_u64_e32 vcc, v[4:5], v[26:27]
	s_orn2_b64 vcc, vcc, exec
	s_branch .LBB11_822
.LBB11_827:                             ;   in Loop: Header=BB11_728 Depth=2
	s_or_b64 exec, exec, s[56:57]
	s_and_saveexec_b64 vcc, s[58:59]
	s_xor_b64 vcc, exec, vcc
	s_cbranch_execz .LBB11_829
; %bb.828:                              ;   in Loop: Header=BB11_728 Depth=2
	ds_write_b32 v0, v25
	s_trap 2
.LBB11_829:                             ;   in Loop: Header=BB11_728 Depth=2
	s_or_b64 exec, exec, s[54:55]
	;;#ASMSTART
	s_wakeup
	;;#ASMEND
.LBB11_830:                             ;   in Loop: Header=BB11_728 Depth=2
	s_or_b64 exec, exec, s[30:31]
.LBB11_831:                             ;   in Loop: Header=BB11_728 Depth=2
	s_andn2_saveexec_b64 s[28:29], s[28:29]
	s_cbranch_execz .LBB11_833
; %bb.832:                              ;   in Loop: Header=BB11_728 Depth=2
	s_waitcnt lgkmcnt(0)
	s_barrier
.LBB11_833:                             ;   in Loop: Header=BB11_728 Depth=2
	s_or_b64 exec, exec, s[28:29]
	s_or_b64 exec, exec, s[24:25]
                                        ; implicit-def: $vgpr0
	s_and_saveexec_b64 s[24:25], s[22:23]
	s_xor_b64 s[24:25], exec, s[24:25]
	s_cbranch_execnz .LBB11_793
.LBB11_834:                             ;   in Loop: Header=BB11_728 Depth=2
	s_andn2_saveexec_b64 s[24:25], s[24:25]
	s_cbranch_execz .LBB11_940
.LBB11_835:                             ;   in Loop: Header=BB11_728 Depth=2
	s_and_saveexec_b64 s[28:29], s[40:41]
	s_xor_b64 s[28:29], exec, s[28:29]
	s_cbranch_execz .LBB11_937
; %bb.836:                              ;   in Loop: Header=BB11_728 Depth=2
	s_and_saveexec_b64 s[30:31], s[14:15]
	s_cbranch_execz .LBB11_936
; %bb.837:                              ;   in Loop: Header=BB11_728 Depth=2
	s_mov_b64 s[56:57], exec
	v_mbcnt_lo_u32_b32 v0, s56, 0
	v_mbcnt_hi_u32_b32 v0, s57, v0
	v_cmp_eq_u32_e32 vcc, 0, v0
	;;#ASMSTART
	s_waitcnt lgkmcnt(0) vmcnt(0)
	;;#ASMEND
	s_and_saveexec_b64 s[54:55], vcc
	s_cbranch_execz .LBB11_839
; %bb.838:                              ;   in Loop: Header=BB11_728 Depth=2
	s_bcnt1_i32_b64 vcc_lo, s[56:57]
	v_mov_b32_e32 v2, vcc_lo
	ds_add_u64 v0, v[2:3]
	s_trap 2
.LBB11_839:                             ;   in Loop: Header=BB11_728 Depth=2
	s_or_b64 exec, exec, s[54:55]
	s_trap 2
	ds_read_b64 v[0:1], v0
	v_lshl_add_u64 v[26:27], v[26:27], 0, v[52:53]
	s_waitcnt lgkmcnt(0)
	v_cmp_lt_u64_e32 vcc, v[0:1], v[26:27]
	s_and_saveexec_b64 s[54:55], vcc
	s_cbranch_execz .LBB11_935
; %bb.840:                              ;   in Loop: Header=BB11_728 Depth=2
	s_mov_b32 s66, 0
	s_mov_b64 s[56:57], 0
                                        ; implicit-def: $sgpr58_sgpr59
                                        ; implicit-def: $sgpr60_sgpr61
	s_branch .LBB11_842
.LBB11_841:                             ;   in Loop: Header=BB11_842 Depth=3
	s_or_b64 exec, exec, s[64:65]
	s_and_b64 vcc, exec, vcc
	s_or_b64 s[56:57], vcc, s[56:57]
	s_andn2_b64 vcc, s[58:59], exec
	s_and_b64 s[58:59], s[60:61], exec
	s_or_b64 s[58:59], vcc, s[58:59]
	s_andn2_b64 exec, exec, s[56:57]
	s_cbranch_execz .LBB11_933
.LBB11_842:                             ;   Parent Loop BB11_47 Depth=1
                                        ;     Parent Loop BB11_728 Depth=2
                                        ; =>    This Inner Loop Header: Depth=3
	s_add_i32 s66, s66, 1
	s_cmpk_lg_i32 s66, 0x2710
	s_cselect_b64 s[62:63], -1, 0
	s_and_b64 vcc, exec, s[62:63]
                                        ; implicit-def: $sgpr64_sgpr65
	s_cbranch_vccnz .LBB11_844
; %bb.843:                              ;   in Loop: Header=BB11_842 Depth=3
	s_trap 2
	ds_read_b64 v[0:1], v0
	s_andn2_b64 s[62:63], s[62:63], exec
	s_mov_b32 s66, 0
	s_mov_b64 s[64:65], -1
	s_waitcnt vmcnt(0) lgkmcnt(0)
	flat_load_dword v0, v[0:1] sc0 sc1
	s_waitcnt vmcnt(0) lgkmcnt(0)
	buffer_inv sc0 sc1
	v_cmp_eq_u32_e32 vcc, 0, v0
	s_and_b64 vcc, vcc, exec
	s_or_b64 s[62:63], s[62:63], vcc
.LBB11_844:                             ;   in Loop: Header=BB11_842 Depth=3
	s_andn2_b64 s[60:61], s[60:61], exec
	s_and_b64 s[64:65], s[64:65], exec
	s_mov_b64 vcc, -1
	s_or_b64 s[60:61], s[60:61], s[64:65]
	s_and_saveexec_b64 s[64:65], s[62:63]
	s_cbranch_execz .LBB11_841
; %bb.845:                              ;   in Loop: Header=BB11_842 Depth=3
	s_sleep 1
	s_trap 2
	ds_read_b64 v[0:1], v0
	s_andn2_b64 s[60:61], s[60:61], exec
	s_waitcnt lgkmcnt(0)
	v_cmp_ge_u64_e32 vcc, v[0:1], v[26:27]
	s_orn2_b64 vcc, vcc, exec
	s_branch .LBB11_841
.LBB11_846:                             ;   in Loop: Header=BB11_728 Depth=2
	s_or_b64 exec, exec, s[58:59]
	s_and_saveexec_b64 vcc, s[60:61]
	s_xor_b64 vcc, exec, vcc
	s_cbranch_execz .LBB11_848
; %bb.847:                              ;   in Loop: Header=BB11_728 Depth=2
	ds_write_b32 v0, v25
	s_trap 2
.LBB11_848:                             ;   in Loop: Header=BB11_728 Depth=2
	s_or_b64 exec, exec, s[56:57]
	;;#ASMSTART
	s_wakeup
	;;#ASMEND
.LBB11_849:                             ;   in Loop: Header=BB11_728 Depth=2
	s_or_b64 exec, exec, s[28:29]
.LBB11_850:                             ;   in Loop: Header=BB11_728 Depth=2
	s_andn2_saveexec_b64 s[26:27], s[26:27]
	s_cbranch_execz .LBB11_852
; %bb.851:                              ;   in Loop: Header=BB11_728 Depth=2
	s_waitcnt lgkmcnt(0)
	s_barrier
.LBB11_852:                             ;   in Loop: Header=BB11_728 Depth=2
	s_or_b64 exec, exec, s[26:27]
.LBB11_853:                             ;   in Loop: Header=BB11_728 Depth=2
	s_or_b64 exec, exec, s[24:25]
	s_trap 2
	ds_read_b64 v[4:5], v0
	s_waitcnt lgkmcnt(0)
	v_readfirstlane_b32 s24, v4
	v_readfirstlane_b32 s25, v5
	s_cmp_eq_u64 s[24:25], 0
	s_cselect_b64 s[24:25], -1, 0
	s_or_b64 s[26:27], s[24:25], s[24:25]
	s_mov_b64 s[24:25], 0
	s_and_b64 vcc, exec, s[26:27]
	s_cbranch_vccnz .LBB11_861
; %bb.854:                              ;   in Loop: Header=BB11_728 Depth=2
	s_trap 2
	ds_read_b64 v[4:5], v0
	v_cmp_eq_u32_e64 s[24:25], 0, v1
	s_waitcnt lgkmcnt(0)
	v_cmp_ne_u64_e32 vcc, 0, v[4:5]
	v_cndmask_b32_e64 v2, 0, v6, s[24:25]
	s_cbranch_vccz .LBB11_866
; %bb.855:                              ;   in Loop: Header=BB11_728 Depth=2
	s_trap 2
	s_waitcnt vmcnt(0)
	ds_read_b64 v[16:17], v0
	s_mov_b64 s[26:27], -1
	s_and_saveexec_b64 s[24:25], s[18:19]
	s_cbranch_execz .LBB11_857
; %bb.856:                              ;   in Loop: Header=BB11_728 Depth=2
	ds_read_b32 v0, v0 offset:720
	s_waitcnt lgkmcnt(0)
	v_and_b32_e32 v0, 15, v0
	v_cmp_eq_u32_e32 vcc, 0, v0
	s_orn2_b64 s[26:27], vcc, exec
.LBB11_857:                             ;   in Loop: Header=BB11_728 Depth=2
	s_or_b64 exec, exec, s[24:25]
	s_and_saveexec_b64 s[24:25], s[20:21]
	s_cbranch_execz .LBB11_859
; %bb.858:                              ;   in Loop: Header=BB11_728 Depth=2
	ds_read_b32 v0, v0 offset:784
	s_waitcnt lgkmcnt(0)
	v_and_b32_e32 v0, 15, v0
	v_cmp_eq_u32_e32 vcc, 0, v0
	s_and_b64 s[28:29], s[26:27], vcc
	s_andn2_b64 s[26:27], s[26:27], exec
	s_and_b64 s[28:29], s[28:29], exec
	s_or_b64 s[26:27], s[26:27], s[28:29]
.LBB11_859:                             ;   in Loop: Header=BB11_728 Depth=2
	s_or_b64 exec, exec, s[24:25]
	s_xor_b64 s[26:27], s[26:27], -1
	v_cndmask_b32_e64 v0, 0, 1, s[26:27]
	v_accvgpr_write_b32 a35, v2
	v_lshlrev_b32_e32 v24, 1, v2
	s_mov_b64 s[24:25], -1
	;;#ASMSTART
	;;#ASMEND
	v_mov_b32_e32 v2, 0
	v_cmp_ne_u32_e32 vcc, 0, v0
	s_cbranch_vccz .LBB11_867
; %bb.860:                              ;   in Loop: Header=BB11_728 Depth=2
	v_mov_b32_e32 v56, v14
	v_mov_b32_e32 v7, v60
	;; [unrolled: 1-line block ×3, first 2 shown]
	s_and_saveexec_b64 s[28:29], s[24:25]
	s_cbranch_execnz .LBB11_882
	s_branch .LBB11_892
.LBB11_861:                             ;   in Loop: Header=BB11_728 Depth=2
	s_and_saveexec_b64 s[26:27], s[6:7]
	s_cbranch_execnz .LBB11_922
.LBB11_862:                             ;   in Loop: Header=BB11_728 Depth=2
	s_or_b64 exec, exec, s[26:27]
                                        ; implicit-def: $vgpr1
	s_and_saveexec_b64 s[26:27], s[22:23]
	s_xor_b64 s[26:27], exec, s[26:27]
	s_cbranch_execz .LBB11_952
.LBB11_863:                             ;   in Loop: Header=BB11_728 Depth=2
	v_and_b32_e32 v0, 16, v62
	v_cmp_ne_u32_e32 vcc, 0, v0
	v_and_b32_e32 v1, 16, v62
	s_and_b64 s[28:29], vcc, s[24:25]
	s_and_saveexec_b64 s[24:25], s[28:29]
	s_cbranch_execz .LBB11_865
; %bb.864:                              ;   in Loop: Header=BB11_728 Depth=2
	v_mov_b32_e32 v1, 1
	buffer_wbl2 sc1
	s_waitcnt vmcnt(0) lgkmcnt(0)
	buffer_inv sc1
.LBB11_865:                             ;   in Loop: Header=BB11_728 Depth=2
	s_or_b64 exec, exec, s[24:25]
	s_andn2_saveexec_b64 s[24:25], s[26:27]
	s_cbranch_execz .LBB11_971
	s_branch .LBB11_953
.LBB11_866:                             ;   in Loop: Header=BB11_728 Depth=2
	s_cbranch_execnz .LBB11_893
	s_branch .LBB11_921
.LBB11_867:                             ;   in Loop: Header=BB11_728 Depth=2
	v_ashrrev_i32_e32 v0, 31, v24
	v_lshrrev_b32_e32 v0, 21, v0
	v_add_u32_e32 v0, v24, v0
	v_ashrrev_i32_e32 v2, 11, v0
	v_sub_u32_e32 v1, v2, v50
	v_cmp_lt_i32_e32 vcc, 0, v1
	s_and_saveexec_b64 s[24:25], vcc
	s_cbranch_execz .LBB11_871
; %bb.868:                              ;   in Loop: Header=BB11_728 Depth=2
	s_trap 2
	ds_read_b128 v[8:11], v0
	ds_read_b64 v[4:5], v0
	v_accvgpr_read_b32 v22, a38
	v_accvgpr_write_b32 a12, v26
	v_accvgpr_read_b32 v23, a39
	v_accvgpr_write_b32 a34, v14
	v_accvgpr_write_b32 a13, v27
	s_mov_b64 s[26:27], 0
	s_waitcnt lgkmcnt(1)
	v_lshl_add_u64 v[18:19], v[8:9], 0, v[22:23]
	v_mov_b64_e32 v[56:57], v[20:21]
	v_lshl_add_u64 v[20:21], v[10:11], 0, v[22:23]
.LBB11_869:                             ;   Parent Loop BB11_47 Depth=1
                                        ;     Parent Loop BB11_728 Depth=2
                                        ; =>    This Inner Loop Header: Depth=3
	v_lshl_add_u64 v[12:13], v[16:17], 0, v[22:23]
	s_waitcnt lgkmcnt(0)
	v_lshl_add_u64 v[14:15], v[4:5], 0, v[22:23]
	global_load_dwordx4 v[30:33], v[12:13], off nt
	global_load_dwordx4 v[8:11], v[14:15], off nt
	global_load_dwordx4 v[34:37], v[12:13], off offset:1024 nt
	s_nop 0
	global_load_dwordx4 v[12:15], v[14:15], off offset:1024 nt
	v_sub_u32_e32 v1, v1, v52
	v_cmp_gt_i32_e32 vcc, 1, v1
	v_lshl_add_u64 v[22:23], v[22:23], 0, v[56:57]
	s_or_b64 s[26:27], vcc, s[26:27]
	s_waitcnt vmcnt(2)
	v_mul_f16_e32 v0, v8, v30
	v_mul_f16_sdwa v7, v8, v30 dst_sel:WORD_1 dst_unused:UNUSED_PAD src0_sel:WORD_1 src1_sel:WORD_1
	v_mul_f16_e32 v25, v9, v31
	v_mul_f16_sdwa v26, v9, v31 dst_sel:WORD_1 dst_unused:UNUSED_PAD src0_sel:WORD_1 src1_sel:WORD_1
	;; [unrolled: 2-line block ×4, first 2 shown]
	s_waitcnt vmcnt(0)
	v_mul_f16_e32 v39, v12, v34
	v_mul_f16_sdwa v34, v12, v34 dst_sel:WORD_1 dst_unused:UNUSED_PAD src0_sel:WORD_1 src1_sel:WORD_1
	v_mul_f16_e32 v48, v13, v35
	v_mul_f16_sdwa v35, v13, v35 dst_sel:WORD_1 dst_unused:UNUSED_PAD src0_sel:WORD_1 src1_sel:WORD_1
	;; [unrolled: 2-line block ×4, first 2 shown]
	v_or_b32_e32 v31, v26, v25
	v_or_b32_e32 v30, v7, v0
	;; [unrolled: 1-line block ×8, first 2 shown]
	global_store_dwordx4 v[18:19], v[30:33], off nt
	global_store_dwordx4 v[18:19], v[34:37], off offset:1024 nt
	global_store_dwordx4 v[20:21], v[8:11], off nt
	global_store_dwordx4 v[20:21], v[12:15], off offset:1024 nt
	v_lshl_add_u64 v[18:19], v[18:19], 0, v[56:57]
	v_lshl_add_u64 v[20:21], v[20:21], 0, v[56:57]
	s_andn2_b64 exec, exec, s[26:27]
	s_cbranch_execnz .LBB11_869
; %bb.870:                              ;   in Loop: Header=BB11_728 Depth=2
	s_or_b64 exec, exec, s[26:27]
	v_accvgpr_read_b32 v49, a15
	v_accvgpr_read_b32 v37, a19
	;; [unrolled: 1-line block ×16, first 2 shown]
	v_mov_b64_e32 v[20:21], v[56:57]
	v_mov_b32_e32 v25, 1
	v_accvgpr_read_b32 v14, a34
.LBB11_871:                             ;   in Loop: Header=BB11_728 Depth=2
	s_or_b64 exec, exec, s[24:25]
	v_lshlrev_b32_e32 v22, 11, v2
	v_cmp_ne_u32_e32 vcc, v24, v22
	s_mov_b64 s[24:25], 0
	v_mov_b32_e32 v2, 0
                                        ; implicit-def: $vgpr7
                                        ; implicit-def: $vgpr8
	s_and_saveexec_b64 s[56:57], vcc
	s_cbranch_execz .LBB11_881
; %bb.872:                              ;   in Loop: Header=BB11_728 Depth=2
	v_lshlrev_b32_e32 v1, 6, v1
	v_accvgpr_read_b32 v2, a31
	v_sub_u32_e32 v1, v2, v1
	v_ashrrev_i32_e32 v2, 31, v1
	v_lshrrev_b32_e32 v2, 26, v2
	v_add_u32_e32 v2, v1, v2
	v_sub_u32_e32 v0, v24, v22
	v_ashrrev_i32_e32 v4, 6, v2
	v_and_b32_e32 v2, 0xffffffc0, v2
	v_sub_u32_e32 v23, v1, v2
	v_ashrrev_i32_e32 v2, 31, v0
	v_lshrrev_b32_e32 v2, 22, v2
	v_add_u32_e32 v2, v0, v2
	v_accvgpr_write_b32 a12, v26
	v_and_b32_e32 v25, 0xfffffc00, v2
	v_accvgpr_write_b32 a13, v27
	v_lshlrev_b32_e32 v1, 4, v23
	v_sub_u32_e32 v27, v0, v25
	v_lshl_add_u32 v1, v4, 10, v1
	v_ashrrev_i32_e32 v5, 10, v2
	v_cmp_lt_i32_e64 s[24:25], 15, v27
	v_sub_u32_e32 v30, v0, v1
	s_nop 0
	v_addc_co_u32_e64 v0, vcc, 0, v5, s[24:25]
	v_sub_u32_e32 v26, v0, v4
	v_cmp_lt_i32_e32 vcc, 15, v30
	s_and_saveexec_b64 s[58:59], vcc
	s_cbranch_execz .LBB11_878
; %bb.873:                              ;   in Loop: Header=BB11_728 Depth=2
	s_trap 2
	ds_read_b64 v[4:5], v0
	ds_read_b128 v[8:11], v0
	v_add_u32_e32 v20, v1, v22
	v_ashrrev_i32_e32 v21, 31, v20
	v_mov_b32_e32 v56, v14
	s_waitcnt lgkmcnt(1)
	v_lshl_add_u64 v[12:13], v[4:5], 0, v[20:21]
	v_lshl_add_u64 v[14:15], v[20:21], 0, v[16:17]
	s_waitcnt lgkmcnt(0)
	v_lshl_add_u64 v[18:19], v[8:9], 0, v[20:21]
	v_lshl_add_u64 v[20:21], v[10:11], 0, v[20:21]
	s_mov_b64 s[60:61], 0
.LBB11_874:                             ;   Parent Loop BB11_47 Depth=1
                                        ;     Parent Loop BB11_728 Depth=2
                                        ; =>    This Loop Header: Depth=3
                                        ;         Child Loop BB11_875 Depth 4
	global_load_dwordx4 v[8:11], v[12:13], off nt
	global_load_dwordx4 v[32:35], v[14:15], off nt
	s_mov_b64 s[64:65], -1
	s_mov_b64 s[62:63], 0
	s_waitcnt vmcnt(0)
	v_mul_f16_e32 v0, v8, v32
	v_mul_f16_sdwa v1, v8, v32 dst_sel:WORD_1 dst_unused:UNUSED_PAD src0_sel:WORD_1 src1_sel:WORD_1
	v_mul_f16_e32 v2, v9, v33
	v_mul_f16_sdwa v4, v9, v33 dst_sel:WORD_1 dst_unused:UNUSED_PAD src0_sel:WORD_1 src1_sel:WORD_1
	;; [unrolled: 2-line block ×4, first 2 shown]
	v_or_b32_e32 v5, v4, v2
	v_or_b32_e32 v2, v1, v0
	;; [unrolled: 1-line block ×4, first 2 shown]
.LBB11_875:                             ;   Parent Loop BB11_47 Depth=1
                                        ;     Parent Loop BB11_728 Depth=2
                                        ;       Parent Loop BB11_874 Depth=3
                                        ; =>      This Inner Loop Header: Depth=4
	v_cndmask_b32_e64 v0, 0, 1, s[64:65]
	v_cndmask_b32_e64 v33, v9, v5, s[64:65]
	v_readfirstlane_b32 s26, v0
	s_cmp_lg_u32 s26, 1
	s_cselect_b64 vcc, -1, 0
	s_cmp_eq_u32 s62, 1
	s_cselect_b64 s[26:27], -1, 0
	v_cndmask_b32_e64 v32, v8, v2, s[64:65]
	v_cndmask_b32_e64 v35, v11, v7, s[64:65]
	;; [unrolled: 1-line block ×3, first 2 shown]
	v_cndmask_b32_e32 v37, v19, v21, vcc
	v_cndmask_b32_e32 v36, v18, v20, vcc
	v_cndmask_b32_e64 v39, v19, v21, s[26:27]
	s_cmp_eq_u32 s62, 0
	v_cndmask_b32_e64 v38, v18, v20, s[26:27]
	global_store_dwordx4 v[36:37], v[32:35], off nt
	s_cselect_b64 s[28:29], -1, 0
	s_mov_b64 s[64:65], 0
	v_lshl_add_u64 v[32:33], v[38:39], 0, s[42:43]
	s_mov_b64 s[62:63], 1
	s_and_b64 vcc, exec, vcc
	v_cndmask_b32_e64 v21, v21, v33, s[26:27]
	v_cndmask_b32_e64 v20, v20, v32, s[26:27]
	;; [unrolled: 1-line block ×4, first 2 shown]
	s_cbranch_vccz .LBB11_875
; %bb.876:                              ;   in Loop: Header=BB11_874 Depth=3
	v_accvgpr_read_b32 v0, a26
	v_sub_u32_e32 v30, v30, v61
	v_accvgpr_read_b32 v1, a27
	v_cmp_gt_i32_e32 vcc, 16, v30
	v_lshl_add_u64 v[18:19], v[18:19], 0, v[0:1]
	v_lshl_add_u64 v[20:21], v[20:21], 0, v[0:1]
	;; [unrolled: 1-line block ×4, first 2 shown]
	s_or_b64 s[60:61], vcc, s[60:61]
	v_sub_u32_e32 v26, v26, v52
	s_andn2_b64 exec, exec, s[60:61]
	s_cbranch_execnz .LBB11_874
; %bb.877:                              ;   in Loop: Header=BB11_728 Depth=2
	s_or_b64 exec, exec, s[60:61]
	scratch_load_dwordx2 v[20:21], off, s33 offset:152 ; 8-byte Folded Reload
	v_accvgpr_read_b32 v37, a19
	v_accvgpr_read_b32 v39, a21
	;; [unrolled: 1-line block ×8, first 2 shown]
	v_mov_b32_e32 v14, v56
.LBB11_878:                             ;   in Loop: Header=BB11_728 Depth=2
	s_or_b64 exec, exec, s[58:59]
	v_and_b32_e32 v1, 14, v24
	v_cndmask_b32_e64 v24, v27, v1, s[24:25]
	s_mov_b64 s[26:27], 0
	v_mov_b32_e32 v2, 0
	v_cmp_ne_u32_e32 vcc, 0, v24
                                        ; implicit-def: $vgpr7
                                        ; implicit-def: $vgpr8
	s_mov_b64 s[28:29], exec
	v_accvgpr_read_b32 v30, a32
	s_and_b64 vcc, s[28:29], vcc
	v_accvgpr_read_b32 v31, a33
	s_mov_b64 exec, vcc
	s_cbranch_execz .LBB11_880
; %bb.879:                              ;   in Loop: Header=BB11_728 Depth=2
	v_sub_u32_e32 v0, v27, v1
	v_cndmask_b32_e64 v0, 0, v0, s[24:25]
	v_cmp_lt_i32_e32 vcc, 0, v26
	v_add3_u32 v2, v25, v22, v0
	s_mov_b64 s[26:27], exec
	v_cndmask_b32_e32 v0, 0, v52, vcc
	v_sub_u32_e32 v0, v0, v26
	v_lshl_add_u32 v7, v0, 6, v23
	v_ashrrev_i32_e32 v0, 31, v7
	v_lshrrev_b32_e32 v0, 26, v0
	v_add_u32_e32 v0, v7, v0
	v_ashrrev_i32_e32 v8, 6, v0
.LBB11_880:                             ;   in Loop: Header=BB11_728 Depth=2
	s_or_b64 exec, exec, s[28:29]
	v_accvgpr_read_b32 v27, a13
	s_and_b64 s[24:25], s[26:27], exec
	v_accvgpr_read_b32 v26, a12
	v_mov_b32_e32 v25, 1
.LBB11_881:                             ;   in Loop: Header=BB11_728 Depth=2
	s_or_b64 exec, exec, s[56:57]
	v_accvgpr_read_b32 v22, a36
	v_mov_b32_e32 v56, v14
	v_accvgpr_read_b32 v23, a37
	s_and_saveexec_b64 s[28:29], s[24:25]
	s_cbranch_execz .LBB11_892
.LBB11_882:                             ;   in Loop: Header=BB11_728 Depth=2
	v_ashrrev_i32_e32 v0, 31, v24
	v_lshrrev_b32_e32 v0, 22, v0
	v_add_u32_e32 v0, v24, v0
	v_ashrrev_i32_e32 v19, 10, v0
	v_sub_u32_e32 v1, v19, v8
	v_ashrrev_i32_e32 v0, 31, v7
	v_cmp_lt_i32_e32 vcc, 0, v1
	v_lshrrev_b32_e32 v18, 26, v0
	s_and_saveexec_b64 s[24:25], vcc
	s_cbranch_execz .LBB11_886
; %bb.883:                              ;   in Loop: Header=BB11_728 Depth=2
	v_add_u32_e32 v0, v7, v18
	v_and_b32_e32 v0, 0x7fffffc0, v0
	v_sub_u32_e32 v0, v7, v0
	s_trap 2
	ds_read_b64 v[4:5], v0
	ds_read_b128 v[10:13], v0
	v_lshlrev_b32_e32 v0, 1, v0
	v_lshlrev_b32_e32 v8, 10, v8
	v_add3_u32 v8, v0, v2, v8
	v_accvgpr_write_b32 a12, v26
	v_ashrrev_i32_e32 v9, 31, v8
	v_accvgpr_write_b32 a13, v27
	s_waitcnt lgkmcnt(0)
	v_lshl_add_u64 v[10:11], v[10:11], 0, v[8:9]
	v_lshl_add_u64 v[12:13], v[12:13], 0, v[8:9]
	s_mov_b64 s[26:27], 0
	v_mov_b64_e32 v[14:15], v[16:17]
.LBB11_884:                             ;   Parent Loop BB11_47 Depth=1
                                        ;     Parent Loop BB11_728 Depth=2
                                        ; =>    This Inner Loop Header: Depth=3
	s_waitcnt vmcnt(0)
	v_lshl_add_u64 v[20:21], v[8:9], 0, v[14:15]
	v_lshl_add_u64 v[22:23], v[8:9], 0, v[4:5]
	flat_load_ushort v0, v[20:21] offset:256 nt
	flat_load_ushort v25, v[20:21] offset:384 nt
	;; [unrolled: 1-line block ×7, first 2 shown]
	s_nop 0
	flat_load_ushort v20, v[20:21] nt
	s_nop 0
	flat_load_ushort v21, v[22:23] nt
	flat_load_ushort v33, v[22:23] offset:128 nt
	flat_load_ushort v34, v[22:23] offset:256 nt
	;; [unrolled: 1-line block ×6, first 2 shown]
	s_nop 0
	flat_load_ushort v22, v[22:23] offset:896 nt
	v_sub_u32_e32 v1, v1, v52
	v_cmp_gt_i32_e32 vcc, 1, v1
	v_lshl_add_u64 v[14:15], v[14:15], 0, v[28:29]
	v_lshl_add_u64 v[4:5], v[4:5], 0, v[28:29]
	s_or_b64 s[26:27], vcc, s[26:27]
	s_waitcnt vmcnt(0) lgkmcnt(0)
	v_mul_f16_e32 v20, v20, v21
	v_mul_f16_e32 v23, v32, v33
	;; [unrolled: 1-line block ×8, first 2 shown]
	flat_store_short v[10:11], v20 nt
	flat_store_short v[10:11], v23 offset:128 nt
	flat_store_short v[10:11], v0 offset:256 nt
	flat_store_short v[10:11], v25 offset:384 nt
	flat_store_short v[10:11], v26 offset:512 nt
	flat_store_short v[10:11], v27 offset:640 nt
	flat_store_short v[10:11], v30 offset:768 nt
	flat_store_short v[10:11], v31 offset:896 nt
	flat_store_short v[12:13], v21 nt
	flat_store_short v[12:13], v33 offset:128 nt
	flat_store_short v[12:13], v34 offset:256 nt
	;; [unrolled: 1-line block ×7, first 2 shown]
	v_lshl_add_u64 v[10:11], v[10:11], 0, v[28:29]
	v_lshl_add_u64 v[12:13], v[12:13], 0, v[28:29]
	s_andn2_b64 exec, exec, s[26:27]
	s_cbranch_execnz .LBB11_884
; %bb.885:                              ;   in Loop: Header=BB11_728 Depth=2
	s_or_b64 exec, exec, s[26:27]
	scratch_load_dwordx2 v[20:21], off, s33 offset:152 ; 8-byte Folded Reload
	v_accvgpr_read_b32 v37, a19
	v_accvgpr_read_b32 v39, a21
	;; [unrolled: 1-line block ×14, first 2 shown]
	v_mov_b32_e32 v25, 1
.LBB11_886:                             ;   in Loop: Header=BB11_728 Depth=2
	s_or_b64 exec, exec, s[24:25]
	v_lshlrev_b32_e32 v4, 10, v19
	v_cmp_ne_u32_e32 vcc, v24, v4
	s_and_b64 exec, exec, vcc
	s_cbranch_execz .LBB11_892
; %bb.887:                              ;   in Loop: Header=BB11_728 Depth=2
	v_add_u32_e32 v0, v7, v18
	v_and_b32_e32 v0, 0xffffffc0, v0
	v_sub_u32_e32 v0, v7, v0
	v_lshlrev_b32_e32 v1, 6, v1
	v_sub_u32_e32 v0, v0, v1
	v_ashrrev_i32_e32 v1, 31, v0
	v_lshrrev_b32_e32 v1, 26, v1
	v_add_u32_e32 v1, v0, v1
	v_and_b32_e32 v5, 0x7fffffc0, v1
	v_sub_u32_e32 v0, v0, v5
	v_lshlrev_b32_e32 v1, 1, v1
	v_and_b32_e32 v1, 0xffffff80, v1
	v_lshlrev_b32_e32 v0, 1, v0
	v_add3_u32 v4, v1, v0, v4
	v_sub_u32_e32 v1, v24, v4
	v_cmp_lt_i32_e32 vcc, 1, v1
	s_and_b64 exec, exec, vcc
	s_cbranch_execz .LBB11_892
; %bb.888:                              ;   in Loop: Header=BB11_728 Depth=2
	s_trap 2
	ds_read_b64 v[8:9], v0
	ds_read_b128 v[10:13], v0
	v_add_u32_e32 v14, v4, v2
	v_ashrrev_i32_e32 v15, 31, v14
	s_mov_b64 s[56:57], 0
	s_waitcnt lgkmcnt(0)
	v_lshl_add_u64 v[4:5], v[8:9], 0, v[14:15]
	v_lshl_add_u64 v[8:9], v[14:15], 0, v[16:17]
	;; [unrolled: 1-line block ×4, first 2 shown]
.LBB11_889:                             ;   Parent Loop BB11_47 Depth=1
                                        ;     Parent Loop BB11_728 Depth=2
                                        ; =>    This Loop Header: Depth=3
                                        ;         Child Loop BB11_890 Depth 4
	flat_load_ushort v2, v[4:5] nt
	flat_load_ushort v0, v[8:9] nt
	s_mov_b64 s[60:61], -1
	s_mov_b64 s[58:59], 0
	s_waitcnt vmcnt(0) lgkmcnt(0)
	v_mul_f16_e32 v7, v2, v0
.LBB11_890:                             ;   Parent Loop BB11_47 Depth=1
                                        ;     Parent Loop BB11_728 Depth=2
                                        ;       Parent Loop BB11_889 Depth=3
                                        ; =>      This Inner Loop Header: Depth=4
	v_cndmask_b32_e64 v14, 0, 1, s[60:61]
	v_cndmask_b32_e64 v0, v2, v7, s[60:61]
	v_readfirstlane_b32 s24, v14
	s_cmp_lg_u32 s24, 1
	s_cselect_b64 vcc, -1, 0
	s_cmp_eq_u32 s58, 1
	s_cselect_b64 s[24:25], -1, 0
	v_cndmask_b32_e32 v15, v11, v13, vcc
	v_cndmask_b32_e32 v14, v10, v12, vcc
	v_cndmask_b32_e64 v17, v11, v13, s[24:25]
	s_cmp_eq_u32 s58, 0
	v_cndmask_b32_e64 v16, v10, v12, s[24:25]
	flat_store_short v[14:15], v0 nt
	v_lshl_add_u64 v[14:15], v[16:17], 0, s[44:45]
	s_cselect_b64 s[26:27], -1, 0
	s_mov_b64 s[60:61], 0
	s_mov_b64 s[58:59], 1
	s_and_b64 vcc, exec, vcc
	v_cndmask_b32_e64 v13, v13, v15, s[24:25]
	v_cndmask_b32_e64 v12, v12, v14, s[24:25]
	;; [unrolled: 1-line block ×4, first 2 shown]
	s_cbranch_vccz .LBB11_890
; %bb.891:                              ;   in Loop: Header=BB11_889 Depth=3
	v_sub_u32_e32 v1, v1, v41
	v_cmp_gt_i32_e32 vcc, 2, v1
	v_lshl_add_u64 v[10:11], v[10:11], 0, v[32:33]
	v_lshl_add_u64 v[12:13], v[12:13], 0, v[32:33]
	;; [unrolled: 1-line block ×3, first 2 shown]
	s_or_b64 s[56:57], vcc, s[56:57]
	v_lshl_add_u64 v[8:9], v[8:9], 0, v[22:23]
	s_andn2_b64 exec, exec, s[56:57]
	s_cbranch_execnz .LBB11_889
.LBB11_892:                             ;   in Loop: Header=BB11_728 Depth=2
	s_or_b64 exec, exec, s[28:29]
	s_waitcnt lgkmcnt(0)
	scratch_load_dwordx2 v[16:17], off, s33 offset:160 ; 8-byte Folded Reload
	v_accvgpr_read_b32 v18, a42
	v_accvgpr_read_b32 v12, a44
	;; [unrolled: 1-line block ×4, first 2 shown]
	v_mov_b32_e32 v14, v56
	v_accvgpr_read_b32 v2, a35
	s_branch .LBB11_921
.LBB11_893:                             ;   in Loop: Header=BB11_728 Depth=2
	s_mov_b64 s[24:25], -1
	s_and_saveexec_b64 s[26:27], s[18:19]
	s_cbranch_execz .LBB11_895
; %bb.894:                              ;   in Loop: Header=BB11_728 Depth=2
	ds_read_b32 v1, v0 offset:720
	s_waitcnt lgkmcnt(0)
	v_and_b32_e32 v1, 15, v1
	v_cmp_eq_u32_e32 vcc, 0, v1
	s_orn2_b64 s[24:25], vcc, exec
.LBB11_895:                             ;   in Loop: Header=BB11_728 Depth=2
	s_or_b64 exec, exec, s[26:27]
	s_and_saveexec_b64 s[26:27], s[16:17]
	s_cbranch_execz .LBB11_897
; %bb.896:                              ;   in Loop: Header=BB11_728 Depth=2
	ds_read_b32 v1, v0 offset:784
	s_waitcnt lgkmcnt(0)
	v_and_b32_e32 v1, 15, v1
	v_cmp_eq_u32_e32 vcc, 0, v1
	s_and_b64 s[28:29], s[24:25], vcc
	s_andn2_b64 s[24:25], s[24:25], exec
	s_and_b64 s[28:29], s[28:29], exec
	s_or_b64 s[24:25], s[24:25], s[28:29]
.LBB11_897:                             ;   in Loop: Header=BB11_728 Depth=2
	s_or_b64 exec, exec, s[26:27]
	s_xor_b64 s[24:25], s[24:25], -1
	v_cndmask_b32_e64 v1, 0, 1, s[24:25]
	v_accvgpr_write_b32 a49, v2
	v_lshlrev_b32_e32 v2, 1, v2
	s_mov_b64 s[28:29], -1
	;;#ASMSTART
	;;#ASMEND
	v_mov_b32_e32 v7, 0
	v_cmp_ne_u32_e32 vcc, 0, v1
	s_cbranch_vccz .LBB11_899
; %bb.898:                              ;   in Loop: Header=BB11_728 Depth=2
	v_mov_b32_e32 v4, v60
	v_mov_b32_e32 v15, v50
	s_and_saveexec_b64 s[24:25], s[28:29]
	s_cbranch_execnz .LBB11_912
	s_branch .LBB11_920
.LBB11_899:                             ;   in Loop: Header=BB11_728 Depth=2
	v_ashrrev_i32_e32 v1, 31, v2
	v_lshrrev_b32_e32 v1, 20, v1
	v_add_u32_e32 v1, v2, v1
	v_ashrrev_i32_e32 v0, 12, v1
	v_sub_u32_e32 v1, v0, v50
	v_cmp_lt_i32_e32 vcc, 0, v1
	s_and_saveexec_b64 s[24:25], vcc
	s_cbranch_execz .LBB11_903
; %bb.900:                              ;   in Loop: Header=BB11_728 Depth=2
	s_trap 2
	v_mov_b64_e32 v[56:57], v[30:31]
	ds_read_b64 v[30:31], v0
	v_accvgpr_write_b32 a12, v44
	v_accvgpr_write_b32 a35, v27
	;; [unrolled: 1-line block ×3, first 2 shown]
	v_accvgpr_read_b32 v45, a41
	v_accvgpr_write_b32 a50, v0
	v_accvgpr_write_b32 a48, v14
	;; [unrolled: 1-line block ×3, first 2 shown]
	s_mov_b64 s[26:27], 0
	v_accvgpr_read_b32 v44, a40
.LBB11_901:                             ;   Parent Loop BB11_47 Depth=1
                                        ;     Parent Loop BB11_728 Depth=2
                                        ; =>    This Inner Loop Header: Depth=3
	s_waitcnt lgkmcnt(0)
	v_lshl_add_u64 v[4:5], v[30:31], 0, v[44:45]
	global_load_dwordx4 v[32:35], v[44:45], off offset:-3072 nt
	global_load_dwordx4 v[24:27], v[44:45], off offset:-2048 nt
	;; [unrolled: 1-line block ×3, first 2 shown]
	global_load_dwordx4 v[8:11], v[44:45], off nt
	global_load_dwordx4 v[48:51], v[4:5], off offset:-3072 nt
	global_load_dwordx4 v[36:39], v[4:5], off offset:-2048 nt
	;; [unrolled: 1-line block ×3, first 2 shown]
	global_load_dwordx4 v[12:15], v[4:5], off nt
	v_sub_u32_e32 v1, v1, v52
	v_cmp_gt_i32_e32 vcc, 1, v1
	v_lshl_add_u64 v[44:45], v[44:45], 0, v[56:57]
	s_or_b64 s[26:27], vcc, s[26:27]
	s_waitcnt vmcnt(0)
	v_mul_f16_e32 v40, v48, v32
	v_mul_f16_sdwa v32, v48, v32 dst_sel:WORD_1 dst_unused:UNUSED_PAD src0_sel:WORD_1 src1_sel:WORD_1
	v_mul_f16_e32 v48, v49, v33
	v_mul_f16_sdwa v33, v49, v33 dst_sel:WORD_1 dst_unused:UNUSED_PAD src0_sel:WORD_1 src1_sel:WORD_1
	;; [unrolled: 2-line block ×16, first 2 shown]
	v_or_b32_e32 v9, v33, v48
	v_or_b32_e32 v8, v32, v40
	;; [unrolled: 1-line block ×16, first 2 shown]
	global_store_dwordx4 v[4:5], v[8:11], off offset:-3072 nt
	global_store_dwordx4 v[4:5], v[12:15], off offset:-2048 nt
	;; [unrolled: 1-line block ×3, first 2 shown]
	global_store_dwordx4 v[4:5], v[20:23], off nt
	s_andn2_b64 exec, exec, s[26:27]
	s_cbranch_execnz .LBB11_901
; %bb.902:                              ;   in Loop: Header=BB11_728 Depth=2
	s_or_b64 exec, exec, s[26:27]
	scratch_load_dwordx2 v[20:21], off, s33 offset:152 ; 8-byte Folded Reload
	scratch_load_dwordx2 v[16:17], off, s33 offset:160 ; 8-byte Folded Reload
	v_accvgpr_read_b32 v47, a5
	v_accvgpr_read_b32 v45, a13
	;; [unrolled: 1-line block ×24, first 2 shown]
	v_mov_b64_e32 v[30:31], v[56:57]
	v_accvgpr_read_b32 v27, a35
	v_accvgpr_read_b32 v23, a37
	;; [unrolled: 1-line block ×3, first 2 shown]
	v_mov_b32_e32 v25, 1
	v_accvgpr_read_b32 v13, a45
	v_accvgpr_read_b32 v14, a48
	;; [unrolled: 1-line block ×3, first 2 shown]
.LBB11_903:                             ;   in Loop: Header=BB11_728 Depth=2
	s_or_b64 exec, exec, s[24:25]
	v_lshlrev_b32_e32 v10, 12, v0
	v_cmp_ne_u32_e32 vcc, v2, v10
	s_mov_b64 s[28:29], 0
	v_mov_b32_e32 v7, 0
                                        ; implicit-def: $vgpr4
                                        ; implicit-def: $vgpr15
	s_and_saveexec_b64 s[26:27], vcc
	s_cbranch_execz .LBB11_911
; %bb.904:                              ;   in Loop: Header=BB11_728 Depth=2
	v_lshlrev_b32_e32 v1, 6, v1
	v_accvgpr_read_b32 v4, a31
	v_sub_u32_e32 v1, v4, v1
	v_ashrrev_i32_e32 v4, 31, v1
	v_lshrrev_b32_e32 v4, 26, v4
	v_add_u32_e32 v4, v1, v4
	v_ashrrev_i32_e32 v5, 6, v4
	v_and_b32_e32 v4, 0xffffffc0, v4
	v_sub_u32_e32 v1, v1, v4
	v_sub_u32_e32 v0, v2, v10
	v_lshlrev_b32_e32 v4, 4, v1
	v_lshl_add_u32 v8, v5, 10, v4
	v_ashrrev_i32_e32 v4, 31, v0
	v_lshrrev_b32_e32 v4, 22, v4
	v_add_u32_e32 v4, v0, v4
	v_and_b32_e32 v11, 0xfffffc00, v4
	v_sub_u32_e32 v13, v0, v11
	v_ashrrev_i32_e32 v9, 10, v4
	v_cmp_lt_i32_e32 vcc, 15, v13
	v_sub_u32_e32 v7, v0, v8
	s_nop 0
	v_addc_co_u32_e64 v0, s[24:25], 0, v9, vcc
	v_sub_u32_e32 v12, v0, v5
	v_cmp_lt_i32_e64 s[24:25], 15, v7
	s_and_saveexec_b64 s[28:29], s[24:25]
	s_cbranch_execz .LBB11_908
; %bb.905:                              ;   in Loop: Header=BB11_728 Depth=2
	s_trap 2
	ds_read_b64 v[4:5], v0
	v_add_u32_e32 v8, v8, v10
	v_mov_b32_e32 v24, v14
	v_ashrrev_i32_e32 v9, 31, v8
	s_mov_b64 s[56:57], 0
.LBB11_906:                             ;   Parent Loop BB11_47 Depth=1
                                        ;     Parent Loop BB11_728 Depth=2
                                        ; =>    This Inner Loop Header: Depth=3
	s_waitcnt lgkmcnt(0)
	v_lshl_add_u64 v[22:23], v[4:5], 0, v[8:9]
	global_load_dwordx4 v[14:17], v[8:9], off nt
	global_load_dwordx4 v[18:21], v[22:23], off nt
	v_sub_u32_e32 v7, v7, v61
	v_cmp_gt_i32_e64 s[24:25], 16, v7
	v_lshl_add_u64 v[8:9], v[8:9], 0, v[28:29]
	v_sub_u32_e32 v12, v12, v52
	s_or_b64 s[56:57], s[24:25], s[56:57]
	s_waitcnt vmcnt(0)
	v_mul_f16_e32 v0, v18, v14
	v_mul_f16_sdwa v14, v18, v14 dst_sel:WORD_1 dst_unused:UNUSED_PAD src0_sel:WORD_1 src1_sel:WORD_1
	v_mul_f16_e32 v18, v19, v15
	v_mul_f16_sdwa v15, v19, v15 dst_sel:WORD_1 dst_unused:UNUSED_PAD src0_sel:WORD_1 src1_sel:WORD_1
	;; [unrolled: 2-line block ×4, first 2 shown]
	v_or_b32_e32 v15, v15, v18
	v_or_b32_e32 v14, v14, v0
	;; [unrolled: 1-line block ×4, first 2 shown]
	global_store_dwordx4 v[22:23], v[14:17], off nt
	s_andn2_b64 exec, exec, s[56:57]
	s_cbranch_execnz .LBB11_906
; %bb.907:                              ;   in Loop: Header=BB11_728 Depth=2
	s_or_b64 exec, exec, s[56:57]
	scratch_load_dwordx2 v[20:21], off, s33 offset:152 ; 8-byte Folded Reload
	scratch_load_dwordx2 v[16:17], off, s33 offset:160 ; 8-byte Folded Reload
	v_accvgpr_read_b32 v22, a36
	v_accvgpr_read_b32 v18, a42
	;; [unrolled: 1-line block ×4, first 2 shown]
	v_mov_b32_e32 v14, v24
.LBB11_908:                             ;   in Loop: Header=BB11_728 Depth=2
	s_or_b64 exec, exec, s[28:29]
	v_and_b32_e32 v5, 14, v2
	v_cndmask_b32_e32 v2, v13, v5, vcc
	v_cmp_ne_u32_e64 s[24:25], 0, v2
	s_mov_b64 s[28:29], 0
	v_mov_b32_e32 v7, 0
                                        ; implicit-def: $vgpr4
                                        ; implicit-def: $vgpr15
	s_and_saveexec_b64 s[56:57], s[24:25]
	s_cbranch_execz .LBB11_910
; %bb.909:                              ;   in Loop: Header=BB11_728 Depth=2
	v_sub_u32_e32 v0, v13, v5
	v_cndmask_b32_e32 v0, 0, v0, vcc
	v_cmp_lt_i32_e32 vcc, 0, v12
	v_add3_u32 v7, v11, v10, v0
	s_mov_b64 s[28:29], exec
	v_cndmask_b32_e32 v0, 0, v52, vcc
	v_sub_u32_e32 v0, v0, v12
	v_lshl_add_u32 v4, v0, 6, v1
	v_ashrrev_i32_e32 v0, 31, v4
	v_lshrrev_b32_e32 v0, 26, v0
	v_add_u32_e32 v0, v4, v0
	v_ashrrev_i32_e32 v15, 6, v0
.LBB11_910:                             ;   in Loop: Header=BB11_728 Depth=2
	s_or_b64 exec, exec, s[56:57]
	v_accvgpr_read_b32 v12, a44
	s_and_b64 s[28:29], s[28:29], exec
	v_accvgpr_read_b32 v13, a45
.LBB11_911:                             ;   in Loop: Header=BB11_728 Depth=2
	s_or_b64 exec, exec, s[26:27]
	s_and_saveexec_b64 s[24:25], s[28:29]
	s_cbranch_execz .LBB11_920
.LBB11_912:                             ;   in Loop: Header=BB11_728 Depth=2
	v_ashrrev_i32_e32 v0, 31, v2
	v_lshrrev_b32_e32 v0, 22, v0
	v_add_u32_e32 v0, v2, v0
	v_mov_b32_e32 v56, v14
	v_ashrrev_i32_e32 v14, 10, v0
	v_sub_u32_e32 v5, v14, v15
	v_cmp_lt_i32_e32 vcc, 0, v5
	s_and_saveexec_b64 s[26:27], vcc
	s_cbranch_execz .LBB11_916
; %bb.913:                              ;   in Loop: Header=BB11_728 Depth=2
	s_trap 2
	ds_read_b64 v[8:9], v0
	v_ashrrev_i32_e32 v0, 31, v4
	v_lshrrev_b32_e32 v0, 26, v0
	v_add_u32_e32 v0, v4, v0
	v_and_b32_e32 v0, 0x7fffffc0, v0
	v_sub_u32_e32 v0, v4, v0
	v_lshlrev_b32_e32 v0, 1, v0
	v_lshlrev_b32_e32 v1, 10, v15
	v_add3_u32 v10, v0, v7, v1
	v_accvgpr_write_b32 a12, v26
	v_ashrrev_i32_e32 v11, 31, v10
	v_accvgpr_write_b32 a13, v27
	v_lshl_add_u64 v[10:11], v[10:11], 0, s[52:53]
	s_mov_b64 s[28:29], 0
.LBB11_914:                             ;   Parent Loop BB11_47 Depth=1
                                        ;     Parent Loop BB11_728 Depth=2
                                        ; =>    This Inner Loop Header: Depth=3
	s_waitcnt lgkmcnt(0)
	v_lshl_add_u64 v[12:13], v[8:9], 0, v[10:11]
	s_waitcnt vmcnt(0)
	v_add_co_u32_e32 v16, vcc, 0xfffffc80, v12
	flat_load_ushort v1, v[10:11] nt
	s_nop 0
	v_addc_co_u32_e32 v17, vcc, -1, v13, vcc
	v_add_co_u32_e32 v18, vcc, 0xfffffc80, v10
	flat_load_ushort v16, v[16:17] nt
	s_nop 0
	v_addc_co_u32_e32 v19, vcc, -1, v11, vcc
	;; [unrolled: 4-line block ×12, first 2 shown]
	flat_load_ushort v49, v[20:21] nt
	v_add_co_u32_e32 v20, vcc, s74, v12
	flat_load_ushort v50, v[22:23] nt
	s_nop 0
	v_addc_co_u32_e32 v21, vcc, -1, v13, vcc
	v_add_co_u32_e32 v22, vcc, s74, v10
	flat_load_ushort v51, v[20:21] nt
	s_nop 0
	v_addc_co_u32_e32 v23, vcc, -1, v11, vcc
	flat_load_ushort v40, v[22:23] nt
	v_sub_u32_e32 v5, v5, v52
	v_cmp_gt_i32_e32 vcc, 1, v5
	s_or_b64 s[28:29], vcc, s[28:29]
	v_add_co_u32_e32 v20, vcc, s84, v12
	v_lshl_add_u64 v[10:11], v[10:11], 0, v[28:29]
	s_nop 0
	v_addc_co_u32_e32 v21, vcc, -1, v13, vcc
	v_add_co_u32_e32 v22, vcc, s85, v12
	s_waitcnt vmcnt(0) lgkmcnt(0)
	v_mul_f16_e32 v0, v18, v0
	v_addc_co_u32_e32 v23, vcc, -1, v13, vcc
	v_add_co_u32_e32 v24, vcc, s86, v12
	v_mul_f16_e32 v1, v15, v1
	s_nop 0
	v_addc_co_u32_e32 v25, vcc, -1, v13, vcc
	v_add_co_u32_e32 v26, vcc, 0xfffffe00, v12
	v_mul_f16_e32 v15, v16, v17
	s_nop 0
	v_addc_co_u32_e32 v27, vcc, -1, v13, vcc
	v_add_co_u32_e32 v30, vcc, 0xfffffe80, v12
	flat_store_short v[20:21], v15 nt
	s_nop 0
	v_addc_co_u32_e32 v31, vcc, -1, v13, vcc
	flat_store_short v[22:23], v0 nt
	v_mul_f16_e32 v0, v19, v36
	v_add_co_u32_e32 v32, vcc, 0xffffff00, v12
	flat_store_short v[24:25], v0 nt
	v_mul_f16_e32 v0, v37, v38
	v_addc_co_u32_e32 v33, vcc, -1, v13, vcc
	flat_store_short v[26:27], v0 nt
	v_mul_f16_e32 v0, v39, v48
	v_add_co_u32_e32 v34, vcc, 0xffffff80, v12
	flat_store_short v[30:31], v0 nt
	v_mul_f16_e32 v0, v49, v50
	v_addc_co_u32_e32 v35, vcc, -1, v13, vcc
	flat_store_short v[32:33], v0 nt
	v_mul_f16_e32 v0, v51, v40
	flat_store_short v[34:35], v0 nt
	flat_store_short v[12:13], v1 nt
	s_andn2_b64 exec, exec, s[28:29]
	s_cbranch_execnz .LBB11_914
; %bb.915:                              ;   in Loop: Header=BB11_728 Depth=2
	s_or_b64 exec, exec, s[28:29]
	scratch_load_dwordx2 v[20:21], off, s33 offset:152 ; 8-byte Folded Reload
	scratch_load_dwordx2 v[16:17], off, s33 offset:160 ; 8-byte Folded Reload
	v_accvgpr_read_b32 v49, a15
	v_accvgpr_read_b32 v37, a19
	;; [unrolled: 1-line block ×22, first 2 shown]
	v_mov_b32_e32 v25, 1
	v_accvgpr_read_b32 v13, a45
.LBB11_916:                             ;   in Loop: Header=BB11_728 Depth=2
	s_or_b64 exec, exec, s[26:27]
	v_lshlrev_b32_e32 v1, 10, v14
	v_cmp_ne_u32_e32 vcc, v2, v1
	s_and_b64 s[26:27], exec, vcc
	v_mov_b32_e32 v14, v56
	s_mov_b64 exec, s[26:27]
	s_cbranch_execz .LBB11_920
; %bb.917:                              ;   in Loop: Header=BB11_728 Depth=2
	v_ashrrev_i32_e32 v0, 31, v4
	v_lshrrev_b32_e32 v0, 26, v0
	v_add_u32_e32 v0, v4, v0
	v_and_b32_e32 v0, 0xffffffc0, v0
	v_sub_u32_e32 v0, v4, v0
	v_lshlrev_b32_e32 v4, 6, v5
	v_sub_u32_e32 v0, v0, v4
	v_ashrrev_i32_e32 v4, 31, v0
	v_lshrrev_b32_e32 v4, 26, v4
	v_add_u32_e32 v4, v0, v4
	v_and_b32_e32 v5, 0x7fffffc0, v4
	v_sub_u32_e32 v0, v0, v5
	v_lshlrev_b32_e32 v4, 1, v4
	v_and_b32_e32 v4, 0xffffff80, v4
	v_lshlrev_b32_e32 v0, 1, v0
	v_add3_u32 v8, v4, v0, v1
	v_sub_u32_e32 v1, v2, v8
	v_cmp_lt_i32_e32 vcc, 1, v1
	s_and_b64 exec, exec, vcc
	s_cbranch_execz .LBB11_920
; %bb.918:                              ;   in Loop: Header=BB11_728 Depth=2
	s_trap 2
	ds_read_b64 v[4:5], v0
	v_add_u32_e32 v8, v8, v7
	v_ashrrev_i32_e32 v9, 31, v8
	s_mov_b64 s[26:27], 0
.LBB11_919:                             ;   Parent Loop BB11_47 Depth=1
                                        ;     Parent Loop BB11_728 Depth=2
                                        ; =>    This Inner Loop Header: Depth=3
	s_waitcnt lgkmcnt(0)
	v_lshl_add_u64 v[10:11], v[4:5], 0, v[8:9]
	flat_load_ushort v0, v[8:9] nt
	flat_load_ushort v2, v[10:11] nt
	v_sub_u32_e32 v1, v1, v41
	v_cmp_gt_i32_e32 vcc, 2, v1
	v_lshl_add_u64 v[8:9], v[8:9], 0, v[22:23]
	s_or_b64 s[26:27], vcc, s[26:27]
	s_waitcnt vmcnt(0) lgkmcnt(0)
	v_mul_f16_e32 v0, v2, v0
	flat_store_short v[10:11], v0 nt
	s_andn2_b64 exec, exec, s[26:27]
	s_cbranch_execnz .LBB11_919
.LBB11_920:                             ;   in Loop: Header=BB11_728 Depth=2
	s_or_b64 exec, exec, s[24:25]
	v_accvgpr_read_b32 v2, a49
.LBB11_921:                             ;   in Loop: Header=BB11_728 Depth=2
	v_cmp_lt_i32_e64 s[24:25], 0, v2
	s_and_saveexec_b64 s[26:27], s[6:7]
	s_cbranch_execz .LBB11_862
.LBB11_922:                             ;   in Loop: Header=BB11_728 Depth=2
	s_and_saveexec_b64 s[28:29], s[40:41]
	s_xor_b64 s[28:29], exec, s[28:29]
	s_cbranch_execz .LBB11_949
; %bb.923:                              ;   in Loop: Header=BB11_728 Depth=2
	s_and_saveexec_b64 s[56:57], s[14:15]
	s_cbranch_execz .LBB11_948
; %bb.924:                              ;   in Loop: Header=BB11_728 Depth=2
	s_mov_b64 s[60:61], exec
	v_mbcnt_lo_u32_b32 v0, s60, 0
	v_mbcnt_hi_u32_b32 v0, s61, v0
	v_cmp_eq_u32_e32 vcc, 0, v0
	s_waitcnt lgkmcnt(0)
	s_and_saveexec_b64 s[58:59], vcc
	s_cbranch_execz .LBB11_926
; %bb.925:                              ;   in Loop: Header=BB11_728 Depth=2
	s_bcnt1_i32_b64 vcc_lo, s[60:61]
	v_mov_b32_e32 v2, vcc_lo
	ds_add_u64 v0, v[2:3]
	s_trap 2
.LBB11_926:                             ;   in Loop: Header=BB11_728 Depth=2
	s_or_b64 exec, exec, s[58:59]
	s_trap 2
	ds_read_b64 v[4:5], v0
	v_lshl_add_u64 v[26:27], v[26:27], 0, v[52:53]
	s_waitcnt lgkmcnt(0)
	v_cmp_lt_u64_e32 vcc, v[4:5], v[26:27]
	s_and_saveexec_b64 s[58:59], vcc
	s_cbranch_execz .LBB11_947
; %bb.927:                              ;   in Loop: Header=BB11_728 Depth=2
	s_mov_b32 s71, 0
	s_mov_b64 s[60:61], 0
                                        ; implicit-def: $sgpr62_sgpr63
                                        ; implicit-def: $sgpr64_sgpr65
	s_branch .LBB11_929
.LBB11_928:                             ;   in Loop: Header=BB11_929 Depth=3
	s_or_b64 exec, exec, s[68:69]
	s_and_b64 vcc, exec, vcc
	s_or_b64 s[60:61], vcc, s[60:61]
	s_andn2_b64 vcc, s[62:63], exec
	s_and_b64 s[62:63], s[64:65], exec
	s_or_b64 s[62:63], vcc, s[62:63]
	s_andn2_b64 exec, exec, s[60:61]
	s_cbranch_execz .LBB11_945
.LBB11_929:                             ;   Parent Loop BB11_47 Depth=1
                                        ;     Parent Loop BB11_728 Depth=2
                                        ; =>    This Inner Loop Header: Depth=3
	s_add_i32 s71, s71, 1
	s_cmpk_lg_i32 s71, 0x2710
	s_cselect_b64 s[66:67], -1, 0
	s_and_b64 vcc, exec, s[66:67]
                                        ; implicit-def: $sgpr68_sgpr69
	s_cbranch_vccnz .LBB11_931
; %bb.930:                              ;   in Loop: Header=BB11_929 Depth=3
	s_trap 2
	ds_read_b64 v[4:5], v0
	s_andn2_b64 s[66:67], s[66:67], exec
	s_mov_b32 s71, 0
	s_mov_b64 s[68:69], -1
	s_waitcnt vmcnt(0) lgkmcnt(0)
	flat_load_dword v0, v[4:5] sc0 sc1
	s_waitcnt vmcnt(0) lgkmcnt(0)
	buffer_inv sc0 sc1
	v_cmp_eq_u32_e32 vcc, 0, v0
	s_and_b64 vcc, vcc, exec
	s_or_b64 s[66:67], s[66:67], vcc
.LBB11_931:                             ;   in Loop: Header=BB11_929 Depth=3
	s_andn2_b64 s[64:65], s[64:65], exec
	s_and_b64 s[68:69], s[68:69], exec
	s_mov_b64 vcc, -1
	s_or_b64 s[64:65], s[64:65], s[68:69]
	s_and_saveexec_b64 s[68:69], s[66:67]
	s_cbranch_execz .LBB11_928
; %bb.932:                              ;   in Loop: Header=BB11_929 Depth=3
	s_sleep 1
	s_trap 2
	ds_read_b64 v[4:5], v0
	s_andn2_b64 s[64:65], s[64:65], exec
	s_waitcnt lgkmcnt(0)
	v_cmp_ge_u64_e32 vcc, v[4:5], v[26:27]
	s_orn2_b64 vcc, vcc, exec
	s_branch .LBB11_928
.LBB11_933:                             ;   in Loop: Header=BB11_728 Depth=2
	s_or_b64 exec, exec, s[56:57]
	s_and_saveexec_b64 vcc, s[58:59]
	s_xor_b64 vcc, exec, vcc
	s_cbranch_execz .LBB11_935
; %bb.934:                              ;   in Loop: Header=BB11_728 Depth=2
	ds_write_b32 v0, v25
	s_trap 2
.LBB11_935:                             ;   in Loop: Header=BB11_728 Depth=2
	s_or_b64 exec, exec, s[54:55]
	;;#ASMSTART
	s_wakeup
	;;#ASMEND
.LBB11_936:                             ;   in Loop: Header=BB11_728 Depth=2
	s_or_b64 exec, exec, s[30:31]
.LBB11_937:                             ;   in Loop: Header=BB11_728 Depth=2
	s_andn2_saveexec_b64 s[28:29], s[28:29]
	s_cbranch_execz .LBB11_939
; %bb.938:                              ;   in Loop: Header=BB11_728 Depth=2
	;;#ASMSTART
	s_waitcnt lgkmcnt(0) vmcnt(0)
	;;#ASMEND
	s_barrier
.LBB11_939:                             ;   in Loop: Header=BB11_728 Depth=2
	s_or_b64 exec, exec, s[28:29]
	v_and_b32_e32 v0, 16, v62
.LBB11_940:                             ;   in Loop: Header=BB11_728 Depth=2
	s_or_b64 exec, exec, s[24:25]
	v_cmp_ne_u32_e32 vcc, 0, v0
	s_xor_b64 s[24:25], s[10:11], -1
	s_and_b64 s[28:29], vcc, s[24:25]
	s_and_saveexec_b64 s[24:25], s[28:29]
	s_cbranch_execz .LBB11_942
; %bb.941:                              ;   in Loop: Header=BB11_728 Depth=2
	flat_store_dword v[38:39], v25 sc0 sc1
.LBB11_942:                             ;   in Loop: Header=BB11_728 Depth=2
	s_or_b64 exec, exec, s[24:25]
	v_and_b32_e32 v0, 48, v62
	v_cmp_ne_u32_e32 vcc, 0, v0
	s_and_saveexec_b64 s[24:25], vcc
	s_cbranch_execz .LBB11_944
; %bb.943:                              ;   in Loop: Header=BB11_728 Depth=2
	v_lshl_add_u64 v[44:45], v[44:45], 0, 4
	flat_store_dwordx2 v[42:43], v[44:45] sc0 sc1
.LBB11_944:                             ;   in Loop: Header=BB11_728 Depth=2
	s_or_b64 exec, exec, s[24:25]
	s_or_b64 exec, exec, s[26:27]
	s_add_i32 s24, s70, 1
	s_cmp_eq_u32 s70, s79
	s_cbranch_scc0 .LBB11_977
	s_branch .LBB11_978
.LBB11_945:                             ;   in Loop: Header=BB11_728 Depth=2
	s_or_b64 exec, exec, s[60:61]
	s_and_saveexec_b64 vcc, s[62:63]
	s_xor_b64 vcc, exec, vcc
	s_cbranch_execz .LBB11_947
; %bb.946:                              ;   in Loop: Header=BB11_728 Depth=2
	ds_write_b32 v0, v25
	s_trap 2
.LBB11_947:                             ;   in Loop: Header=BB11_728 Depth=2
	s_or_b64 exec, exec, s[58:59]
	;;#ASMSTART
	s_wakeup
	;;#ASMEND
.LBB11_948:                             ;   in Loop: Header=BB11_728 Depth=2
	s_or_b64 exec, exec, s[56:57]
.LBB11_949:                             ;   in Loop: Header=BB11_728 Depth=2
	s_andn2_saveexec_b64 s[28:29], s[28:29]
	s_cbranch_execz .LBB11_951
; %bb.950:                              ;   in Loop: Header=BB11_728 Depth=2
	s_waitcnt lgkmcnt(0)
	s_barrier
.LBB11_951:                             ;   in Loop: Header=BB11_728 Depth=2
	s_or_b64 exec, exec, s[28:29]
	s_or_b64 exec, exec, s[26:27]
                                        ; implicit-def: $vgpr1
	s_and_saveexec_b64 s[26:27], s[22:23]
	s_xor_b64 s[26:27], exec, s[26:27]
	s_cbranch_execnz .LBB11_863
.LBB11_952:                             ;   in Loop: Header=BB11_728 Depth=2
	s_andn2_saveexec_b64 s[24:25], s[26:27]
	s_cbranch_execz .LBB11_971
.LBB11_953:                             ;   in Loop: Header=BB11_728 Depth=2
	s_and_saveexec_b64 s[26:27], s[40:41]
	s_xor_b64 s[26:27], exec, s[26:27]
	s_cbranch_execz .LBB11_968
; %bb.954:                              ;   in Loop: Header=BB11_728 Depth=2
	s_and_saveexec_b64 s[28:29], s[14:15]
	s_cbranch_execz .LBB11_967
; %bb.955:                              ;   in Loop: Header=BB11_728 Depth=2
	s_mov_b64 s[58:59], exec
	v_mbcnt_lo_u32_b32 v0, s58, 0
	v_mbcnt_hi_u32_b32 v0, s59, v0
	v_cmp_eq_u32_e32 vcc, 0, v0
	;;#ASMSTART
	s_waitcnt lgkmcnt(0) vmcnt(0)
	;;#ASMEND
	s_and_saveexec_b64 s[56:57], vcc
	s_cbranch_execz .LBB11_957
; %bb.956:                              ;   in Loop: Header=BB11_728 Depth=2
	s_bcnt1_i32_b64 vcc_lo, s[58:59]
	v_mov_b32_e32 v2, vcc_lo
	ds_add_u64 v0, v[2:3]
	s_trap 2
.LBB11_957:                             ;   in Loop: Header=BB11_728 Depth=2
	s_or_b64 exec, exec, s[56:57]
	s_trap 2
	ds_read_b64 v[4:5], v0
	v_lshl_add_u64 v[26:27], v[26:27], 0, v[52:53]
	s_waitcnt lgkmcnt(0)
	v_cmp_lt_u64_e32 vcc, v[4:5], v[26:27]
	s_and_saveexec_b64 s[56:57], vcc
	s_cbranch_execz .LBB11_966
; %bb.958:                              ;   in Loop: Header=BB11_728 Depth=2
	s_mov_b32 s68, 0
	s_mov_b64 s[58:59], 0
                                        ; implicit-def: $sgpr60_sgpr61
                                        ; implicit-def: $sgpr62_sgpr63
	s_branch .LBB11_960
.LBB11_959:                             ;   in Loop: Header=BB11_960 Depth=3
	s_or_b64 exec, exec, s[66:67]
	s_and_b64 vcc, exec, vcc
	s_or_b64 s[58:59], vcc, s[58:59]
	s_andn2_b64 vcc, s[60:61], exec
	s_and_b64 s[60:61], s[62:63], exec
	s_or_b64 s[60:61], vcc, s[60:61]
	s_andn2_b64 exec, exec, s[58:59]
	s_cbranch_execz .LBB11_964
.LBB11_960:                             ;   Parent Loop BB11_47 Depth=1
                                        ;     Parent Loop BB11_728 Depth=2
                                        ; =>    This Inner Loop Header: Depth=3
	s_add_i32 s68, s68, 1
	s_cmpk_lg_i32 s68, 0x2710
	s_cselect_b64 s[64:65], -1, 0
	s_and_b64 vcc, exec, s[64:65]
                                        ; implicit-def: $sgpr66_sgpr67
	s_cbranch_vccnz .LBB11_962
; %bb.961:                              ;   in Loop: Header=BB11_960 Depth=3
	s_trap 2
	ds_read_b64 v[4:5], v0
	s_andn2_b64 s[64:65], s[64:65], exec
	s_mov_b32 s68, 0
	s_mov_b64 s[66:67], -1
	s_waitcnt vmcnt(0) lgkmcnt(0)
	flat_load_dword v0, v[4:5] sc0 sc1
	s_waitcnt vmcnt(0) lgkmcnt(0)
	buffer_inv sc0 sc1
	v_cmp_eq_u32_e32 vcc, 0, v0
	s_and_b64 vcc, vcc, exec
	s_or_b64 s[64:65], s[64:65], vcc
.LBB11_962:                             ;   in Loop: Header=BB11_960 Depth=3
	s_andn2_b64 s[62:63], s[62:63], exec
	s_and_b64 s[66:67], s[66:67], exec
	s_mov_b64 vcc, -1
	s_or_b64 s[62:63], s[62:63], s[66:67]
	s_and_saveexec_b64 s[66:67], s[64:65]
	s_cbranch_execz .LBB11_959
; %bb.963:                              ;   in Loop: Header=BB11_960 Depth=3
	s_sleep 1
	s_trap 2
	ds_read_b64 v[4:5], v0
	s_andn2_b64 s[62:63], s[62:63], exec
	s_waitcnt lgkmcnt(0)
	v_cmp_ge_u64_e32 vcc, v[4:5], v[26:27]
	s_orn2_b64 vcc, vcc, exec
	s_branch .LBB11_959
.LBB11_964:                             ;   in Loop: Header=BB11_728 Depth=2
	s_or_b64 exec, exec, s[58:59]
	s_and_saveexec_b64 vcc, s[60:61]
	s_xor_b64 vcc, exec, vcc
	s_cbranch_execz .LBB11_966
; %bb.965:                              ;   in Loop: Header=BB11_728 Depth=2
	ds_write_b32 v0, v25
	s_trap 2
.LBB11_966:                             ;   in Loop: Header=BB11_728 Depth=2
	s_or_b64 exec, exec, s[56:57]
	;;#ASMSTART
	s_wakeup
	;;#ASMEND
.LBB11_967:                             ;   in Loop: Header=BB11_728 Depth=2
	s_or_b64 exec, exec, s[28:29]
.LBB11_968:                             ;   in Loop: Header=BB11_728 Depth=2
	s_andn2_saveexec_b64 s[26:27], s[26:27]
	s_cbranch_execz .LBB11_970
; %bb.969:                              ;   in Loop: Header=BB11_728 Depth=2
	;;#ASMSTART
	s_waitcnt lgkmcnt(0) vmcnt(0)
	;;#ASMEND
	s_barrier
.LBB11_970:                             ;   in Loop: Header=BB11_728 Depth=2
	s_or_b64 exec, exec, s[26:27]
	v_and_b32_e32 v1, 16, v62
.LBB11_971:                             ;   in Loop: Header=BB11_728 Depth=2
	s_or_b64 exec, exec, s[24:25]
	v_cmp_ne_u32_e32 vcc, 0, v1
	s_xor_b64 s[24:25], s[10:11], -1
	s_and_b64 s[26:27], vcc, s[24:25]
	s_and_saveexec_b64 s[24:25], s[26:27]
	s_cbranch_execz .LBB11_973
; %bb.972:                              ;   in Loop: Header=BB11_728 Depth=2
	flat_store_dword v[38:39], v25 sc0 sc1
.LBB11_973:                             ;   in Loop: Header=BB11_728 Depth=2
	s_or_b64 exec, exec, s[24:25]
	v_and_b32_e32 v0, 48, v62
	v_cmp_ne_u32_e32 vcc, 0, v0
	s_and_saveexec_b64 s[24:25], vcc
	s_cbranch_execz .LBB11_975
; %bb.974:                              ;   in Loop: Header=BB11_728 Depth=2
	v_lshl_add_u64 v[44:45], v[44:45], 0, 4
	flat_store_dwordx2 v[42:43], v[44:45] sc0 sc1
.LBB11_975:                             ;   in Loop: Header=BB11_728 Depth=2
	s_or_b64 exec, exec, s[24:25]
	v_mov_b32_e32 v1, v6
	s_or_b64 exec, exec, s[54:55]
	s_and_saveexec_b64 s[26:27], s[30:31]
	s_cbranch_execnz .LBB11_735
.LBB11_976:                             ;   in Loop: Header=BB11_728 Depth=2
	s_or_b64 exec, exec, s[26:27]
	s_add_i32 s24, s70, 1
	s_cmp_eq_u32 s70, s79
	s_cbranch_scc1 .LBB11_978
.LBB11_977:                             ;   in Loop: Header=BB11_728 Depth=2
	s_mov_b32 s70, s24
	s_branch .LBB11_728
.LBB11_978:                             ;   in Loop: Header=BB11_47 Depth=1
	v_mul_lo_u32 v0, v55, s80
	v_mul_lo_u32 v1, v54, s81
	v_mad_u64_u32 v[4:5], s[24:25], v54, s80, 0
	v_add3_u32 v5, v5, v1, v0
	v_sub_co_u32_e32 v0, vcc, v12, v4
	v_mov_b32_e32 v8, 0
	s_nop 0
	v_subb_co_u32_e32 v1, vcc, v13, v5, vcc
	v_cmp_lt_i64_e32 vcc, v[54:55], v[0:1]
	s_nop 1
	v_cndmask_b32_e32 v0, v0, v54, vcc
	v_max_i32_e32 v24, 0, v0
	v_add_u32_e32 v1, 15, v24
	v_ashrrev_i32_e32 v2, 31, v1
	v_lshrrev_b32_e32 v2, 28, v2
	v_add_u32_e32 v1, v1, v2
	v_cmp_gt_i32_e32 vcc, 1, v0
	v_and_b32_e32 v1, -16, v1
	s_or_b64 s[26:27], s[2:3], vcc
	v_max_i32_e32 v15, s78, v1
	s_xor_b64 s[24:25], s[26:27], -1
	s_and_saveexec_b64 s[28:29], s[24:25]
	s_cbranch_execz .LBB11_1115
; %bb.979:                              ;   in Loop: Header=BB11_47 Depth=1
	s_and_saveexec_b64 s[24:25], s[0:1]
	s_cbranch_execz .LBB11_981
; %bb.980:                              ;   in Loop: Header=BB11_47 Depth=1
	s_trap 2
	ds_read_b128 v[6:9], v0
	v_accvgpr_read_b32 v0, a46
	v_accvgpr_read_b32 v1, a47
	v_lshl_add_u64 v[4:5], v[4:5], 0, v[0:1]
	v_lshlrev_b64 v[4:5], 1, v[4:5]
	s_waitcnt lgkmcnt(0)
	v_lshl_add_u64 v[6:7], v[6:7], 0, v[4:5]
	v_lshl_add_u64 v[4:5], v[8:9], 0, v[4:5]
	v_cmp_ne_u64_e32 vcc, 0, v[8:9]
	ds_write_b64 v0, v[6:7]
	s_nop 0
	v_cndmask_b32_e32 v5, 0, v5, vcc
	v_cndmask_b32_e32 v4, 0, v4, vcc
	ds_write_b64 v0, v[4:5]
.LBB11_981:                             ;   in Loop: Header=BB11_47 Depth=1
	s_or_b64 exec, exec, s[24:25]
	v_and_b32_e32 v0, 4, v62
	v_cmp_ne_u32_e32 vcc, 0, v0
	s_mov_b64 s[30:31], -1
	s_and_saveexec_b64 s[24:25], vcc
	s_cbranch_execz .LBB11_991
; %bb.982:                              ;   in Loop: Header=BB11_47 Depth=1
	v_lshl_add_u64 v[4:5], v[44:45], 0, 4
	v_cmp_lt_u64_e32 vcc, v[58:59], v[4:5]
	v_mov_b32_e32 v0, 1
	s_and_saveexec_b64 s[30:31], vcc
	s_cbranch_execz .LBB11_1002
; %bb.983:                              ;   in Loop: Header=BB11_47 Depth=1
	s_mov_b64 s[54:55], 0
	v_mov_b32_e32 v0, 0
                                        ; implicit-def: $sgpr56_sgpr57
	s_branch .LBB11_987
.LBB11_984:                             ;   in Loop: Header=BB11_987 Depth=2
	s_or_b64 exec, exec, s[64:65]
	v_mov_b32_e32 v2, 0
	s_orn2_b64 s[62:63], s[62:63], exec
.LBB11_985:                             ;   in Loop: Header=BB11_987 Depth=2
	s_or_b64 exec, exec, s[60:61]
	s_andn2_b64 vcc, s[56:57], exec
	s_and_b64 s[56:57], s[62:63], exec
	s_or_b64 s[56:57], vcc, s[56:57]
	v_mov_b32_e32 v0, v2
.LBB11_986:                             ;   in Loop: Header=BB11_987 Depth=2
	s_or_b64 exec, exec, s[58:59]
	s_waitcnt vmcnt(0) lgkmcnt(0)
	v_cmp_ge_u64_e32 vcc, v[58:59], v[4:5]
	s_xor_b64 s[58:59], s[56:57], -1
	s_or_b64 vcc, s[58:59], vcc
	s_and_b64 vcc, exec, vcc
	s_or_b64 s[54:55], vcc, s[54:55]
	s_andn2_b64 exec, exec, s[54:55]
	s_cbranch_execz .LBB11_1001
.LBB11_987:                             ;   Parent Loop BB11_47 Depth=1
                                        ; =>  This Inner Loop Header: Depth=2
	s_sleep 1
	flat_load_dwordx2 v[58:59], v[42:43] sc0 sc1
	v_and_b32_e32 v2, 64, v62
	v_cmp_eq_u32_e32 vcc, 0, v2
	s_andn2_b64 s[56:57], s[56:57], exec
	s_and_saveexec_b64 s[58:59], vcc
	s_cbranch_execz .LBB11_986
; %bb.988:                              ;   in Loop: Header=BB11_987 Depth=2
	v_add_u32_e32 v2, 1, v0
	v_cmp_lt_i32_e32 vcc, s82, v0
	s_mov_b64 s[62:63], -1
	s_and_saveexec_b64 s[60:61], vcc
	s_cbranch_execz .LBB11_985
; %bb.989:                              ;   in Loop: Header=BB11_987 Depth=2
	s_trap 2
	ds_read_b64 v[6:7], v0
	s_waitcnt vmcnt(0) lgkmcnt(0)
	flat_load_dword v0, v[6:7] sc0 sc1
	s_waitcnt vmcnt(0) lgkmcnt(0)
	buffer_inv sc0 sc1
	v_cmp_ne_u32_e32 vcc, 0, v0
	s_and_saveexec_b64 s[64:65], vcc
	s_cbranch_execz .LBB11_984
; %bb.990:                              ;   in Loop: Header=BB11_987 Depth=2
	v_or_b32_e32 v62, 64, v62
	s_xor_b64 s[62:63], exec, -1
	ds_write_b32 v0, v0
	s_trap 2
	s_branch .LBB11_984
.LBB11_991:                             ;   in Loop: Header=BB11_47 Depth=1
	s_or_b64 exec, exec, s[24:25]
	s_xor_b64 s[24:25], s[30:31], -1
	s_and_saveexec_b64 s[30:31], s[24:25]
	s_cbranch_execz .LBB11_1003
.LBB11_992:                             ;   in Loop: Header=BB11_47 Depth=1
	v_and_b32_e32 v0, 0x100, v62
	v_cmp_ne_u32_e32 vcc, 0, v0
	v_and_b32_e32 v0, 7, v44
	s_mov_b64 s[24:25], -1
                                        ; implicit-def: $vgpr4_vgpr5
	s_and_saveexec_b64 s[54:55], vcc
	s_cbranch_execz .LBB11_996
; %bb.993:                              ;   in Loop: Header=BB11_47 Depth=1
	v_mad_u64_u32 v[6:7], s[24:25], v0, 24, v[48:49]
	flat_load_dword v2, v[6:7]
                                        ; implicit-def: $vgpr4_vgpr5
	s_waitcnt vmcnt(0) lgkmcnt(0)
	v_cmp_ne_u32_e32 vcc, 1, v2
	v_cmp_eq_u32_e64 s[24:25], 1, v2
	s_and_saveexec_b64 s[56:57], s[24:25]
	s_cbranch_execz .LBB11_995
; %bb.994:                              ;   in Loop: Header=BB11_47 Depth=1
	flat_load_dword v4, v[6:7] offset:4 sc0 sc1
	s_waitcnt vmcnt(0) lgkmcnt(0)
	v_ashrrev_i32_e32 v5, 31, v4
	v_lshrrev_b64 v[4:5], 1, v[4:5]
.LBB11_995:                             ;   in Loop: Header=BB11_47 Depth=1
	s_or_b64 exec, exec, s[56:57]
	s_orn2_b64 s[24:25], vcc, exec
.LBB11_996:                             ;   in Loop: Header=BB11_47 Depth=1
	s_or_b64 exec, exec, s[54:55]
	s_and_saveexec_b64 vcc, s[24:25]
; %bb.997:                              ;   in Loop: Header=BB11_47 Depth=1
	v_mad_i64_i32 v[4:5], s[24:25], v0, v40, 0
; %bb.998:                              ;   in Loop: Header=BB11_47 Depth=1
	s_or_b64 exec, exec, vcc
	v_lshl_add_u64 v[4:5], v[4:5], 1, v[36:37]
	ds_write_b64 v0, v[4:5] offset:720
	v_and_b32_e32 v0, 0x2000, v62
	v_cmp_ne_u32_e32 vcc, 0, v0
	s_and_saveexec_b64 s[24:25], vcc
	s_cbranch_execz .LBB11_1000
; %bb.999:                              ;   in Loop: Header=BB11_47 Depth=1
	ds_read_b64 v[4:5], v0 offset:584
	s_waitcnt lgkmcnt(0)
	v_lshl_add_u64 v[4:5], v[4:5], 0, 1
	ds_write_b64 v0, v[4:5] offset:584
.LBB11_1000:                            ;   in Loop: Header=BB11_47 Depth=1
	s_or_b64 exec, exec, s[24:25]
	v_lshl_add_u64 v[44:45], v[44:45], 0, 4
	s_or_b64 exec, exec, s[30:31]
	s_and_saveexec_b64 s[24:25], s[6:7]
	s_cbranch_execz .LBB11_1022
	s_branch .LBB11_1004
.LBB11_1001:                            ;   in Loop: Header=BB11_47 Depth=1
	s_or_b64 exec, exec, s[54:55]
	v_and_b32_e32 v0, 4, v62
.LBB11_1002:                            ;   in Loop: Header=BB11_47 Depth=1
	s_or_b64 exec, exec, s[30:31]
	v_cmp_eq_u32_e32 vcc, 0, v0
	s_orn2_b64 s[30:31], vcc, exec
	;;#ASMSTART
	s_wakeup
	;;#ASMEND
	s_or_b64 exec, exec, s[24:25]
	s_xor_b64 s[24:25], s[30:31], -1
	s_and_saveexec_b64 s[30:31], s[24:25]
	s_cbranch_execnz .LBB11_992
.LBB11_1003:                            ;   in Loop: Header=BB11_47 Depth=1
	s_or_b64 exec, exec, s[30:31]
	s_and_saveexec_b64 s[24:25], s[6:7]
	s_cbranch_execz .LBB11_1022
.LBB11_1004:                            ;   in Loop: Header=BB11_47 Depth=1
	s_and_saveexec_b64 vcc, s[40:41]
	s_xor_b64 s[30:31], exec, vcc
	s_cbranch_execz .LBB11_1019
; %bb.1005:                             ;   in Loop: Header=BB11_47 Depth=1
	s_and_saveexec_b64 s[54:55], s[14:15]
	s_cbranch_execz .LBB11_1018
; %bb.1006:                             ;   in Loop: Header=BB11_47 Depth=1
	s_mov_b64 s[58:59], exec
	v_mbcnt_lo_u32_b32 v0, s58, 0
	v_mbcnt_hi_u32_b32 v0, s59, v0
	v_cmp_eq_u32_e32 vcc, 0, v0
	s_waitcnt lgkmcnt(0)
	s_and_saveexec_b64 s[56:57], vcc
	s_cbranch_execz .LBB11_1008
; %bb.1007:                             ;   in Loop: Header=BB11_47 Depth=1
	s_bcnt1_i32_b64 vcc_lo, s[58:59]
	v_mov_b32_e32 v2, vcc_lo
	ds_add_u64 v0, v[2:3]
	s_trap 2
.LBB11_1008:                            ;   in Loop: Header=BB11_47 Depth=1
	s_or_b64 exec, exec, s[56:57]
	s_trap 2
	ds_read_b64 v[4:5], v0
	v_lshl_add_u64 v[26:27], v[26:27], 0, v[52:53]
	s_waitcnt lgkmcnt(0)
	v_cmp_lt_u64_e32 vcc, v[4:5], v[26:27]
	s_and_saveexec_b64 s[56:57], vcc
	s_cbranch_execz .LBB11_1017
; %bb.1009:                             ;   in Loop: Header=BB11_47 Depth=1
	s_mov_b32 s68, 0
	s_mov_b64 s[58:59], 0
                                        ; implicit-def: $sgpr60_sgpr61
                                        ; implicit-def: $sgpr62_sgpr63
	s_branch .LBB11_1011
.LBB11_1010:                            ;   in Loop: Header=BB11_1011 Depth=2
	s_or_b64 exec, exec, s[66:67]
	s_and_b64 vcc, exec, vcc
	s_or_b64 s[58:59], vcc, s[58:59]
	s_andn2_b64 vcc, s[60:61], exec
	s_and_b64 s[60:61], s[62:63], exec
	s_or_b64 s[60:61], vcc, s[60:61]
	s_andn2_b64 exec, exec, s[58:59]
	s_cbranch_execz .LBB11_1015
.LBB11_1011:                            ;   Parent Loop BB11_47 Depth=1
                                        ; =>  This Inner Loop Header: Depth=2
	s_add_i32 s68, s68, 1
	s_cmpk_lg_i32 s68, 0x2710
	s_cselect_b64 s[64:65], -1, 0
	s_and_b64 vcc, exec, s[64:65]
                                        ; implicit-def: $sgpr66_sgpr67
	s_cbranch_vccnz .LBB11_1013
; %bb.1012:                             ;   in Loop: Header=BB11_1011 Depth=2
	s_trap 2
	ds_read_b64 v[4:5], v0
	s_andn2_b64 s[64:65], s[64:65], exec
	s_mov_b32 s68, 0
	s_mov_b64 s[66:67], -1
	s_waitcnt vmcnt(0) lgkmcnt(0)
	flat_load_dword v0, v[4:5] sc0 sc1
	s_waitcnt vmcnt(0) lgkmcnt(0)
	buffer_inv sc0 sc1
	v_cmp_eq_u32_e32 vcc, 0, v0
	s_and_b64 vcc, vcc, exec
	s_or_b64 s[64:65], s[64:65], vcc
.LBB11_1013:                            ;   in Loop: Header=BB11_1011 Depth=2
	s_andn2_b64 s[62:63], s[62:63], exec
	s_and_b64 s[66:67], s[66:67], exec
	s_mov_b64 vcc, -1
	s_or_b64 s[62:63], s[62:63], s[66:67]
	s_and_saveexec_b64 s[66:67], s[64:65]
	s_cbranch_execz .LBB11_1010
; %bb.1014:                             ;   in Loop: Header=BB11_1011 Depth=2
	s_sleep 1
	s_trap 2
	ds_read_b64 v[4:5], v0
	s_andn2_b64 s[62:63], s[62:63], exec
	s_waitcnt lgkmcnt(0)
	v_cmp_ge_u64_e32 vcc, v[4:5], v[26:27]
	s_orn2_b64 vcc, vcc, exec
	s_branch .LBB11_1010
.LBB11_1015:                            ;   in Loop: Header=BB11_47 Depth=1
	s_or_b64 exec, exec, s[58:59]
	s_and_saveexec_b64 vcc, s[60:61]
	s_xor_b64 vcc, exec, vcc
	s_cbranch_execz .LBB11_1017
; %bb.1016:                             ;   in Loop: Header=BB11_47 Depth=1
	ds_write_b32 v0, v25
	s_trap 2
.LBB11_1017:                            ;   in Loop: Header=BB11_47 Depth=1
	s_or_b64 exec, exec, s[56:57]
	;;#ASMSTART
	s_wakeup
	;;#ASMEND
.LBB11_1018:                            ;   in Loop: Header=BB11_47 Depth=1
	s_or_b64 exec, exec, s[54:55]
.LBB11_1019:                            ;   in Loop: Header=BB11_47 Depth=1
	s_andn2_saveexec_b64 vcc, s[30:31]
	s_cbranch_execz .LBB11_1021
; %bb.1020:                             ;   in Loop: Header=BB11_47 Depth=1
	s_waitcnt lgkmcnt(0)
	s_barrier
.LBB11_1021:                            ;   in Loop: Header=BB11_47 Depth=1
	s_or_b64 exec, exec, vcc
.LBB11_1022:                            ;   in Loop: Header=BB11_47 Depth=1
	s_or_b64 exec, exec, s[24:25]
	s_trap 2
	ds_read_b32 v4, v0
	v_and_b32_e32 v0, 0x4000, v62
	v_cmp_ne_u32_e32 vcc, 0, v0
	s_xor_b64 s[24:25], s[4:5], -1
	s_and_b64 vcc, s[24:25], vcc
	s_and_saveexec_b64 s[24:25], vcc
	s_cbranch_execz .LBB11_1041
; %bb.1023:                             ;   in Loop: Header=BB11_47 Depth=1
	s_and_saveexec_b64 vcc, s[40:41]
	s_xor_b64 s[30:31], exec, vcc
	s_cbranch_execz .LBB11_1038
; %bb.1024:                             ;   in Loop: Header=BB11_47 Depth=1
	s_and_saveexec_b64 s[54:55], s[14:15]
	s_cbranch_execz .LBB11_1037
; %bb.1025:                             ;   in Loop: Header=BB11_47 Depth=1
	s_mov_b64 s[58:59], exec
	v_mbcnt_lo_u32_b32 v0, s58, 0
	v_mbcnt_hi_u32_b32 v0, s59, v0
	v_cmp_eq_u32_e32 vcc, 0, v0
	s_waitcnt lgkmcnt(0)
	s_and_saveexec_b64 s[56:57], vcc
	s_cbranch_execz .LBB11_1027
; %bb.1026:                             ;   in Loop: Header=BB11_47 Depth=1
	s_bcnt1_i32_b64 vcc_lo, s[58:59]
	v_mov_b32_e32 v2, vcc_lo
	ds_add_u64 v0, v[2:3]
	s_trap 2
.LBB11_1027:                            ;   in Loop: Header=BB11_47 Depth=1
	s_or_b64 exec, exec, s[56:57]
	s_trap 2
	ds_read_b64 v[6:7], v0
	v_lshl_add_u64 v[26:27], v[26:27], 0, v[52:53]
	s_waitcnt lgkmcnt(0)
	v_cmp_lt_u64_e32 vcc, v[6:7], v[26:27]
	s_and_saveexec_b64 s[56:57], vcc
	s_cbranch_execz .LBB11_1036
; %bb.1028:                             ;   in Loop: Header=BB11_47 Depth=1
	s_mov_b32 s68, 0
	s_mov_b64 s[58:59], 0
                                        ; implicit-def: $sgpr60_sgpr61
                                        ; implicit-def: $sgpr62_sgpr63
	s_branch .LBB11_1030
.LBB11_1029:                            ;   in Loop: Header=BB11_1030 Depth=2
	s_or_b64 exec, exec, s[66:67]
	s_and_b64 vcc, exec, vcc
	s_or_b64 s[58:59], vcc, s[58:59]
	s_andn2_b64 vcc, s[60:61], exec
	s_and_b64 s[60:61], s[62:63], exec
	s_or_b64 s[60:61], vcc, s[60:61]
	s_andn2_b64 exec, exec, s[58:59]
	s_cbranch_execz .LBB11_1034
.LBB11_1030:                            ;   Parent Loop BB11_47 Depth=1
                                        ; =>  This Inner Loop Header: Depth=2
	s_add_i32 s68, s68, 1
	s_cmpk_lg_i32 s68, 0x2710
	s_cselect_b64 s[64:65], -1, 0
	s_and_b64 vcc, exec, s[64:65]
                                        ; implicit-def: $sgpr66_sgpr67
	s_cbranch_vccnz .LBB11_1032
; %bb.1031:                             ;   in Loop: Header=BB11_1030 Depth=2
	s_trap 2
	ds_read_b64 v[6:7], v0
	s_andn2_b64 s[64:65], s[64:65], exec
	s_mov_b32 s68, 0
	s_mov_b64 s[66:67], -1
	s_waitcnt vmcnt(0) lgkmcnt(0)
	flat_load_dword v0, v[6:7] sc0 sc1
	s_waitcnt vmcnt(0) lgkmcnt(0)
	buffer_inv sc0 sc1
	v_cmp_eq_u32_e32 vcc, 0, v0
	s_and_b64 vcc, vcc, exec
	s_or_b64 s[64:65], s[64:65], vcc
.LBB11_1032:                            ;   in Loop: Header=BB11_1030 Depth=2
	s_andn2_b64 s[62:63], s[62:63], exec
	s_and_b64 s[66:67], s[66:67], exec
	s_mov_b64 vcc, -1
	s_or_b64 s[62:63], s[62:63], s[66:67]
	s_and_saveexec_b64 s[66:67], s[64:65]
	s_cbranch_execz .LBB11_1029
; %bb.1033:                             ;   in Loop: Header=BB11_1030 Depth=2
	s_sleep 1
	s_trap 2
	ds_read_b64 v[6:7], v0
	s_andn2_b64 s[62:63], s[62:63], exec
	s_waitcnt lgkmcnt(0)
	v_cmp_ge_u64_e32 vcc, v[6:7], v[26:27]
	s_orn2_b64 vcc, vcc, exec
	s_branch .LBB11_1029
.LBB11_1034:                            ;   in Loop: Header=BB11_47 Depth=1
	s_or_b64 exec, exec, s[58:59]
	s_and_saveexec_b64 vcc, s[60:61]
	s_xor_b64 vcc, exec, vcc
	s_cbranch_execz .LBB11_1036
; %bb.1035:                             ;   in Loop: Header=BB11_47 Depth=1
	ds_write_b32 v0, v25
	s_trap 2
.LBB11_1036:                            ;   in Loop: Header=BB11_47 Depth=1
	s_or_b64 exec, exec, s[56:57]
	;;#ASMSTART
	s_wakeup
	;;#ASMEND
.LBB11_1037:                            ;   in Loop: Header=BB11_47 Depth=1
	s_or_b64 exec, exec, s[54:55]
.LBB11_1038:                            ;   in Loop: Header=BB11_47 Depth=1
	s_andn2_saveexec_b64 vcc, s[30:31]
	s_cbranch_execz .LBB11_1040
; %bb.1039:                             ;   in Loop: Header=BB11_47 Depth=1
	s_waitcnt lgkmcnt(0)
	s_barrier
.LBB11_1040:                            ;   in Loop: Header=BB11_47 Depth=1
	s_or_b64 exec, exec, vcc
.LBB11_1041:                            ;   in Loop: Header=BB11_47 Depth=1
	s_or_b64 exec, exec, s[24:25]
	s_trap 2
	ds_read_b64 v[6:7], v0
	v_min_i32_e32 v15, v15, v24
	s_waitcnt lgkmcnt(0)
	v_readfirstlane_b32 s24, v6
	v_readfirstlane_b32 s25, v7
	s_cmp_eq_u64 s[24:25], 0
	s_cselect_b64 s[24:25], -1, 0
	s_or_b64 vcc, s[24:25], s[24:25]
	s_mov_b64 s[24:25], 0
	s_and_b64 vcc, exec, vcc
	s_cbranch_vccnz .LBB11_1048
; %bb.1042:                             ;   in Loop: Header=BB11_47 Depth=1
	s_trap 2
	ds_read_b64 v[10:11], v0
	s_mov_b64 s[24:25], -1
	s_and_saveexec_b64 s[30:31], s[18:19]
	s_cbranch_execz .LBB11_1044
; %bb.1043:                             ;   in Loop: Header=BB11_47 Depth=1
	ds_read_b32 v0, v0 offset:720
	s_waitcnt lgkmcnt(0)
	v_and_b32_e32 v0, 15, v0
	v_cmp_eq_u32_e32 vcc, 0, v0
	s_orn2_b64 s[24:25], vcc, exec
.LBB11_1044:                            ;   in Loop: Header=BB11_47 Depth=1
	s_or_b64 exec, exec, s[30:31]
	s_and_saveexec_b64 s[30:31], s[16:17]
	s_cbranch_execz .LBB11_1046
; %bb.1045:                             ;   in Loop: Header=BB11_47 Depth=1
	ds_read_b32 v0, v0 offset:784
	s_waitcnt lgkmcnt(0)
	v_and_b32_e32 v0, 15, v0
	v_cmp_eq_u32_e32 vcc, 0, v0
	s_and_b64 vcc, s[24:25], vcc
	s_andn2_b64 s[24:25], s[24:25], exec
	s_and_b64 vcc, vcc, exec
	s_or_b64 s[24:25], s[24:25], vcc
.LBB11_1046:                            ;   in Loop: Header=BB11_47 Depth=1
	s_or_b64 exec, exec, s[30:31]
	v_cmp_eq_u32_e32 vcc, 0, v4
	s_xor_b64 s[24:25], s[24:25], -1
	s_waitcnt lgkmcnt(0)
	v_accvgpr_write_b32 a47, v11
	v_cndmask_b32_e32 v0, 0, v15, vcc
	v_accvgpr_write_b32 a48, v0
	v_lshlrev_b32_e32 v7, 1, v0
	v_cndmask_b32_e64 v0, 0, 1, s[24:25]
	v_mov_b32_e32 v12, 0
	s_mov_b64 s[54:55], -1
	;;#ASMSTART
	;;#ASMEND
	v_accvgpr_write_b32 a46, v10
	v_cmp_ne_u32_e32 vcc, 0, v0
	s_cbranch_vccz .LBB11_1060
; %bb.1047:                             ;   in Loop: Header=BB11_47 Depth=1
	v_mov_b32_e32 v13, v60
	v_mov_b32_e32 v6, v50
	s_and_saveexec_b64 s[24:25], s[54:55]
	s_cbranch_execnz .LBB11_1073
	s_branch .LBB11_1081
.LBB11_1048:                            ;   in Loop: Header=BB11_47 Depth=1
	s_and_saveexec_b64 s[30:31], s[6:7]
	s_cbranch_execz .LBB11_1082
.LBB11_1049:                            ;   in Loop: Header=BB11_47 Depth=1
	s_and_saveexec_b64 vcc, s[40:41]
	s_xor_b64 s[54:55], exec, vcc
	s_cbranch_execz .LBB11_1090
; %bb.1050:                             ;   in Loop: Header=BB11_47 Depth=1
	s_and_saveexec_b64 s[56:57], s[14:15]
	s_cbranch_execz .LBB11_1089
; %bb.1051:                             ;   in Loop: Header=BB11_47 Depth=1
	s_mov_b64 s[60:61], exec
	v_mbcnt_lo_u32_b32 v0, s60, 0
	v_mbcnt_hi_u32_b32 v0, s61, v0
	v_cmp_eq_u32_e32 vcc, 0, v0
	s_waitcnt lgkmcnt(0)
	s_and_saveexec_b64 s[58:59], vcc
	s_cbranch_execz .LBB11_1053
; %bb.1052:                             ;   in Loop: Header=BB11_47 Depth=1
	s_bcnt1_i32_b64 vcc_lo, s[60:61]
	v_mov_b32_e32 v2, vcc_lo
	ds_add_u64 v0, v[2:3]
	s_trap 2
.LBB11_1053:                            ;   in Loop: Header=BB11_47 Depth=1
	s_or_b64 exec, exec, s[58:59]
	s_trap 2
	ds_read_b64 v[4:5], v0
	v_lshl_add_u64 v[26:27], v[26:27], 0, v[52:53]
	s_waitcnt lgkmcnt(0)
	v_cmp_lt_u64_e32 vcc, v[4:5], v[26:27]
	s_and_saveexec_b64 s[58:59], vcc
	s_cbranch_execz .LBB11_1088
; %bb.1054:                             ;   in Loop: Header=BB11_47 Depth=1
	s_mov_b32 s70, 0
	s_mov_b64 s[60:61], 0
                                        ; implicit-def: $sgpr62_sgpr63
                                        ; implicit-def: $sgpr64_sgpr65
	s_branch .LBB11_1056
.LBB11_1055:                            ;   in Loop: Header=BB11_1056 Depth=2
	s_or_b64 exec, exec, s[68:69]
	s_and_b64 vcc, exec, vcc
	s_or_b64 s[60:61], vcc, s[60:61]
	s_andn2_b64 vcc, s[62:63], exec
	s_and_b64 s[62:63], s[64:65], exec
	s_or_b64 s[62:63], vcc, s[62:63]
	s_andn2_b64 exec, exec, s[60:61]
	s_cbranch_execz .LBB11_1086
.LBB11_1056:                            ;   Parent Loop BB11_47 Depth=1
                                        ; =>  This Inner Loop Header: Depth=2
	s_add_i32 s70, s70, 1
	s_cmpk_lg_i32 s70, 0x2710
	s_cselect_b64 s[66:67], -1, 0
	s_and_b64 vcc, exec, s[66:67]
                                        ; implicit-def: $sgpr68_sgpr69
	s_cbranch_vccnz .LBB11_1058
; %bb.1057:                             ;   in Loop: Header=BB11_1056 Depth=2
	s_trap 2
	ds_read_b64 v[4:5], v0
	s_andn2_b64 s[66:67], s[66:67], exec
	s_mov_b32 s70, 0
	s_mov_b64 s[68:69], -1
	s_waitcnt vmcnt(0) lgkmcnt(0)
	flat_load_dword v0, v[4:5] sc0 sc1
	s_waitcnt vmcnt(0) lgkmcnt(0)
	buffer_inv sc0 sc1
	v_cmp_eq_u32_e32 vcc, 0, v0
	s_and_b64 vcc, vcc, exec
	s_or_b64 s[66:67], s[66:67], vcc
.LBB11_1058:                            ;   in Loop: Header=BB11_1056 Depth=2
	s_andn2_b64 s[64:65], s[64:65], exec
	s_and_b64 s[68:69], s[68:69], exec
	s_mov_b64 vcc, -1
	s_or_b64 s[64:65], s[64:65], s[68:69]
	s_and_saveexec_b64 s[68:69], s[66:67]
	s_cbranch_execz .LBB11_1055
; %bb.1059:                             ;   in Loop: Header=BB11_1056 Depth=2
	s_sleep 1
	s_trap 2
	ds_read_b64 v[4:5], v0
	s_andn2_b64 s[64:65], s[64:65], exec
	s_waitcnt lgkmcnt(0)
	v_cmp_ge_u64_e32 vcc, v[4:5], v[26:27]
	s_orn2_b64 vcc, vcc, exec
	s_branch .LBB11_1055
.LBB11_1060:                            ;   in Loop: Header=BB11_47 Depth=1
	v_ashrrev_i32_e32 v0, 31, v7
	v_lshrrev_b32_e32 v0, 20, v0
	v_add_u32_e32 v0, v7, v0
	v_ashrrev_i32_e32 v1, 12, v0
	v_sub_u32_e32 v0, v1, v50
	v_cmp_lt_i32_e32 vcc, 0, v0
	s_and_saveexec_b64 s[24:25], vcc
	s_cbranch_execz .LBB11_1064
; %bb.1061:                             ;   in Loop: Header=BB11_47 Depth=1
	s_trap 2
	v_mov_b64_e32 v[56:57], v[30:31]
	ds_read_b64 v[30:31], v0
	v_accvgpr_write_b32 a35, v27
	v_accvgpr_write_b32 a12, v44
	;; [unrolled: 1-line block ×8, first 2 shown]
	s_mov_b64 s[30:31], 0
	s_waitcnt lgkmcnt(0)
	v_mov_b64_e32 v[46:47], v[30:31]
	v_mov_b64_e32 v[6:7], v[10:11]
.LBB11_1062:                            ;   Parent Loop BB11_47 Depth=1
                                        ; =>  This Inner Loop Header: Depth=2
	s_waitcnt vmcnt(0)
	v_lshl_add_u64 v[4:5], v[16:17], 0, v[6:7]
	v_lshl_add_u64 v[8:9], v[16:17], 0, v[46:47]
	global_load_dwordx4 v[36:39], v[4:5], off nt
	global_load_dwordx4 v[48:51], v[8:9], off nt
	global_load_dwordx4 v[24:27], v[8:9], off offset:1024 nt
	global_load_dwordx4 v[32:35], v[4:5], off offset:1024 nt
	;; [unrolled: 1-line block ×4, first 2 shown]
	s_nop 0
	global_load_dwordx4 v[8:11], v[8:9], off offset:3072 nt
	s_nop 0
	global_load_dwordx4 v[12:15], v[4:5], off offset:3072 nt
	s_nop 0
	scratch_load_dwordx2 v[4:5], off, s33 offset:160 ; 8-byte Folded Reload
	v_sub_u32_e32 v0, v0, v52
	v_cmp_gt_i32_e32 vcc, 1, v0
	v_lshl_add_u64 v[6:7], v[6:7], 0, v[56:57]
	v_lshl_add_u64 v[46:47], v[46:47], 0, v[56:57]
	s_or_b64 s[30:31], vcc, s[30:31]
	s_waitcnt vmcnt(7)
	v_mul_f16_e32 v40, v48, v36
	v_mul_f16_sdwa v36, v48, v36 dst_sel:WORD_1 dst_unused:UNUSED_PAD src0_sel:WORD_1 src1_sel:WORD_1
	v_mul_f16_e32 v48, v49, v37
	v_mul_f16_sdwa v37, v49, v37 dst_sel:WORD_1 dst_unused:UNUSED_PAD src0_sel:WORD_1 src1_sel:WORD_1
	;; [unrolled: 2-line block ×4, first 2 shown]
	s_waitcnt vmcnt(0)
	v_lshl_add_u64 v[4:5], v[4:5], 0, v[30:31]
	v_mul_f16_e32 v51, v24, v32
	v_mul_f16_sdwa v24, v24, v32 dst_sel:WORD_1 dst_unused:UNUSED_PAD src0_sel:WORD_1 src1_sel:WORD_1
	v_mul_f16_e32 v32, v25, v33
	v_mul_f16_sdwa v25, v25, v33 dst_sel:WORD_1 dst_unused:UNUSED_PAD src0_sel:WORD_1 src1_sel:WORD_1
	;; [unrolled: 2-line block ×12, first 2 shown]
	v_or_b32_e32 v9, v37, v48
	v_or_b32_e32 v8, v36, v40
	;; [unrolled: 1-line block ×12, first 2 shown]
	global_store_dwordx4 v[4:5], v[8:11], off nt
	global_store_dwordx4 v[4:5], v[12:15], off offset:1024 nt
	global_store_dwordx4 v[4:5], v[16:19], off offset:2048 nt
	scratch_load_dwordx2 v[16:17], off, s33 offset:160 ; 8-byte Folded Reload
	v_lshl_add_u64 v[30:31], v[30:31], 0, v[56:57]
	v_or_b32_e32 v21, v2, v1
	v_or_b32_e32 v20, v41, v23
	;; [unrolled: 1-line block ×4, first 2 shown]
	global_store_dwordx4 v[4:5], v[20:23], off offset:3072 nt
	s_andn2_b64 exec, exec, s[30:31]
	s_cbranch_execnz .LBB11_1062
; %bb.1063:                             ;   in Loop: Header=BB11_47 Depth=1
	s_or_b64 exec, exec, s[30:31]
	scratch_load_dwordx2 v[20:21], off, s33 offset:152 ; 8-byte Folded Reload
	v_accvgpr_read_b32 v47, a5
	v_accvgpr_read_b32 v45, a13
	;; [unrolled: 1-line block ×24, first 2 shown]
	v_mov_b64_e32 v[30:31], v[56:57]
	v_accvgpr_read_b32 v27, a35
	v_accvgpr_read_b32 v23, a37
	;; [unrolled: 1-line block ×3, first 2 shown]
	v_mov_b32_e32 v25, 1
	v_accvgpr_read_b32 v24, a44
	v_accvgpr_read_b32 v15, a45
	;; [unrolled: 1-line block ×5, first 2 shown]
.LBB11_1064:                            ;   in Loop: Header=BB11_47 Depth=1
	s_or_b64 exec, exec, s[24:25]
	v_lshlrev_b32_e32 v8, 12, v1
	v_cmp_ne_u32_e32 vcc, v7, v8
	s_mov_b64 s[54:55], 0
	v_mov_b32_e32 v12, 0
                                        ; implicit-def: $vgpr13
                                        ; implicit-def: $vgpr6
	s_and_saveexec_b64 s[30:31], vcc
	s_cbranch_execz .LBB11_1072
; %bb.1065:                             ;   in Loop: Header=BB11_47 Depth=1
	v_lshlrev_b32_e32 v0, 6, v0
	v_accvgpr_read_b32 v2, a31
	v_sub_u32_e32 v0, v2, v0
	v_ashrrev_i32_e32 v2, 31, v0
	v_lshrrev_b32_e32 v2, 26, v2
	v_add_u32_e32 v2, v0, v2
	v_ashrrev_i32_e32 v4, 6, v2
	v_and_b32_e32 v2, 0xffffffc0, v2
	v_sub_u32_e32 v0, v0, v2
	v_sub_u32_e32 v1, v7, v8
	v_lshlrev_b32_e32 v2, 4, v0
	v_lshl_add_u32 v6, v4, 10, v2
	v_ashrrev_i32_e32 v2, 31, v1
	v_lshrrev_b32_e32 v2, 22, v2
	v_add_u32_e32 v2, v1, v2
	v_and_b32_e32 v9, 0xfffffc00, v2
	v_sub_u32_e32 v11, v1, v9
	v_ashrrev_i32_e32 v5, 10, v2
	v_cmp_lt_i32_e32 vcc, 15, v11
	v_sub_u32_e32 v12, v1, v6
	s_nop 0
	v_addc_co_u32_e64 v1, s[24:25], 0, v5, vcc
	v_sub_u32_e32 v10, v1, v4
	v_cmp_lt_i32_e64 s[24:25], 15, v12
	s_and_saveexec_b64 s[54:55], s[24:25]
	s_cbranch_execz .LBB11_1069
; %bb.1066:                             ;   in Loop: Header=BB11_47 Depth=1
	s_trap 2
	ds_read_b64 v[4:5], v0
	v_add_u32_e32 v6, v6, v8
	v_accvgpr_read_b32 v57, a47
	v_accvgpr_write_b32 a13, v7
	v_accvgpr_write_b32 a12, v15
	v_ashrrev_i32_e32 v7, 31, v6
	s_mov_b64 s[56:57], 0
	v_accvgpr_read_b32 v56, a46
.LBB11_1067:                            ;   Parent Loop BB11_47 Depth=1
                                        ; =>  This Inner Loop Header: Depth=2
	v_lshl_add_u64 v[18:19], v[56:57], 0, v[6:7]
	s_waitcnt lgkmcnt(0)
	v_lshl_add_u64 v[22:23], v[4:5], 0, v[6:7]
	global_load_dwordx4 v[14:17], v[22:23], off nt
	s_nop 0
	global_load_dwordx4 v[18:21], v[18:19], off nt
	v_sub_u32_e32 v12, v12, v61
	v_cmp_gt_i32_e64 s[24:25], 16, v12
	v_sub_u32_e32 v10, v10, v52
	v_lshl_add_u64 v[6:7], v[6:7], 0, v[28:29]
	s_or_b64 s[56:57], s[24:25], s[56:57]
	s_waitcnt vmcnt(0)
	v_mul_f16_e32 v1, v14, v18
	v_mul_f16_sdwa v2, v14, v18 dst_sel:WORD_1 dst_unused:UNUSED_PAD src0_sel:WORD_1 src1_sel:WORD_1
	v_mul_f16_e32 v13, v15, v19
	v_mul_f16_sdwa v14, v15, v19 dst_sel:WORD_1 dst_unused:UNUSED_PAD src0_sel:WORD_1 src1_sel:WORD_1
	;; [unrolled: 2-line block ×4, first 2 shown]
	v_or_b32_e32 v15, v14, v13
	v_or_b32_e32 v14, v2, v1
	;; [unrolled: 1-line block ×4, first 2 shown]
	global_store_dwordx4 v[22:23], v[14:17], off nt
	s_andn2_b64 exec, exec, s[56:57]
	s_cbranch_execnz .LBB11_1067
; %bb.1068:                             ;   in Loop: Header=BB11_47 Depth=1
	s_or_b64 exec, exec, s[56:57]
	scratch_load_dwordx2 v[20:21], off, s33 offset:152 ; 8-byte Folded Reload
	scratch_load_dwordx2 v[16:17], off, s33 offset:160 ; 8-byte Folded Reload
	v_accvgpr_read_b32 v22, a36
	v_accvgpr_read_b32 v18, a42
	;; [unrolled: 1-line block ×6, first 2 shown]
.LBB11_1069:                            ;   in Loop: Header=BB11_47 Depth=1
	s_or_b64 exec, exec, s[54:55]
	v_and_b32_e32 v4, 14, v7
	v_cndmask_b32_e32 v7, v11, v4, vcc
	v_cmp_ne_u32_e64 s[24:25], 0, v7
	s_mov_b64 s[54:55], 0
	v_mov_b32_e32 v12, 0
                                        ; implicit-def: $vgpr13
                                        ; implicit-def: $vgpr6
	s_and_saveexec_b64 s[56:57], s[24:25]
	s_cbranch_execz .LBB11_1071
; %bb.1070:                             ;   in Loop: Header=BB11_47 Depth=1
	v_sub_u32_e32 v1, v11, v4
	v_cndmask_b32_e32 v1, 0, v1, vcc
	v_cmp_lt_i32_e32 vcc, 0, v10
	v_add3_u32 v12, v9, v8, v1
	s_mov_b64 s[54:55], exec
	v_cndmask_b32_e32 v1, 0, v52, vcc
	v_sub_u32_e32 v1, v1, v10
	v_lshl_add_u32 v13, v1, 6, v0
	v_ashrrev_i32_e32 v0, 31, v13
	v_lshrrev_b32_e32 v0, 26, v0
	v_add_u32_e32 v0, v13, v0
	v_ashrrev_i32_e32 v6, 6, v0
.LBB11_1071:                            ;   in Loop: Header=BB11_47 Depth=1
	s_or_b64 exec, exec, s[56:57]
	v_accvgpr_read_b32 v10, a46
	s_and_b64 s[54:55], s[54:55], exec
	v_accvgpr_read_b32 v11, a47
.LBB11_1072:                            ;   in Loop: Header=BB11_47 Depth=1
	s_or_b64 exec, exec, s[30:31]
	s_and_saveexec_b64 s[24:25], s[54:55]
	s_cbranch_execz .LBB11_1081
.LBB11_1073:                            ;   in Loop: Header=BB11_47 Depth=1
	v_ashrrev_i32_e32 v0, 31, v7
	v_lshrrev_b32_e32 v0, 22, v0
	v_add_u32_e32 v0, v7, v0
	v_mov_b32_e32 v57, v15
	v_ashrrev_i32_e32 v15, 10, v0
	v_sub_u32_e32 v0, v15, v6
	v_ashrrev_i32_e32 v1, 31, v13
	v_cmp_lt_i32_e32 vcc, 0, v0
	v_lshrrev_b32_e32 v14, 26, v1
	s_and_saveexec_b64 s[30:31], vcc
	s_cbranch_execz .LBB11_1077
; %bb.1074:                             ;   in Loop: Header=BB11_47 Depth=1
	s_trap 2
	ds_read_b64 v[4:5], v0
	v_add_u32_e32 v1, v13, v14
	v_and_b32_e32 v1, 0x7fffffc0, v1
	v_sub_u32_e32 v1, v13, v1
	v_lshlrev_b32_e32 v1, 1, v1
	v_lshlrev_b32_e32 v2, 10, v6
	v_accvgpr_write_b32 a12, v26
	v_add3_u32 v6, v1, v12, v2
	v_accvgpr_write_b32 a34, v7
	v_mov_b32_e32 v56, v24
	v_accvgpr_write_b32 a13, v27
	v_ashrrev_i32_e32 v7, 31, v6
	s_mov_b64 s[54:55], 0
	s_waitcnt lgkmcnt(0)
	v_mov_b64_e32 v[8:9], v[4:5]
.LBB11_1075:                            ;   Parent Loop BB11_47 Depth=1
                                        ; =>  This Inner Loop Header: Depth=2
	v_lshl_add_u64 v[18:19], v[6:7], 0, v[8:9]
	s_waitcnt vmcnt(0)
	v_lshl_add_u64 v[16:17], v[6:7], 0, v[10:11]
	flat_load_ushort v1, v[18:19] nt
	flat_load_ushort v2, v[18:19] offset:128 nt
	flat_load_ushort v20, v[18:19] offset:256 nt
	flat_load_ushort v21, v[18:19] offset:384 nt
	flat_load_ushort v22, v[18:19] offset:512 nt
	flat_load_ushort v23, v[18:19] offset:640 nt
	flat_load_ushort v24, v[18:19] offset:768 nt
	s_nop 0
	flat_load_ushort v18, v[18:19] offset:896 nt
	s_nop 0
	flat_load_ushort v19, v[16:17] nt
	flat_load_ushort v25, v[16:17] offset:128 nt
	flat_load_ushort v26, v[16:17] offset:256 nt
	flat_load_ushort v27, v[16:17] offset:384 nt
	flat_load_ushort v30, v[16:17] offset:512 nt
	flat_load_ushort v31, v[16:17] offset:640 nt
	flat_load_ushort v32, v[16:17] offset:768 nt
	flat_load_ushort v33, v[16:17] offset:896 nt
	v_sub_u32_e32 v0, v0, v52
	v_cmp_gt_i32_e32 vcc, 1, v0
	v_lshl_add_u64 v[16:17], v[6:7], 0, v[4:5]
	v_lshl_add_u64 v[10:11], v[10:11], 0, v[28:29]
	;; [unrolled: 1-line block ×4, first 2 shown]
	s_or_b64 s[54:55], vcc, s[54:55]
	s_waitcnt vmcnt(0) lgkmcnt(0)
	v_mul_f16_e32 v1, v1, v19
	v_mul_f16_e32 v2, v2, v25
	;; [unrolled: 1-line block ×8, first 2 shown]
	flat_store_short v[16:17], v1 nt
	flat_store_short v[16:17], v2 offset:128 nt
	flat_store_short v[16:17], v19 offset:256 nt
	;; [unrolled: 1-line block ×7, first 2 shown]
	s_andn2_b64 exec, exec, s[54:55]
	s_cbranch_execnz .LBB11_1075
; %bb.1076:                             ;   in Loop: Header=BB11_47 Depth=1
	s_or_b64 exec, exec, s[54:55]
	scratch_load_dwordx2 v[20:21], off, s33 offset:152 ; 8-byte Folded Reload
	scratch_load_dwordx2 v[16:17], off, s33 offset:160 ; 8-byte Folded Reload
	v_accvgpr_read_b32 v33, a29
	v_accvgpr_read_b32 v30, a32
	;; [unrolled: 1-line block ×11, first 2 shown]
	v_mov_b32_e32 v25, 1
	v_mov_b32_e32 v24, v56
	v_accvgpr_read_b32 v11, a47
	v_accvgpr_read_b32 v7, a34
.LBB11_1077:                            ;   in Loop: Header=BB11_47 Depth=1
	s_or_b64 exec, exec, s[30:31]
	v_lshlrev_b32_e32 v4, 10, v15
	v_cmp_ne_u32_e32 vcc, v7, v4
	s_and_b64 vcc, exec, vcc
	v_mov_b32_e32 v15, v57
	s_mov_b64 exec, vcc
	s_cbranch_execz .LBB11_1081
; %bb.1078:                             ;   in Loop: Header=BB11_47 Depth=1
	v_add_u32_e32 v1, v13, v14
	v_and_b32_e32 v1, 0xffffffc0, v1
	v_sub_u32_e32 v1, v13, v1
	v_lshlrev_b32_e32 v0, 6, v0
	v_sub_u32_e32 v0, v1, v0
	v_ashrrev_i32_e32 v1, 31, v0
	v_lshrrev_b32_e32 v1, 26, v1
	v_add_u32_e32 v1, v0, v1
	v_and_b32_e32 v2, 0x7fffffc0, v1
	v_sub_u32_e32 v0, v0, v2
	v_lshlrev_b32_e32 v1, 1, v1
	v_and_b32_e32 v1, 0xffffff80, v1
	v_lshlrev_b32_e32 v0, 1, v0
	v_add3_u32 v6, v1, v0, v4
	v_sub_u32_e32 v0, v7, v6
	v_cmp_lt_i32_e32 vcc, 1, v0
	s_and_b64 exec, exec, vcc
	s_cbranch_execz .LBB11_1081
; %bb.1079:                             ;   in Loop: Header=BB11_47 Depth=1
	s_trap 2
	ds_read_b64 v[4:5], v0
	v_add_u32_e32 v6, v6, v12
	v_ashrrev_i32_e32 v7, 31, v6
	s_mov_b64 s[30:31], 0
.LBB11_1080:                            ;   Parent Loop BB11_47 Depth=1
                                        ; =>  This Inner Loop Header: Depth=2
	v_lshl_add_u64 v[8:9], v[10:11], 0, v[6:7]
	s_waitcnt lgkmcnt(0)
	v_lshl_add_u64 v[10:11], v[4:5], 0, v[6:7]
	flat_load_ushort v1, v[10:11] nt
	flat_load_ushort v2, v[8:9] nt
	v_sub_u32_e32 v0, v0, v41
	v_cmp_gt_i32_e32 vcc, 2, v0
	v_lshl_add_u64 v[6:7], v[6:7], 0, v[22:23]
	s_or_b64 s[30:31], vcc, s[30:31]
	s_waitcnt vmcnt(0) lgkmcnt(0)
	v_mul_f16_e32 v1, v1, v2
	flat_store_short v[10:11], v1 nt
	v_accvgpr_read_b32 v10, a46
	v_accvgpr_read_b32 v11, a47
	s_andn2_b64 exec, exec, s[30:31]
	s_cbranch_execnz .LBB11_1080
.LBB11_1081:                            ;   in Loop: Header=BB11_47 Depth=1
	s_or_b64 exec, exec, s[24:25]
	v_accvgpr_read_b32 v0, a48
	v_cmp_lt_i32_e64 s[24:25], 0, v0
	s_and_saveexec_b64 s[30:31], s[6:7]
	s_cbranch_execnz .LBB11_1049
.LBB11_1082:                            ;   in Loop: Header=BB11_47 Depth=1
	s_or_b64 exec, exec, s[30:31]
	s_and_saveexec_b64 vcc, s[22:23]
	s_xor_b64 s[30:31], exec, vcc
	s_cbranch_execz .LBB11_1093
.LBB11_1083:                            ;   in Loop: Header=BB11_47 Depth=1
	v_and_b32_e32 v0, 16, v62
	v_cmp_ne_u32_e32 vcc, 0, v0
	s_and_b64 vcc, vcc, s[24:25]
	s_and_saveexec_b64 s[24:25], vcc
	s_cbranch_execz .LBB11_1085
; %bb.1084:                             ;   in Loop: Header=BB11_47 Depth=1
	buffer_wbl2 sc1
	s_waitcnt vmcnt(0) lgkmcnt(0)
	buffer_inv sc1
.LBB11_1085:                            ;   in Loop: Header=BB11_47 Depth=1
	s_or_b64 exec, exec, s[24:25]
	s_andn2_saveexec_b64 s[24:25], s[30:31]
	s_cbranch_execz .LBB11_1112
	s_branch .LBB11_1094
.LBB11_1086:                            ;   in Loop: Header=BB11_47 Depth=1
	s_or_b64 exec, exec, s[60:61]
	s_and_saveexec_b64 vcc, s[62:63]
	s_xor_b64 vcc, exec, vcc
	s_cbranch_execz .LBB11_1088
; %bb.1087:                             ;   in Loop: Header=BB11_47 Depth=1
	ds_write_b32 v0, v25
	s_trap 2
.LBB11_1088:                            ;   in Loop: Header=BB11_47 Depth=1
	s_or_b64 exec, exec, s[58:59]
	;;#ASMSTART
	s_wakeup
	;;#ASMEND
.LBB11_1089:                            ;   in Loop: Header=BB11_47 Depth=1
	s_or_b64 exec, exec, s[56:57]
.LBB11_1090:                            ;   in Loop: Header=BB11_47 Depth=1
	s_andn2_saveexec_b64 vcc, s[54:55]
	s_cbranch_execz .LBB11_1092
; %bb.1091:                             ;   in Loop: Header=BB11_47 Depth=1
	s_waitcnt lgkmcnt(0)
	s_barrier
.LBB11_1092:                            ;   in Loop: Header=BB11_47 Depth=1
	s_or_b64 exec, exec, vcc
	s_or_b64 exec, exec, s[30:31]
	s_and_saveexec_b64 vcc, s[22:23]
	s_xor_b64 s[30:31], exec, vcc
	s_cbranch_execnz .LBB11_1083
.LBB11_1093:                            ;   in Loop: Header=BB11_47 Depth=1
	s_andn2_saveexec_b64 s[24:25], s[30:31]
	s_cbranch_execz .LBB11_1112
.LBB11_1094:                            ;   in Loop: Header=BB11_47 Depth=1
	s_and_saveexec_b64 vcc, s[40:41]
	s_xor_b64 s[30:31], exec, vcc
	s_cbranch_execz .LBB11_1109
; %bb.1095:                             ;   in Loop: Header=BB11_47 Depth=1
	s_and_saveexec_b64 s[54:55], s[14:15]
	s_cbranch_execz .LBB11_1108
; %bb.1096:                             ;   in Loop: Header=BB11_47 Depth=1
	s_mov_b64 s[58:59], exec
	v_mbcnt_lo_u32_b32 v0, s58, 0
	v_mbcnt_hi_u32_b32 v0, s59, v0
	v_cmp_eq_u32_e32 vcc, 0, v0
	;;#ASMSTART
	s_waitcnt lgkmcnt(0) vmcnt(0)
	;;#ASMEND
	s_and_saveexec_b64 s[56:57], vcc
	s_cbranch_execz .LBB11_1098
; %bb.1097:                             ;   in Loop: Header=BB11_47 Depth=1
	s_bcnt1_i32_b64 vcc_lo, s[58:59]
	v_mov_b32_e32 v2, vcc_lo
	ds_add_u64 v0, v[2:3]
	s_trap 2
.LBB11_1098:                            ;   in Loop: Header=BB11_47 Depth=1
	s_or_b64 exec, exec, s[56:57]
	s_trap 2
	ds_read_b64 v[4:5], v0
	v_lshl_add_u64 v[26:27], v[26:27], 0, v[52:53]
	s_waitcnt lgkmcnt(0)
	v_cmp_lt_u64_e32 vcc, v[4:5], v[26:27]
	s_and_saveexec_b64 s[56:57], vcc
	s_cbranch_execz .LBB11_1107
; %bb.1099:                             ;   in Loop: Header=BB11_47 Depth=1
	s_mov_b32 s68, 0
	s_mov_b64 s[58:59], 0
                                        ; implicit-def: $sgpr60_sgpr61
                                        ; implicit-def: $sgpr62_sgpr63
	s_branch .LBB11_1101
.LBB11_1100:                            ;   in Loop: Header=BB11_1101 Depth=2
	s_or_b64 exec, exec, s[66:67]
	s_and_b64 vcc, exec, vcc
	s_or_b64 s[58:59], vcc, s[58:59]
	s_andn2_b64 vcc, s[60:61], exec
	s_and_b64 s[60:61], s[62:63], exec
	s_or_b64 s[60:61], vcc, s[60:61]
	s_andn2_b64 exec, exec, s[58:59]
	s_cbranch_execz .LBB11_1105
.LBB11_1101:                            ;   Parent Loop BB11_47 Depth=1
                                        ; =>  This Inner Loop Header: Depth=2
	s_add_i32 s68, s68, 1
	s_cmpk_lg_i32 s68, 0x2710
	s_cselect_b64 s[64:65], -1, 0
	s_and_b64 vcc, exec, s[64:65]
                                        ; implicit-def: $sgpr66_sgpr67
	s_cbranch_vccnz .LBB11_1103
; %bb.1102:                             ;   in Loop: Header=BB11_1101 Depth=2
	s_trap 2
	ds_read_b64 v[4:5], v0
	s_andn2_b64 s[64:65], s[64:65], exec
	s_mov_b32 s68, 0
	s_mov_b64 s[66:67], -1
	s_waitcnt vmcnt(0) lgkmcnt(0)
	flat_load_dword v0, v[4:5] sc0 sc1
	s_waitcnt vmcnt(0) lgkmcnt(0)
	buffer_inv sc0 sc1
	v_cmp_eq_u32_e32 vcc, 0, v0
	s_and_b64 vcc, vcc, exec
	s_or_b64 s[64:65], s[64:65], vcc
.LBB11_1103:                            ;   in Loop: Header=BB11_1101 Depth=2
	s_andn2_b64 s[62:63], s[62:63], exec
	s_and_b64 s[66:67], s[66:67], exec
	s_mov_b64 vcc, -1
	s_or_b64 s[62:63], s[62:63], s[66:67]
	s_and_saveexec_b64 s[66:67], s[64:65]
	s_cbranch_execz .LBB11_1100
; %bb.1104:                             ;   in Loop: Header=BB11_1101 Depth=2
	s_sleep 1
	s_trap 2
	ds_read_b64 v[4:5], v0
	s_andn2_b64 s[62:63], s[62:63], exec
	s_waitcnt lgkmcnt(0)
	v_cmp_ge_u64_e32 vcc, v[4:5], v[26:27]
	s_orn2_b64 vcc, vcc, exec
	s_branch .LBB11_1100
.LBB11_1105:                            ;   in Loop: Header=BB11_47 Depth=1
	s_or_b64 exec, exec, s[58:59]
	s_and_saveexec_b64 vcc, s[60:61]
	s_xor_b64 vcc, exec, vcc
	s_cbranch_execz .LBB11_1107
; %bb.1106:                             ;   in Loop: Header=BB11_47 Depth=1
	ds_write_b32 v0, v25
	s_trap 2
.LBB11_1107:                            ;   in Loop: Header=BB11_47 Depth=1
	s_or_b64 exec, exec, s[56:57]
	;;#ASMSTART
	s_wakeup
	;;#ASMEND
.LBB11_1108:                            ;   in Loop: Header=BB11_47 Depth=1
	s_or_b64 exec, exec, s[54:55]
.LBB11_1109:                            ;   in Loop: Header=BB11_47 Depth=1
	s_andn2_saveexec_b64 vcc, s[30:31]
	s_cbranch_execz .LBB11_1111
; %bb.1110:                             ;   in Loop: Header=BB11_47 Depth=1
	;;#ASMSTART
	s_waitcnt lgkmcnt(0) vmcnt(0)
	;;#ASMEND
	s_barrier
.LBB11_1111:                            ;   in Loop: Header=BB11_47 Depth=1
	s_or_b64 exec, exec, vcc
.LBB11_1112:                            ;   in Loop: Header=BB11_47 Depth=1
	s_or_b64 exec, exec, s[24:25]
	v_and_b32_e32 v0, 32, v62
	v_cmp_ne_u32_e32 vcc, 0, v0
	s_and_saveexec_b64 s[24:25], vcc
	s_cbranch_execz .LBB11_1114
; %bb.1113:                             ;   in Loop: Header=BB11_47 Depth=1
	v_lshl_add_u64 v[44:45], v[44:45], 0, 4
	flat_store_dwordx2 v[42:43], v[44:45] sc0 sc1
.LBB11_1114:                            ;   in Loop: Header=BB11_47 Depth=1
	s_or_b64 exec, exec, s[24:25]
	v_mov_b32_e32 v8, v15
.LBB11_1115:                            ;   in Loop: Header=BB11_47 Depth=1
	s_or_b64 exec, exec, s[28:29]
	s_and_saveexec_b64 s[28:29], s[26:27]
	s_cbranch_execz .LBB11_46
; %bb.1116:                             ;   in Loop: Header=BB11_47 Depth=1
	v_and_b32_e32 v0, 4, v62
	v_cmp_ne_u32_e32 vcc, 0, v0
	s_mov_b64 s[26:27], -1
	s_and_saveexec_b64 s[24:25], vcc
	s_cbranch_execz .LBB11_1126
; %bb.1117:                             ;   in Loop: Header=BB11_47 Depth=1
	v_lshl_add_u64 v[4:5], v[44:45], 0, 4
	v_cmp_lt_u64_e32 vcc, v[58:59], v[4:5]
	v_mov_b32_e32 v0, 1
	s_and_saveexec_b64 s[26:27], vcc
	s_cbranch_execz .LBB11_1141
; %bb.1118:                             ;   in Loop: Header=BB11_47 Depth=1
	s_mov_b64 s[30:31], 0
	v_mov_b32_e32 v0, 0
                                        ; implicit-def: $sgpr54_sgpr55
	s_branch .LBB11_1122
.LBB11_1119:                            ;   in Loop: Header=BB11_1122 Depth=2
	s_or_b64 exec, exec, s[62:63]
	v_mov_b32_e32 v2, 0
	s_orn2_b64 s[60:61], s[60:61], exec
.LBB11_1120:                            ;   in Loop: Header=BB11_1122 Depth=2
	s_or_b64 exec, exec, s[58:59]
	s_andn2_b64 vcc, s[54:55], exec
	s_and_b64 s[54:55], s[60:61], exec
	s_or_b64 s[54:55], vcc, s[54:55]
	v_mov_b32_e32 v0, v2
.LBB11_1121:                            ;   in Loop: Header=BB11_1122 Depth=2
	s_or_b64 exec, exec, s[56:57]
	s_waitcnt vmcnt(0) lgkmcnt(0)
	v_cmp_ge_u64_e32 vcc, v[58:59], v[4:5]
	s_xor_b64 s[56:57], s[54:55], -1
	s_or_b64 vcc, s[56:57], vcc
	s_and_b64 vcc, exec, vcc
	s_or_b64 s[30:31], vcc, s[30:31]
	s_andn2_b64 exec, exec, s[30:31]
	s_cbranch_execz .LBB11_1140
.LBB11_1122:                            ;   Parent Loop BB11_47 Depth=1
                                        ; =>  This Inner Loop Header: Depth=2
	s_sleep 1
	flat_load_dwordx2 v[58:59], v[42:43] sc0 sc1
	v_and_b32_e32 v1, 64, v62
	v_cmp_eq_u32_e32 vcc, 0, v1
	s_andn2_b64 s[54:55], s[54:55], exec
	s_and_saveexec_b64 s[56:57], vcc
	s_cbranch_execz .LBB11_1121
; %bb.1123:                             ;   in Loop: Header=BB11_1122 Depth=2
	v_add_u32_e32 v2, 1, v0
	v_cmp_lt_i32_e32 vcc, s82, v0
	s_mov_b64 s[60:61], -1
	s_and_saveexec_b64 s[58:59], vcc
	s_cbranch_execz .LBB11_1120
; %bb.1124:                             ;   in Loop: Header=BB11_1122 Depth=2
	s_trap 2
	ds_read_b64 v[6:7], v0
	s_waitcnt vmcnt(0) lgkmcnt(0)
	flat_load_dword v0, v[6:7] sc0 sc1
	s_waitcnt vmcnt(0) lgkmcnt(0)
	buffer_inv sc0 sc1
	v_cmp_ne_u32_e32 vcc, 0, v0
	s_and_saveexec_b64 s[62:63], vcc
	s_cbranch_execz .LBB11_1119
; %bb.1125:                             ;   in Loop: Header=BB11_1122 Depth=2
	v_or_b32_e32 v62, 64, v62
	s_xor_b64 s[60:61], exec, -1
	ds_write_b32 v0, v0
	s_trap 2
	s_branch .LBB11_1119
.LBB11_1126:                            ;   in Loop: Header=BB11_47 Depth=1
	s_or_b64 exec, exec, s[24:25]
	s_xor_b64 s[24:25], s[26:27], -1
	s_and_saveexec_b64 s[26:27], s[24:25]
	s_cbranch_execz .LBB11_1142
.LBB11_1127:                            ;   in Loop: Header=BB11_47 Depth=1
	v_and_b32_e32 v0, 0x100, v62
	v_cmp_ne_u32_e32 vcc, 0, v0
	v_and_b32_e32 v0, 7, v44
	s_mov_b64 s[24:25], -1
                                        ; implicit-def: $vgpr4_vgpr5
	s_and_saveexec_b64 s[30:31], vcc
	s_cbranch_execz .LBB11_1131
; %bb.1128:                             ;   in Loop: Header=BB11_47 Depth=1
	v_mad_u64_u32 v[6:7], s[24:25], v0, 24, v[48:49]
	flat_load_dword v1, v[6:7]
                                        ; implicit-def: $vgpr4_vgpr5
	s_waitcnt vmcnt(0) lgkmcnt(0)
	v_cmp_ne_u32_e32 vcc, 1, v1
	v_cmp_eq_u32_e64 s[24:25], 1, v1
	s_and_saveexec_b64 s[54:55], s[24:25]
	s_cbranch_execz .LBB11_1130
; %bb.1129:                             ;   in Loop: Header=BB11_47 Depth=1
	flat_load_dword v4, v[6:7] offset:4 sc0 sc1
	s_waitcnt vmcnt(0) lgkmcnt(0)
	v_ashrrev_i32_e32 v5, 31, v4
	v_lshrrev_b64 v[4:5], 1, v[4:5]
.LBB11_1130:                            ;   in Loop: Header=BB11_47 Depth=1
	s_or_b64 exec, exec, s[54:55]
	s_orn2_b64 s[24:25], vcc, exec
.LBB11_1131:                            ;   in Loop: Header=BB11_47 Depth=1
	s_or_b64 exec, exec, s[30:31]
	s_and_saveexec_b64 vcc, s[24:25]
; %bb.1132:                             ;   in Loop: Header=BB11_47 Depth=1
	v_mad_i64_i32 v[4:5], s[24:25], v0, v40, 0
; %bb.1133:                             ;   in Loop: Header=BB11_47 Depth=1
	s_or_b64 exec, exec, vcc
	v_lshl_add_u64 v[4:5], v[4:5], 1, v[36:37]
	ds_write_b64 v0, v[4:5] offset:720
	v_and_b32_e32 v0, 0x2000, v62
	v_cmp_ne_u32_e32 vcc, 0, v0
	s_and_saveexec_b64 s[24:25], vcc
	s_cbranch_execz .LBB11_1135
; %bb.1134:                             ;   in Loop: Header=BB11_47 Depth=1
	ds_read_b64 v[4:5], v0 offset:584
	s_waitcnt lgkmcnt(0)
	v_lshl_add_u64 v[4:5], v[4:5], 0, 1
	ds_write_b64 v0, v[4:5] offset:584
.LBB11_1135:                            ;   in Loop: Header=BB11_47 Depth=1
	s_or_b64 exec, exec, s[24:25]
	v_lshl_add_u64 v[44:45], v[44:45], 0, 4
	s_or_b64 exec, exec, s[26:27]
	s_and_saveexec_b64 s[24:25], s[6:7]
	s_cbranch_execnz .LBB11_1143
.LBB11_1136:                            ;   in Loop: Header=BB11_47 Depth=1
	s_or_b64 exec, exec, s[24:25]
	s_and_saveexec_b64 s[24:25], s[22:23]
	s_xor_b64 s[24:25], exec, s[24:25]
	s_cbranch_execz .LBB11_1161
.LBB11_1137:                            ;   in Loop: Header=BB11_47 Depth=1
	s_trap 2
	ds_read_b32 v0, v0
	v_sub_u32_e32 v1, v24, v8
	v_min_i32_e32 v1, v15, v1
	v_cmp_lt_i32_e32 vcc, 0, v1
	s_waitcnt lgkmcnt(0)
	v_readfirstlane_b32 s26, v0
	s_cmp_eq_u32 s26, 0
	s_cselect_b64 s[26:27], -1, 0
	v_and_b32_e32 v0, 16, v62
	s_and_b64 s[26:27], vcc, s[26:27]
	v_cmp_ne_u32_e32 vcc, 0, v0
	s_and_b64 vcc, vcc, s[26:27]
	s_and_saveexec_b64 s[26:27], vcc
	s_cbranch_execz .LBB11_1139
; %bb.1138:                             ;   in Loop: Header=BB11_47 Depth=1
	buffer_wbl2 sc1
	s_waitcnt vmcnt(0)
	buffer_inv sc1
.LBB11_1139:                            ;   in Loop: Header=BB11_47 Depth=1
	s_or_b64 exec, exec, s[26:27]
	s_andn2_saveexec_b64 s[24:25], s[24:25]
	s_cbranch_execz .LBB11_1180
	s_branch .LBB11_1162
.LBB11_1140:                            ;   in Loop: Header=BB11_47 Depth=1
	s_or_b64 exec, exec, s[30:31]
	v_and_b32_e32 v0, 4, v62
.LBB11_1141:                            ;   in Loop: Header=BB11_47 Depth=1
	s_or_b64 exec, exec, s[26:27]
	v_cmp_eq_u32_e32 vcc, 0, v0
	s_orn2_b64 s[26:27], vcc, exec
	;;#ASMSTART
	s_wakeup
	;;#ASMEND
	s_or_b64 exec, exec, s[24:25]
	s_xor_b64 s[24:25], s[26:27], -1
	s_and_saveexec_b64 s[26:27], s[24:25]
	s_cbranch_execnz .LBB11_1127
.LBB11_1142:                            ;   in Loop: Header=BB11_47 Depth=1
	s_or_b64 exec, exec, s[26:27]
	s_and_saveexec_b64 s[24:25], s[6:7]
	s_cbranch_execz .LBB11_1136
.LBB11_1143:                            ;   in Loop: Header=BB11_47 Depth=1
	s_and_saveexec_b64 s[26:27], s[40:41]
	s_xor_b64 s[26:27], exec, s[26:27]
	s_cbranch_execz .LBB11_1158
; %bb.1144:                             ;   in Loop: Header=BB11_47 Depth=1
	s_and_saveexec_b64 s[30:31], s[14:15]
	s_cbranch_execz .LBB11_1157
; %bb.1145:                             ;   in Loop: Header=BB11_47 Depth=1
	s_mov_b64 s[56:57], exec
	v_mbcnt_lo_u32_b32 v0, s56, 0
	v_mbcnt_hi_u32_b32 v0, s57, v0
	v_cmp_eq_u32_e32 vcc, 0, v0
	s_waitcnt lgkmcnt(0)
	s_and_saveexec_b64 s[54:55], vcc
	s_cbranch_execz .LBB11_1147
; %bb.1146:                             ;   in Loop: Header=BB11_47 Depth=1
	s_bcnt1_i32_b64 vcc_lo, s[56:57]
	v_mov_b32_e32 v2, vcc_lo
	ds_add_u64 v0, v[2:3]
	s_trap 2
.LBB11_1147:                            ;   in Loop: Header=BB11_47 Depth=1
	s_or_b64 exec, exec, s[54:55]
	s_trap 2
	ds_read_b64 v[4:5], v0
	v_lshl_add_u64 v[26:27], v[26:27], 0, v[52:53]
	s_waitcnt lgkmcnt(0)
	v_cmp_lt_u64_e32 vcc, v[4:5], v[26:27]
	s_and_saveexec_b64 s[54:55], vcc
	s_cbranch_execz .LBB11_1156
; %bb.1148:                             ;   in Loop: Header=BB11_47 Depth=1
	s_mov_b32 s66, 0
	s_mov_b64 s[56:57], 0
                                        ; implicit-def: $sgpr58_sgpr59
                                        ; implicit-def: $sgpr60_sgpr61
	s_branch .LBB11_1150
.LBB11_1149:                            ;   in Loop: Header=BB11_1150 Depth=2
	s_or_b64 exec, exec, s[64:65]
	s_and_b64 vcc, exec, vcc
	s_or_b64 s[56:57], vcc, s[56:57]
	s_andn2_b64 vcc, s[58:59], exec
	s_and_b64 s[58:59], s[60:61], exec
	s_or_b64 s[58:59], vcc, s[58:59]
	s_andn2_b64 exec, exec, s[56:57]
	s_cbranch_execz .LBB11_1154
.LBB11_1150:                            ;   Parent Loop BB11_47 Depth=1
                                        ; =>  This Inner Loop Header: Depth=2
	s_add_i32 s66, s66, 1
	s_cmpk_lg_i32 s66, 0x2710
	s_cselect_b64 s[62:63], -1, 0
	s_and_b64 vcc, exec, s[62:63]
                                        ; implicit-def: $sgpr64_sgpr65
	s_cbranch_vccnz .LBB11_1152
; %bb.1151:                             ;   in Loop: Header=BB11_1150 Depth=2
	s_trap 2
	ds_read_b64 v[4:5], v0
	s_andn2_b64 s[62:63], s[62:63], exec
	s_mov_b32 s66, 0
	s_mov_b64 s[64:65], -1
	s_waitcnt vmcnt(0) lgkmcnt(0)
	flat_load_dword v0, v[4:5] sc0 sc1
	s_waitcnt vmcnt(0) lgkmcnt(0)
	buffer_inv sc0 sc1
	v_cmp_eq_u32_e32 vcc, 0, v0
	s_and_b64 vcc, vcc, exec
	s_or_b64 s[62:63], s[62:63], vcc
.LBB11_1152:                            ;   in Loop: Header=BB11_1150 Depth=2
	s_andn2_b64 s[60:61], s[60:61], exec
	s_and_b64 s[64:65], s[64:65], exec
	s_mov_b64 vcc, -1
	s_or_b64 s[60:61], s[60:61], s[64:65]
	s_and_saveexec_b64 s[64:65], s[62:63]
	s_cbranch_execz .LBB11_1149
; %bb.1153:                             ;   in Loop: Header=BB11_1150 Depth=2
	s_sleep 1
	s_trap 2
	ds_read_b64 v[4:5], v0
	s_andn2_b64 s[60:61], s[60:61], exec
	s_waitcnt lgkmcnt(0)
	v_cmp_ge_u64_e32 vcc, v[4:5], v[26:27]
	s_orn2_b64 vcc, vcc, exec
	s_branch .LBB11_1149
.LBB11_1154:                            ;   in Loop: Header=BB11_47 Depth=1
	s_or_b64 exec, exec, s[56:57]
	s_and_saveexec_b64 vcc, s[58:59]
	s_xor_b64 vcc, exec, vcc
	s_cbranch_execz .LBB11_1156
; %bb.1155:                             ;   in Loop: Header=BB11_47 Depth=1
	ds_write_b32 v0, v25
	s_trap 2
.LBB11_1156:                            ;   in Loop: Header=BB11_47 Depth=1
	s_or_b64 exec, exec, s[54:55]
	;;#ASMSTART
	s_wakeup
	;;#ASMEND
.LBB11_1157:                            ;   in Loop: Header=BB11_47 Depth=1
	s_or_b64 exec, exec, s[30:31]
.LBB11_1158:                            ;   in Loop: Header=BB11_47 Depth=1
	s_andn2_saveexec_b64 s[26:27], s[26:27]
	s_cbranch_execz .LBB11_1160
; %bb.1159:                             ;   in Loop: Header=BB11_47 Depth=1
	s_waitcnt lgkmcnt(0)
	s_barrier
.LBB11_1160:                            ;   in Loop: Header=BB11_47 Depth=1
	s_or_b64 exec, exec, s[26:27]
	s_or_b64 exec, exec, s[24:25]
	s_and_saveexec_b64 s[24:25], s[22:23]
	s_xor_b64 s[24:25], exec, s[24:25]
	s_cbranch_execnz .LBB11_1137
.LBB11_1161:                            ;   in Loop: Header=BB11_47 Depth=1
	s_andn2_saveexec_b64 s[24:25], s[24:25]
	s_cbranch_execz .LBB11_1180
.LBB11_1162:                            ;   in Loop: Header=BB11_47 Depth=1
	s_and_saveexec_b64 s[26:27], s[40:41]
	s_xor_b64 s[26:27], exec, s[26:27]
	s_cbranch_execz .LBB11_1177
; %bb.1163:                             ;   in Loop: Header=BB11_47 Depth=1
	s_and_saveexec_b64 s[30:31], s[14:15]
	s_cbranch_execz .LBB11_1176
; %bb.1164:                             ;   in Loop: Header=BB11_47 Depth=1
	s_mov_b64 s[56:57], exec
	v_mbcnt_lo_u32_b32 v0, s56, 0
	v_mbcnt_hi_u32_b32 v0, s57, v0
	v_cmp_eq_u32_e32 vcc, 0, v0
	;;#ASMSTART
	s_waitcnt lgkmcnt(0) vmcnt(0)
	;;#ASMEND
	s_and_saveexec_b64 s[54:55], vcc
	s_cbranch_execz .LBB11_1166
; %bb.1165:                             ;   in Loop: Header=BB11_47 Depth=1
	s_bcnt1_i32_b64 vcc_lo, s[56:57]
	v_mov_b32_e32 v2, vcc_lo
	ds_add_u64 v0, v[2:3]
	s_trap 2
.LBB11_1166:                            ;   in Loop: Header=BB11_47 Depth=1
	s_or_b64 exec, exec, s[54:55]
	s_trap 2
	ds_read_b64 v[0:1], v0
	v_lshl_add_u64 v[26:27], v[26:27], 0, v[52:53]
	s_waitcnt lgkmcnt(0)
	v_cmp_lt_u64_e32 vcc, v[0:1], v[26:27]
	s_and_saveexec_b64 s[54:55], vcc
	s_cbranch_execz .LBB11_1175
; %bb.1167:                             ;   in Loop: Header=BB11_47 Depth=1
	s_mov_b32 s66, 0
	s_mov_b64 s[56:57], 0
                                        ; implicit-def: $sgpr58_sgpr59
                                        ; implicit-def: $sgpr60_sgpr61
	s_branch .LBB11_1169
.LBB11_1168:                            ;   in Loop: Header=BB11_1169 Depth=2
	s_or_b64 exec, exec, s[64:65]
	s_and_b64 vcc, exec, vcc
	s_or_b64 s[56:57], vcc, s[56:57]
	s_andn2_b64 vcc, s[58:59], exec
	s_and_b64 s[58:59], s[60:61], exec
	s_or_b64 s[58:59], vcc, s[58:59]
	s_andn2_b64 exec, exec, s[56:57]
	s_cbranch_execz .LBB11_1173
.LBB11_1169:                            ;   Parent Loop BB11_47 Depth=1
                                        ; =>  This Inner Loop Header: Depth=2
	s_add_i32 s66, s66, 1
	s_cmpk_lg_i32 s66, 0x2710
	s_cselect_b64 s[62:63], -1, 0
	s_and_b64 vcc, exec, s[62:63]
                                        ; implicit-def: $sgpr64_sgpr65
	s_cbranch_vccnz .LBB11_1171
; %bb.1170:                             ;   in Loop: Header=BB11_1169 Depth=2
	s_trap 2
	ds_read_b64 v[0:1], v0
	s_andn2_b64 s[62:63], s[62:63], exec
	s_mov_b32 s66, 0
	s_mov_b64 s[64:65], -1
	s_waitcnt vmcnt(0) lgkmcnt(0)
	flat_load_dword v0, v[0:1] sc0 sc1
	s_waitcnt vmcnt(0) lgkmcnt(0)
	buffer_inv sc0 sc1
	v_cmp_eq_u32_e32 vcc, 0, v0
	s_and_b64 vcc, vcc, exec
	s_or_b64 s[62:63], s[62:63], vcc
.LBB11_1171:                            ;   in Loop: Header=BB11_1169 Depth=2
	s_andn2_b64 s[60:61], s[60:61], exec
	s_and_b64 s[64:65], s[64:65], exec
	s_mov_b64 vcc, -1
	s_or_b64 s[60:61], s[60:61], s[64:65]
	s_and_saveexec_b64 s[64:65], s[62:63]
	s_cbranch_execz .LBB11_1168
; %bb.1172:                             ;   in Loop: Header=BB11_1169 Depth=2
	s_sleep 1
	s_trap 2
	ds_read_b64 v[0:1], v0
	s_andn2_b64 s[60:61], s[60:61], exec
	s_waitcnt lgkmcnt(0)
	v_cmp_ge_u64_e32 vcc, v[0:1], v[26:27]
	s_orn2_b64 vcc, vcc, exec
	s_branch .LBB11_1168
.LBB11_1173:                            ;   in Loop: Header=BB11_47 Depth=1
	s_or_b64 exec, exec, s[56:57]
	s_and_saveexec_b64 vcc, s[58:59]
	s_xor_b64 vcc, exec, vcc
	s_cbranch_execz .LBB11_1175
; %bb.1174:                             ;   in Loop: Header=BB11_47 Depth=1
	ds_write_b32 v0, v25
	s_trap 2
.LBB11_1175:                            ;   in Loop: Header=BB11_47 Depth=1
	s_or_b64 exec, exec, s[54:55]
	;;#ASMSTART
	s_wakeup
	;;#ASMEND
.LBB11_1176:                            ;   in Loop: Header=BB11_47 Depth=1
	s_or_b64 exec, exec, s[30:31]
.LBB11_1177:                            ;   in Loop: Header=BB11_47 Depth=1
	s_andn2_saveexec_b64 s[26:27], s[26:27]
	s_cbranch_execz .LBB11_1179
; %bb.1178:                             ;   in Loop: Header=BB11_47 Depth=1
	;;#ASMSTART
	s_waitcnt lgkmcnt(0) vmcnt(0)
	;;#ASMEND
	s_barrier
.LBB11_1179:                            ;   in Loop: Header=BB11_47 Depth=1
	s_or_b64 exec, exec, s[26:27]
.LBB11_1180:                            ;   in Loop: Header=BB11_47 Depth=1
	s_or_b64 exec, exec, s[24:25]
	v_and_b32_e32 v0, 32, v62
	v_cmp_ne_u32_e32 vcc, 0, v0
	s_and_saveexec_b64 s[24:25], vcc
	s_cbranch_execz .LBB11_45
; %bb.1181:                             ;   in Loop: Header=BB11_47 Depth=1
	v_lshl_add_u64 v[44:45], v[44:45], 0, 4
	flat_store_dwordx2 v[42:43], v[44:45] sc0 sc1
	s_branch .LBB11_45
.LBB11_1182:
	s_or_b64 exec, exec, s[38:39]
	v_accvgpr_read_b32 v23, a11
	v_accvgpr_read_b32 v1, a0
	;; [unrolled: 1-line block ×3, first 2 shown]
	s_waitcnt vmcnt(0)
	v_accvgpr_read_b32 v16, a2
	v_accvgpr_read_b32 v22, a10
.LBB11_1183:
	s_or_b64 exec, exec, s[36:37]
	v_and_b32_e32 v0, 0x800, v62
	v_cmp_eq_u32_e32 vcc, 0, v0
	s_and_saveexec_b64 s[0:1], vcc
	s_cbranch_execz .LBB11_1218
; %bb.1184:
	v_and_b32_e32 v0, 48, v62
	v_cmp_ne_u32_e32 vcc, 0, v0
	s_and_saveexec_b64 s[2:3], vcc
	s_cbranch_execz .LBB11_1186
; %bb.1185:
	flat_store_dwordx2 v[22:23], v[44:45] offset:104
.LBB11_1186:
	s_or_b64 exec, exec, s[2:3]
	s_movk_i32 s2, 0x88
	v_and_b32_e32 v0, 0x88, v62
	v_cmp_eq_u32_e32 vcc, s2, v0
	s_and_saveexec_b64 s[2:3], vcc
	s_cbranch_execz .LBB11_1198
; %bb.1187:
	v_and_b32_e32 v0, 7, v44
	v_xor_b32_e32 v0, 4, v0
	v_mad_u64_u32 v[2:3], s[4:5], v0, 24, v[48:49]
	v_lshl_add_u64 v[2:3], v[2:3], 0, 8
	s_mov_b64 s[4:5], 0
	v_mov_b32_e32 v0, 0
	s_movk_i32 s20, 0x270e
                                        ; implicit-def: $sgpr6_sgpr7
	s_branch .LBB11_1192
.LBB11_1188:                            ;   in Loop: Header=BB11_1192 Depth=1
	s_or_b64 exec, exec, s[18:19]
	v_mov_b32_e32 v4, 0
	s_orn2_b64 s[16:17], s[16:17], exec
.LBB11_1189:                            ;   in Loop: Header=BB11_1192 Depth=1
	s_or_b64 exec, exec, s[14:15]
	s_and_b64 s[14:15], s[16:17], exec
	v_mov_b32_e32 v0, v4
.LBB11_1190:                            ;   in Loop: Header=BB11_1192 Depth=1
	s_or_b64 exec, exec, s[12:13]
	s_xor_b64 s[12:13], s[14:15], -1
	s_andn2_b64 s[6:7], s[6:7], exec
	s_and_b64 s[12:13], s[12:13], exec
	s_or_b64 s[6:7], s[6:7], s[12:13]
.LBB11_1191:                            ;   in Loop: Header=BB11_1192 Depth=1
	s_or_b64 exec, exec, s[10:11]
	s_and_b64 s[10:11], exec, s[6:7]
	s_or_b64 s[4:5], s[10:11], s[4:5]
	s_andn2_b64 exec, exec, s[4:5]
	s_cbranch_execz .LBB11_1197
.LBB11_1192:                            ; =>This Inner Loop Header: Depth=1
	flat_load_dwordx2 v[4:5], v[2:3] sc0 sc1
	s_waitcnt vmcnt(0)
	s_or_b64 s[6:7], s[6:7], exec
	s_waitcnt lgkmcnt(0)
	v_cmp_ne_u64_e32 vcc, -1, v[4:5]
	s_and_saveexec_b64 s[10:11], vcc
	s_cbranch_execz .LBB11_1191
; %bb.1193:                             ;   in Loop: Header=BB11_1192 Depth=1
	v_and_b32_e32 v4, 64, v62
	v_cmp_eq_u32_e32 vcc, 0, v4
	s_mov_b64 s[14:15], 0
	s_and_saveexec_b64 s[12:13], vcc
	s_cbranch_execz .LBB11_1190
; %bb.1194:                             ;   in Loop: Header=BB11_1192 Depth=1
	v_add_u32_e32 v4, 1, v0
	v_cmp_lt_i32_e32 vcc, s20, v0
	s_mov_b64 s[16:17], -1
	s_and_saveexec_b64 s[14:15], vcc
	s_cbranch_execz .LBB11_1189
; %bb.1195:                             ;   in Loop: Header=BB11_1192 Depth=1
	s_trap 2
	ds_read_b64 v[4:5], v0
	s_waitcnt lgkmcnt(0)
	flat_load_dword v0, v[4:5] sc0 sc1
	s_waitcnt vmcnt(0) lgkmcnt(0)
	buffer_inv sc0 sc1
	v_cmp_ne_u32_e32 vcc, 0, v0
	s_and_saveexec_b64 s[18:19], vcc
	s_cbranch_execz .LBB11_1188
; %bb.1196:                             ;   in Loop: Header=BB11_1192 Depth=1
	v_or_b32_e32 v62, 64, v62
	s_xor_b64 s[16:17], exec, -1
	ds_write_b32 v0, v0
	s_trap 2
	s_branch .LBB11_1188
.LBB11_1197:
	s_or_b64 exec, exec, s[4:5]
.LBB11_1198:
	s_or_b64 exec, exec, s[2:3]
	v_and_b32_e32 v0, 0x2000, v62
	v_cmp_ne_u32_e32 vcc, 0, v0
	s_and_saveexec_b64 s[2:3], vcc
	s_cbranch_execz .LBB11_1200
; %bb.1199:
	s_trap 2
	ds_read_b64 v[2:3], v0
	v_accvgpr_read_b32 v4, a8
	v_accvgpr_read_b32 v5, a9
	s_waitcnt lgkmcnt(0)
	flat_store_dwordx2 v[4:5], v[2:3] offset:16
.LBB11_1200:
	s_or_b64 exec, exec, s[2:3]
	v_cmp_ne_u32_e32 vcc, 64, v1
	s_and_b64 exec, exec, vcc
	s_cbranch_execz .LBB11_1218
; %bb.1201:
	v_cmp_ne_u32_sdwa s[2:3], v16, v1 src0_sel:WORD_0 src1_sel:DWORD
	s_and_saveexec_b64 s[4:5], s[2:3]
	s_xor_b64 s[2:3], exec, s[4:5]
	s_cbranch_execz .LBB11_1216
; %bb.1202:
	v_and_b32_e32 v0, 63, v31
	v_cmp_eq_u32_e32 vcc, 0, v0
	s_and_saveexec_b64 s[4:5], vcc
	s_cbranch_execz .LBB11_1215
; %bb.1203:
	s_mov_b64 s[10:11], exec
	v_mbcnt_lo_u32_b32 v0, s10, 0
	v_mbcnt_hi_u32_b32 v0, s11, v0
	v_cmp_eq_u32_e32 vcc, 0, v0
	s_waitcnt lgkmcnt(0)
	s_and_saveexec_b64 s[6:7], vcc
	s_cbranch_execz .LBB11_1205
; %bb.1204:
	s_bcnt1_i32_b64 s10, s[10:11]
	v_mov_b32_e32 v2, s10
	v_mov_b32_e32 v3, 0
	ds_add_u64 v0, v[2:3]
	s_trap 2
.LBB11_1205:
	s_or_b64 exec, exec, s[6:7]
	v_ashrrev_i32_e32 v0, 31, v1
	v_lshrrev_b32_e32 v0, 26, v0
	s_trap 2
	ds_read_b64 v[2:3], v0
	v_add_u32_e32 v0, v1, v0
	v_ashrrev_i32_e32 v0, 6, v0
	v_ashrrev_i32_e32 v1, 31, v0
	v_lshl_add_u64 v[0:1], v[26:27], 0, v[0:1]
	s_waitcnt lgkmcnt(0)
	v_cmp_lt_u64_e32 vcc, v[2:3], v[0:1]
	s_and_saveexec_b64 s[6:7], vcc
	s_cbranch_execz .LBB11_1214
; %bb.1206:
	s_mov_b32 s22, 0
	s_mov_b64 s[10:11], 0
                                        ; implicit-def: $sgpr12_sgpr13
                                        ; implicit-def: $sgpr14_sgpr15
	s_branch .LBB11_1208
.LBB11_1207:                            ;   in Loop: Header=BB11_1208 Depth=1
	s_or_b64 exec, exec, s[20:21]
	s_and_b64 s[16:17], exec, s[18:19]
	s_or_b64 s[10:11], s[16:17], s[10:11]
	s_andn2_b64 s[12:13], s[12:13], exec
	s_and_b64 s[16:17], s[14:15], exec
	s_or_b64 s[12:13], s[12:13], s[16:17]
	s_andn2_b64 exec, exec, s[10:11]
	s_cbranch_execz .LBB11_1212
.LBB11_1208:                            ; =>This Inner Loop Header: Depth=1
	s_add_i32 s22, s22, 1
	s_cmpk_lg_i32 s22, 0x2710
	s_cselect_b64 s[16:17], -1, 0
	s_and_b64 vcc, exec, s[16:17]
                                        ; implicit-def: $sgpr20_sgpr21
	s_cbranch_vccnz .LBB11_1210
; %bb.1209:                             ;   in Loop: Header=BB11_1208 Depth=1
	s_trap 2
	ds_read_b64 v[2:3], v0
	s_andn2_b64 s[16:17], s[16:17], exec
	s_mov_b32 s22, 0
	s_mov_b64 s[20:21], -1
	s_waitcnt vmcnt(0) lgkmcnt(0)
	flat_load_dword v2, v[2:3] sc0 sc1
	s_waitcnt vmcnt(0) lgkmcnt(0)
	buffer_inv sc0 sc1
	v_cmp_eq_u32_e32 vcc, 0, v2
	s_and_b64 s[18:19], vcc, exec
	s_or_b64 s[16:17], s[16:17], s[18:19]
.LBB11_1210:                            ;   in Loop: Header=BB11_1208 Depth=1
	s_andn2_b64 s[14:15], s[14:15], exec
	s_and_b64 s[20:21], s[20:21], exec
	s_mov_b64 s[18:19], -1
	s_or_b64 s[14:15], s[14:15], s[20:21]
	s_and_saveexec_b64 s[20:21], s[16:17]
	s_cbranch_execz .LBB11_1207
; %bb.1211:                             ;   in Loop: Header=BB11_1208 Depth=1
	s_sleep 1
	s_trap 2
	ds_read_b64 v[2:3], v0
	s_andn2_b64 s[14:15], s[14:15], exec
	s_waitcnt lgkmcnt(0)
	v_cmp_ge_u64_e32 vcc, v[2:3], v[0:1]
	s_orn2_b64 s[18:19], vcc, exec
	s_branch .LBB11_1207
.LBB11_1212:
	s_or_b64 exec, exec, s[10:11]
	s_and_saveexec_b64 s[10:11], s[12:13]
	s_xor_b64 s[10:11], exec, s[10:11]
	s_cbranch_execz .LBB11_1214
; %bb.1213:
	v_mov_b32_e32 v0, 1
	ds_write_b32 v0, v0
	s_trap 2
.LBB11_1214:
	s_or_b64 exec, exec, s[6:7]
	;;#ASMSTART
	s_wakeup
	;;#ASMEND
.LBB11_1215:
	s_or_b64 exec, exec, s[4:5]
.LBB11_1216:
	s_andn2_saveexec_b64 s[2:3], s[2:3]
	s_cbranch_execz .LBB11_1218
; %bb.1217:
	s_waitcnt lgkmcnt(0)
	s_barrier
.LBB11_1218:
	s_or_b64 exec, exec, s[0:1]
.LBB11_1219:
	s_andn2_saveexec_b64 s[22:23], s[34:35]
	s_cbranch_execz .LBB11_1221
; %bb.1220:
	s_getpc_b64 s[0:1]
	s_add_u32 s0, s0, __PRETTY_FUNCTION__._ZN10PrimitivesI6__half8FuncProdIS0_E12FanSymmetricILi1EELi0E11ProtoSimpleILi1ELi4ELi1ELi2ELi0ELi0EELi0ELb0ELi0ELi0ELi1EEC2EiiPKiS9_PKvPvmhhhP15ncclDevWorkCollP14ncclDevWorkP2pii@rel32@lo+4
	s_addc_u32 s1, s1, __PRETTY_FUNCTION__._ZN10PrimitivesI6__half8FuncProdIS0_E12FanSymmetricILi1EELi0E11ProtoSimpleILi1ELi4ELi1ELi2ELi0ELi0EELi0ELb0ELi0ELi0ELi1EEC2EiiPKiS9_PKvPvmhhhP15ncclDevWorkCollP14ncclDevWorkP2pii@rel32@hi+12
	v_mov_b32_e32 v0, s0
	v_mov_b32_e32 v1, s1
	s_getpc_b64 s[2:3]
	s_add_u32 s2, s2, __assert_fail@rel32@lo+4
	s_addc_u32 s3, s3, __assert_fail@rel32@hi+12
	s_swappc_b64 s[30:31], s[2:3]
	; divergent unreachable
.LBB11_1221:
	s_or_b64 exec, exec, s[22:23]
	scratch_load_dword a55, off, s33        ; 4-byte Folded Reload
	scratch_load_dword a54, off, s33 offset:4 ; 4-byte Folded Reload
	scratch_load_dword a52, off, s33 offset:8 ; 4-byte Folded Reload
	scratch_load_dword a51, off, s33 offset:12 ; 4-byte Folded Reload
	scratch_load_dword a50, off, s33 offset:16 ; 4-byte Folded Reload
	scratch_load_dword a49, off, s33 offset:20 ; 4-byte Folded Reload
	scratch_load_dword a48, off, s33 offset:24 ; 4-byte Folded Reload
	scratch_load_dword a47, off, s33 offset:28 ; 4-byte Folded Reload
	scratch_load_dword a46, off, s33 offset:32 ; 4-byte Folded Reload
	scratch_load_dword a45, off, s33 offset:36 ; 4-byte Folded Reload
	scratch_load_dword a44, off, s33 offset:40 ; 4-byte Folded Reload
	scratch_load_dword a43, off, s33 offset:44 ; 4-byte Folded Reload
	scratch_load_dword a42, off, s33 offset:48 ; 4-byte Folded Reload
	scratch_load_dword a41, off, s33 offset:52 ; 4-byte Folded Reload
	scratch_load_dword a40, off, s33 offset:56 ; 4-byte Folded Reload
	scratch_load_dword a39, off, s33 offset:60 ; 4-byte Folded Reload
	scratch_load_dword a38, off, s33 offset:64 ; 4-byte Folded Reload
	scratch_load_dword a37, off, s33 offset:68 ; 4-byte Folded Reload
	scratch_load_dword a36, off, s33 offset:72 ; 4-byte Folded Reload
	scratch_load_dword a35, off, s33 offset:76 ; 4-byte Folded Reload
	scratch_load_dword a34, off, s33 offset:80 ; 4-byte Folded Reload
	scratch_load_dword a33, off, s33 offset:84 ; 4-byte Folded Reload
	scratch_load_dword a32, off, s33 offset:88 ; 4-byte Folded Reload
	scratch_load_dword v62, off, s33 offset:92 ; 4-byte Folded Reload
	scratch_load_dword v61, off, s33 offset:96 ; 4-byte Folded Reload
	scratch_load_dword v60, off, s33 offset:100 ; 4-byte Folded Reload
	scratch_load_dword v59, off, s33 offset:104 ; 4-byte Folded Reload
	scratch_load_dword v58, off, s33 offset:108 ; 4-byte Folded Reload
	scratch_load_dword v57, off, s33 offset:112 ; 4-byte Folded Reload
	scratch_load_dword v56, off, s33 offset:116 ; 4-byte Folded Reload
	scratch_load_dword v47, off, s33 offset:120 ; 4-byte Folded Reload
	scratch_load_dword v46, off, s33 offset:124 ; 4-byte Folded Reload
	scratch_load_dword v45, off, s33 offset:128 ; 4-byte Folded Reload
	scratch_load_dword v44, off, s33 offset:132 ; 4-byte Folded Reload
	s_waitcnt lgkmcnt(0)
	scratch_load_dword v43, off, s33 offset:136 ; 4-byte Folded Reload
	scratch_load_dword v42, off, s33 offset:140 ; 4-byte Folded Reload
	;; [unrolled: 1-line block ×4, first 2 shown]
	v_readlane_b32 s30, v63, 55
	v_readlane_b32 s31, v63, 56
	;; [unrolled: 1-line block ×58, first 2 shown]
	s_or_saveexec_b64 s[2:3], -1
	scratch_load_dword v63, off, s33 offset:168 ; 4-byte Folded Reload
	s_mov_b64 exec, s[2:3]
	s_addk_i32 s32, 0xff50
	s_mov_b32 s33, s0
	s_waitcnt vmcnt(0)
	s_setpc_b64 s[30:31]
.Lfunc_end11:
	.size	_ZN12_GLOBAL__N_17runRingI6__half8FuncProdIS1_E11ProtoSimpleILi1ELi4ELi1ELi2ELi0ELi0EELi0ELi1ELi2ELi0EEEviiP15ncclDevWorkColl, .Lfunc_end11-_ZN12_GLOBAL__N_17runRingI6__half8FuncProdIS1_E11ProtoSimpleILi1ELi4ELi1ELi2ELi0ELi0EELi0ELi1ELi2ELi0EEEviiP15ncclDevWorkColl
                                        ; -- End function
	.section	.AMDGPU.csdata,"",@progbits
; Function info:
; codeLenInByte = 44064
; NumSgprs: 95
; NumVgprs: 64
; NumAgprs: 56
; TotalNumVgprs: 120
; ScratchSize: 240
; MemoryBound: 1
	.text
	.p2align	2                               ; -- Begin function _ZN12_GLOBAL__N_17runRingI6__half8FuncProdIS1_E11ProtoSimpleILi2ELi2ELi1ELi2ELi0ELi0EELi0ELi1ELi2ELi0EEEviiP15ncclDevWorkColl
	.type	_ZN12_GLOBAL__N_17runRingI6__half8FuncProdIS1_E11ProtoSimpleILi2ELi2ELi1ELi2ELi0ELi0EELi0ELi1ELi2ELi0EEEviiP15ncclDevWorkColl,@function
_ZN12_GLOBAL__N_17runRingI6__half8FuncProdIS1_E11ProtoSimpleILi2ELi2ELi1ELi2ELi0ELi0EELi0ELi1ELi2ELi0EEEviiP15ncclDevWorkColl: ; @_ZN12_GLOBAL__N_17runRingI6__half8FuncProdIS1_E11ProtoSimpleILi2ELi2ELi1ELi2ELi0ELi0EELi0ELi1ELi2ELi0EEEviiP15ncclDevWorkColl
; %bb.0:
	s_waitcnt vmcnt(0) expcnt(0) lgkmcnt(0)
	s_mov_b32 s0, s33
	s_mov_b32 s33, s32
	s_or_saveexec_b64 s[2:3], -1
	scratch_store_dword off, v63, s33 offset:172 ; 4-byte Folded Spill
	s_mov_b64 exec, s[2:3]
	v_writelane_b32 v63, s0, 58
	s_addk_i32 s32, 0xc0
	scratch_store_dword off, v40, s33 offset:152 ; 4-byte Folded Spill
	scratch_store_dword off, v41, s33 offset:148 ; 4-byte Folded Spill
	;; [unrolled: 1-line block ×38, first 2 shown]
	scratch_store_dword off, a55, s33       ; 4-byte Folded Spill
	v_writelane_b32 v63, s34, 0
	v_writelane_b32 v63, s35, 1
	;; [unrolled: 1-line block ×57, first 2 shown]
	s_nop 1
	v_writelane_b32 v63, s31, 57
	s_trap 2
	flat_load_dword v6, v[2:3]
	ds_read_b32 v7, v0
	v_mov_b32_e32 v58, v0
                                        ; implicit-def: $vgpr4_vgpr5
                                        ; implicit-def: $agpr4_agpr5
                                        ; implicit-def: $vgpr18_vgpr19
	s_waitcnt lgkmcnt(0)
	v_readfirstlane_b32 s72, v7
	s_waitcnt vmcnt(0)
	v_cmp_ne_u32_sdwa s[0:1], v6, v7 src0_sel:BYTE_0 src1_sel:DWORD
	s_and_saveexec_b64 s[2:3], s[0:1]
	s_xor_b64 s[0:1], exec, s[2:3]
	s_cbranch_execz .LBB12_6
; %bb.1:
	v_not_b32_sdwa v0, v6 dst_sel:DWORD dst_unused:UNUSED_PAD src0_sel:BYTE_0
	v_cmp_ne_u32_sdwa s[2:3], v6, v7 src0_sel:BYTE_1 src1_sel:DWORD
                                        ; implicit-def: $vgpr4_vgpr5
                                        ; implicit-def: $agpr4_agpr5
                                        ; implicit-def: $vgpr18_vgpr19
	s_and_saveexec_b64 s[4:5], s[2:3]
	s_xor_b64 s[2:3], exec, s[4:5]
	s_cbranch_execz .LBB12_3
; %bb.2:
	flat_load_dwordx4 v[8:11], v[2:3] offset:72
	flat_load_dwordx2 v[4:5], v[2:3] offset:96
	v_add_u32_e32 v0, v7, v0
	v_ashrrev_i32_e32 v6, 31, v0
	s_waitcnt vmcnt(0) lgkmcnt(0)
	v_mul_lo_u32 v6, v10, v6
	v_mad_u64_u32 v[8:9], s[4:5], v10, v0, v[8:9]
	v_mul_lo_u32 v0, v11, v0
	v_add3_u32 v9, v0, v9, v6
	v_accvgpr_write_b32 a4, v8
	v_lshrrev_b64 v[4:5], 13, v[4:5]
	v_accvgpr_write_b32 a5, v9
	v_mov_b64_e32 v[18:19], v[10:11]
                                        ; implicit-def: $vgpr6
                                        ; implicit-def: $vgpr0
.LBB12_3:
	s_andn2_saveexec_b64 s[2:3], s[2:3]
	s_cbranch_execz .LBB12_5
; %bb.4:
	flat_load_dwordx4 v[8:11], v[2:3] offset:72
	flat_load_dwordx4 v[18:21], v[2:3] offset:88
	v_add_u32_sdwa v0, v6, v0 dst_sel:DWORD dst_unused:UNUSED_PAD src0_sel:BYTE_1 src1_sel:DWORD
	v_ashrrev_i32_e32 v4, 31, v0
	s_waitcnt vmcnt(0) lgkmcnt(0)
	v_mul_lo_u32 v4, v10, v4
	v_mad_u64_u32 v[6:7], s[4:5], v10, v0, v[8:9]
	v_mul_lo_u32 v0, v11, v0
	v_add3_u32 v7, v0, v7, v4
	v_accvgpr_write_b32 a4, v6
	v_accvgpr_write_b32 a5, v7
	v_lshrrev_b32_e32 v4, 2, v21
.LBB12_5:
	s_or_b64 exec, exec, s[2:3]
.LBB12_6:
	s_andn2_saveexec_b64 s[0:1], s[0:1]
	s_cbranch_execz .LBB12_8
; %bb.7:
	flat_load_dwordx2 v[4:5], v[2:3] offset:96
	flat_load_dwordx2 v[18:19], v[2:3] offset:72
	v_mov_b64_e32 v[6:7], 0
	v_accvgpr_write_b32 a4, v6
	v_accvgpr_write_b32 a5, v7
	s_waitcnt vmcnt(0) lgkmcnt(0)
	v_lshlrev_b64 v[4:5], 8, v[4:5]
.LBB12_8:
	s_or_b64 exec, exec, s[0:1]
	s_trap 2
	ds_read_b64 v[6:7], v0
	s_waitcnt lgkmcnt(0)
	v_cmp_ne_u32_e32 vcc, -1, v6
	s_nop 1
	v_cndmask_b32_e64 v5, 0, 1, vcc
	v_cmp_ne_u32_e32 vcc, -1, v7
	s_nop 1
	v_addc_co_u32_e64 v0, s[0:1], 0, v5, vcc
	v_lshlrev_b32_e32 v6, 1, v0
	v_cmp_le_i32_e64 s[0:1], v6, v1
	s_and_saveexec_b64 s[2:3], s[0:1]
	s_xor_b64 s[30:31], exec, s[2:3]
	s_cbranch_execz .LBB12_1246
; %bb.9:
	flat_load_dwordx2 v[6:7], v[2:3] offset:104
	flat_load_dwordx4 v[10:13], v[2:3] offset:16
	flat_load_ushort v15, v[2:3] offset:8
	flat_load_dword v14, v[2:3] offset:4
	s_trap 2
	s_load_dword s0, s[8:9], 0x0
	v_mov_b32_e32 v8, 0
	v_mov_b32_e32 v62, 4
	s_waitcnt lgkmcnt(0)
	s_cmp_lt_u32 s12, s0
	s_cselect_b32 s0, 12, 18
	s_add_u32 s0, s8, s0
	s_addc_u32 s1, s9, 0
	global_load_ushort v16, v8, s[0:1]
	ds_read_b32 v8, v0
	v_cmp_ge_i32_e64 s[0:1], v58, v5
	s_waitcnt lgkmcnt(0)
	v_readfirstlane_b32 s14, v8
	s_and_saveexec_b64 s[2:3], s[0:1]
	s_cbranch_execz .LBB12_19
; %bb.10:
	v_cmp_le_u32_e64 s[0:1], v0, v58
                                        ; implicit-def: $vgpr62
	s_and_saveexec_b64 s[4:5], s[0:1]
	s_xor_b64 s[0:1], exec, s[4:5]
	s_cbranch_execz .LBB12_16
; %bb.11:
	v_cndmask_b32_e64 v8, 0, 1, vcc
	v_sub_u32_e32 v8, v1, v8
	v_cmp_ge_u32_e32 vcc, v58, v8
                                        ; implicit-def: $sgpr6
	s_and_saveexec_b64 s[4:5], vcc
	s_xor_b64 s[4:5], exec, s[4:5]
; %bb.12:
	s_mov_b32 s6, 16
                                        ; implicit-def: $vgpr0
; %bb.13:
	s_or_saveexec_b64 s[4:5], s[4:5]
	v_mov_b32_e32 v62, s6
	s_xor_b64 exec, exec, s[4:5]
; %bb.14:
	v_sub_u32_e32 v0, v1, v0
	v_cmp_ge_i32_e32 vcc, v58, v0
	s_nop 1
	v_cndmask_b32_e64 v0, 0, 1, vcc
	v_lshlrev_b32_e32 v62, 5, v0
; %bb.15:
	s_or_b64 exec, exec, s[4:5]
.LBB12_16:
	s_andn2_saveexec_b64 s[0:1], s[0:1]
; %bb.17:
	v_mov_b32_e32 v62, 8
; %bb.18:
	s_or_b64 exec, exec, s[0:1]
.LBB12_19:
	s_or_b64 exec, exec, s[2:3]
	v_and_b32_e32 v0, 36, v62
	v_cmp_ne_u32_e32 vcc, 0, v0
	v_mov_b32_e32 v8, -1
	s_and_saveexec_b64 s[0:1], vcc
	s_cbranch_execz .LBB12_21
; %bb.20:
	s_trap 2
	ds_read_b32 v8, v0
.LBB12_21:
	s_or_b64 exec, exec, s[0:1]
	v_and_b32_e32 v0, 24, v62
	v_cmp_ne_u32_e64 s[0:1], 0, v0
	s_and_saveexec_b64 s[2:3], s[0:1]
	s_cbranch_execz .LBB12_23
; %bb.22:
	s_trap 2
	s_waitcnt lgkmcnt(0)
	ds_read_b32 v8, v0
.LBB12_23:
	s_or_b64 exec, exec, s[2:3]
	s_waitcnt vmcnt(0)
	v_lshrrev_b64 v[14:15], 31, v[14:15]
	v_mov_b64_e32 v[22:23], 0
	v_and_b32_e32 v0, 3, v14
	v_mov_b64_e32 v[48:49], v[22:23]
                                        ; implicit-def: $agpr8_agpr9
                                        ; implicit-def: $vgpr44
                                        ; implicit-def: $vgpr40_vgpr41
                                        ; implicit-def: $vgpr38_vgpr39
                                        ; implicit-def: $vgpr56_vgpr57
                                        ; implicit-def: $vgpr42_vgpr43
	s_and_saveexec_b64 s[0:1], vcc
	s_cbranch_execz .LBB12_33
; %bb.24:
	s_trap 2
	ds_read_b64 v[14:15], v0
	s_waitcnt lgkmcnt(1)
	v_ashrrev_i32_e32 v9, 31, v8
	s_movk_i32 s2, 0xa8
                                        ; implicit-def: $agpr8_agpr9
	s_waitcnt lgkmcnt(0)
	v_lshl_add_u64 v[14:15], v[8:9], 3, v[14:15]
	flat_load_dwordx2 v[14:15], v[14:15]
	v_and_b32_e32 v9, 0xffff, v0
	s_waitcnt vmcnt(0) lgkmcnt(0)
	v_mad_u64_u32 v[14:15], s[2:3], v9, s2, v[14:15]
	flat_load_dword v9, v[14:15] offset:640
	s_mov_b64 s[2:3], 0x1f8
	v_lshl_add_u64 v[22:23], v[14:15], 0, s[2:3]
	s_waitcnt vmcnt(0) lgkmcnt(0)
	v_cmp_eq_u32_e32 vcc, 1, v9
	s_and_saveexec_b64 s[2:3], vcc
	s_cbranch_execz .LBB12_26
; %bb.25:
	flat_load_dwordx2 v[20:21], v[22:23] offset:144
	v_or_b32_e32 v62, 0x2000, v62
	s_waitcnt vmcnt(0) lgkmcnt(0)
	flat_load_dwordx2 v[14:15], v[20:21]
	s_trap 2
	v_accvgpr_write_b32 a8, v20
	v_accvgpr_write_b32 a9, v21
	s_waitcnt vmcnt(0) lgkmcnt(0)
	ds_write_b64 v0, v[14:15]
	flat_load_dwordx2 v[14:15], v[20:21] offset:8
	s_waitcnt vmcnt(0) lgkmcnt(0)
	ds_write_b64 v0, v[14:15]
	flat_load_dwordx2 v[14:15], v[20:21] offset:16
	s_waitcnt vmcnt(0) lgkmcnt(0)
	ds_write_b64 v0, v[14:15]
.LBB12_26:
	s_or_b64 exec, exec, s[2:3]
	flat_load_dwordx2 v[14:15], v[22:23] offset:104
	v_and_b32_e32 v9, 32, v62
	v_cmp_ne_u32_e32 vcc, 0, v9
                                        ; implicit-def: $vgpr42_vgpr43
	s_waitcnt vmcnt(0) lgkmcnt(0)
	v_lshl_add_u64 v[40:41], v[14:15], 0, 3
	v_and_b32_e32 v40, -4, v40
	s_and_saveexec_b64 s[2:3], vcc
	s_cbranch_execz .LBB12_28
; %bb.27:
	flat_load_dwordx2 v[42:43], v[22:23] offset:56
	s_waitcnt vmcnt(0) lgkmcnt(0)
	flat_store_dwordx2 v[42:43], v[40:41] sc0 sc1
.LBB12_28:
	s_or_b64 exec, exec, s[2:3]
	v_and_b32_e32 v9, 4, v62
	v_cmp_ne_u32_e32 vcc, 0, v9
	v_mov_b64_e32 v[48:49], 0
                                        ; implicit-def: $vgpr44
                                        ; implicit-def: $vgpr38_vgpr39
                                        ; implicit-def: $vgpr56_vgpr57
	s_and_saveexec_b64 s[2:3], vcc
	s_cbranch_execz .LBB12_32
; %bb.29:
	v_and_b32_e32 v9, 0x800, v62
	v_cmp_eq_u32_e32 vcc, 0, v9
	s_and_saveexec_b64 s[4:5], vcc
	s_cbranch_execz .LBB12_31
; %bb.30:
	s_trap 2
	ds_write_b64 v0, v[22:23]
.LBB12_31:
	s_or_b64 exec, exec, s[4:5]
	flat_load_dwordx2 v[42:43], v[22:23] offset:48
	v_or_b32_e32 v14, 0x100, v62
	s_waitcnt vmcnt(0) lgkmcnt(0)
	flat_load_dwordx2 v[56:57], v[42:43] sc0 sc1
	flat_load_dword v9, v[22:23] offset:72
	flat_load_dwordx2 v[48:49], v[22:23] offset:96
	flat_load_dwordx2 v[38:39], v[22:23] offset:16
	s_waitcnt vmcnt(0) lgkmcnt(0)
	v_ashrrev_i32_e32 v44, 1, v9
	v_cmp_eq_u64_e32 vcc, 0, v[48:49]
	s_nop 1
	v_cndmask_b32_e32 v62, v14, v62, vcc
.LBB12_32:
	s_or_b64 exec, exec, s[2:3]
.LBB12_33:
	s_or_b64 exec, exec, s[0:1]
	v_and_b32_e32 v9, 24, v62
	v_cmp_ne_u32_e32 vcc, 0, v9
                                        ; implicit-def: $vgpr36_vgpr37
	s_and_saveexec_b64 s[0:1], vcc
	s_cbranch_execz .LBB12_41
; %bb.34:
	s_trap 2
	ds_read_b64 v[14:15], v0
	s_waitcnt lgkmcnt(0)
	v_ashrrev_i32_e32 v9, 31, v8
	v_and_b32_e32 v0, 0xffff, v0
	s_movk_i32 s2, 0xa8
                                        ; implicit-def: $vgpr36_vgpr37
	v_lshl_add_u64 v[8:9], v[8:9], 3, v[14:15]
	flat_load_dwordx2 v[8:9], v[8:9]
	s_waitcnt vmcnt(0) lgkmcnt(0)
	v_mad_u64_u32 v[22:23], s[2:3], v0, s2, v[8:9]
	flat_load_dwordx4 v[48:51], v[22:23] offset:96
	v_or_b32_e32 v0, 0x100, v62
	s_waitcnt vmcnt(0) lgkmcnt(0)
	v_cmp_eq_u64_e32 vcc, 0, v[48:49]
	s_nop 1
	v_cndmask_b32_e32 v62, v0, v62, vcc
	v_and_b32_e32 v0, 16, v62
	v_cmp_ne_u32_e32 vcc, 0, v0
	s_and_saveexec_b64 s[2:3], vcc
	s_cbranch_execz .LBB12_36
; %bb.35:
	flat_load_dwordx2 v[36:37], v[22:23] offset:120
	flat_load_dwordx2 v[42:43], v[22:23] offset:48
	;; [unrolled: 1-line block ×3, first 2 shown]
.LBB12_36:
	s_or_b64 exec, exec, s[2:3]
	v_lshl_add_u64 v[40:41], v[50:51], 0, 3
	v_and_b32_e32 v0, 8, v62
	v_and_b32_e32 v40, -4, v40
	v_cmp_ne_u32_e32 vcc, 0, v0
	s_and_saveexec_b64 s[2:3], vcc
	s_cbranch_execz .LBB12_40
; %bb.37:
	v_and_b32_e32 v0, 0x800, v62
	v_cmp_eq_u32_e32 vcc, 0, v0
	s_and_saveexec_b64 s[4:5], vcc
	s_cbranch_execz .LBB12_39
; %bb.38:
	s_trap 2
	ds_write_b64 v0, v[22:23]
.LBB12_39:
	s_or_b64 exec, exec, s[4:5]
	s_waitcnt vmcnt(0) lgkmcnt(0)
	flat_load_dwordx2 v[42:43], v[22:23] offset:56
	s_waitcnt vmcnt(0) lgkmcnt(0)
	flat_load_dwordx2 v[56:57], v[42:43] sc0 sc1
	flat_load_dword v0, v[22:23] offset:72
	flat_load_dwordx2 v[38:39], v[22:23] offset:16
	s_waitcnt vmcnt(0) lgkmcnt(0)
	v_ashrrev_i32_e32 v44, 1, v0
.LBB12_40:
	s_or_b64 exec, exec, s[2:3]
.LBB12_41:
	s_or_b64 exec, exec, s[0:1]
	v_cmp_eq_u32_e64 s[0:1], 0, v58
	s_and_saveexec_b64 s[2:3], s[0:1]
	s_cbranch_execz .LBB12_43
; %bb.42:
	s_waitcnt lgkmcnt(0)
	flat_load_dwordx2 v[8:9], v[2:3] offset:32
	ds_write2_b64 v0, v[12:13], v[10:11] offset1:1
	s_trap 2
	s_waitcnt vmcnt(0) lgkmcnt(0)
	ds_write_b64 v0, v[8:9]
	ds_write_b64 v0, v[6:7]
.LBB12_43:
	s_or_b64 exec, exec, s[2:3]
	s_mov_b64 s[36:37], 0
	v_cmp_lt_i64_e32 vcc, 0, v[18:19]
	v_mov_b64_e32 v[32:33], 0
	s_and_saveexec_b64 s[34:35], vcc
	s_cbranch_execz .LBB12_1210
; %bb.44:
	flat_load_dword v6, v[2:3] offset:4
	s_ashr_i32 s15, s14, 31
	s_lshr_b32 s15, s15, 29
	s_add_i32 s20, s14, s15
	s_ashr_i32 s73, s72, 31
	s_ashr_i32 s21, s20, 4
	v_and_b32_e32 v2, 0x1fffff00, v4
	v_cmp_ge_i32_e32 vcc, v58, v1
	v_cmp_eq_u32_e64 s[2:3], 64, v1
	v_cmp_ne_u32_e64 s[4:5], 64, v1
	v_cmp_ne_u32_sdwa s[38:39], v16, v1 src0_sel:WORD_0 src1_sel:DWORD
	v_accvgpr_write_b32 a0, v1
	v_lshrrev_b32_e32 v52, 6, v1
	v_ashrrev_i32_e32 v1, 31, v58
	s_add_u32 s44, s72, -1
	v_and_b32_e32 v0, 63, v31
	v_mov_b32_e32 v4, 0xfffff000
	v_mad_i64_i32 v[46:47], s[12:13], v2, s72, 0
	v_lshrrev_b32_e32 v1, 26, v1
	s_addc_u32 s45, s73, -1
	s_add_i32 s75, s72, s72
	s_not_b32 s24, s72
	v_cmp_eq_u32_e64 s[12:13], 0, v0
	v_lshl_add_u32 v0, v52, 12, v4
	v_add_u32_e32 v4, v58, v1
	s_cmp_gt_i32 s72, 0
	v_ashrrev_i32_e32 v50, 6, v4
	v_and_b32_e32 v4, 0xffffffc0, v4
	s_cselect_b32 s24, s24, -1
	s_ashr_i32 s20, s20, 31
	v_mov_b32_e32 v7, 0xfffff800
	v_sub_u32_e32 v59, v58, v4
	v_lshlrev_b32_e32 v4, 12, v50
	s_lshr_b32 s20, s20, 28
	s_mov_b64 s[16:17], 0x1000
	s_waitcnt lgkmcnt(0)
	v_lshl_add_u32 v8, v52, 11, v7
	v_ashrrev_i32_e32 v1, 31, v0
	v_lshlrev_b32_e32 v7, 11, v50
	v_lshl_add_u32 v20, v59, 4, v4
	s_add_i32 s76, s24, s75
	s_add_i32 s21, s21, s20
	v_lshl_add_u64 v[54:55], v[0:1], 0, s[16:17]
	v_sub_u32_e32 v0, v20, v7
	s_ashr_i32 s77, s76, 31
	s_ashr_i32 s78, s21, 4
	v_lshlrev_b32_e32 v45, 7, v52
	v_ashrrev_i32_e32 v1, 31, v0
	s_cmp_gt_i32 s72, 2
	s_mov_b64 s[22:23], 0xc00
	v_lshlrev_b32_e32 v9, 10, v52
	v_add_u32_e32 v34, 0xffffff80, v45
	v_ashrrev_i32_e32 v21, 31, v20
	v_accvgpr_write_b32 a39, v1
	s_cselect_b64 s[46:47], -1, 0
	s_add_i32 s24, s72, 1
	s_mov_b64 s[42:43], 0x80
	v_add_u32_e32 v10, 0xfffffc00, v9
	v_ashrrev_i32_e32 v35, 31, v34
	v_accvgpr_write_b32 a38, v0
	v_lshl_add_u64 v[0:1], v[20:21], 0, s[22:23]
	v_mov_b32_e32 v3, 0
	v_ashrrev_i32_e32 v11, 31, v10
	v_lshl_add_u64 v[26:27], v[34:35], 0, s[42:43]
	v_accvgpr_write_b32 a41, v1
	v_accvgpr_write_b32 a10, v22
	v_ashrrev_i32_e32 v51, 31, v44
	s_mov_b64 s[40:41], 0x400
	s_mov_b64 s[18:19], 0x800
	v_accvgpr_write_b32 a3, v9
	v_ashrrev_i32_e32 v9, 31, v8
	v_accvgpr_write_b32 a27, v11
	v_accvgpr_write_b32 a40, v0
	v_mov_b64_e32 v[0:1], 0
	v_accvgpr_write_b32 a45, v3
	v_accvgpr_write_b32 a14, v48
	s_waitcnt vmcnt(0)
	v_accvgpr_write_b32 a18, v38
	v_accvgpr_write_b32 a20, v36
	;; [unrolled: 1-line block ×4, first 2 shown]
	v_and_b32_e32 v4, 1, v6
	v_cmp_eq_u32_e64 s[20:21], 1, v4
	s_xor_b64 s[48:49], s[20:21], -1
	s_cmp_le_i32 s72, s24
	s_cselect_b32 s25, s72, 0
	s_sub_i32 s80, s24, s25
	v_accvgpr_write_b32 a32, v54
	v_accvgpr_write_b32 a37, v27
	;; [unrolled: 1-line block ×5, first 2 shown]
	s_movk_i32 s74, 0xff80
	v_cmp_eq_u64_e64 s[6:7], 0, v[36:37]
	v_cmp_ne_u64_e64 s[10:11], 0, v[36:37]
	v_mov_b32_e32 v53, v3
	v_lshl_add_u64 v[16:17], v[8:9], 0, s[18:19]
	v_accvgpr_write_b32 a26, v10
	v_lshl_add_u64 v[28:29], v[10:11], 0, s[40:41]
	v_cmp_gt_i32_e64 s[14:15], 1, v59
	v_cmp_lt_i32_e64 s[16:17], v59, v5
	v_cmp_le_i32_e64 s[18:19], v59, v5
	s_add_i32 s79, s72, -2
	s_ashr_i32 s81, s80, 31
	s_xor_b64 s[50:51], vcc, -1
	s_movk_i32 s82, 0x270e
	v_mov_b32_e32 v31, 1
	s_movk_i32 s83, 0x108
	s_mov_b64 s[52:53], 0x380
	s_movk_i32 s84, 0xfc80
	s_movk_i32 s85, 0xfd00
	s_movk_i32 s86, 0xfd80
	v_accvgpr_write_b32 a44, v2
	v_mov_b64_e32 v[32:33], v[0:1]
	v_accvgpr_write_b32 a15, v49
	v_accvgpr_write_b32 a16, v44
	;; [unrolled: 1-line block ×11, first 2 shown]
	s_trap 2
	scratch_store_dwordx2 off, v[20:21], s33 offset:156 ; 8-byte Folded Spill
	scratch_store_dwordx2 off, v[16:17], s33 offset:164 ; 8-byte Folded Spill
	s_branch .LBB12_47
.LBB12_45:                              ;   in Loop: Header=BB12_47 Depth=1
	s_or_b64 exec, exec, s[26:27]
.LBB12_46:                              ;   in Loop: Header=BB12_47 Depth=1
	s_or_b64 exec, exec, s[24:25]
	v_lshl_add_u64 v[0:1], v[18:19], 0, v[46:47]
	v_accvgpr_read_b32 v19, a7
	v_accvgpr_read_b32 v18, a6
	v_cmp_ge_i64_e32 vcc, v[0:1], v[18:19]
	s_or_b64 s[36:37], vcc, s[36:37]
	s_andn2_b64 exec, exec, s[36:37]
	s_cbranch_execz .LBB12_1209
.LBB12_47:                              ; =>This Loop Header: Depth=1
                                        ;     Child Loop BB12_57 Depth 2
                                        ;       Child Loop BB12_65 Depth 3
                                        ;       Child Loop BB12_89 Depth 3
	;; [unrolled: 1-line block ×9, first 2 shown]
                                        ;     Child Loop BB12_199 Depth 2
                                        ;       Child Loop BB12_205 Depth 3
                                        ;       Child Loop BB12_234 Depth 3
	;; [unrolled: 1-line block ×3, first 2 shown]
                                        ;     Child Loop BB12_271 Depth 2
                                        ;       Child Loop BB12_274 Depth 3
                                        ;         Child Loop BB12_282 Depth 4
                                        ;         Child Loop BB12_308 Depth 4
	;; [unrolled: 1-line block ×9, first 2 shown]
                                        ;       Child Loop BB12_418 Depth 3
                                        ;         Child Loop BB12_424 Depth 4
                                        ;         Child Loop BB12_462 Depth 4
	;; [unrolled: 1-line block ×3, first 2 shown]
                                        ;     Child Loop BB12_492 Depth 2
                                        ;       Child Loop BB12_500 Depth 3
                                        ;       Child Loop BB12_526 Depth 3
	;; [unrolled: 1-line block ×9, first 2 shown]
                                        ;         Child Loop BB12_586 Depth 4
                                        ;       Child Loop BB12_595 Depth 3
                                        ;       Child Loop BB12_600 Depth 3
                                        ;         Child Loop BB12_601 Depth 4
                                        ;       Child Loop BB12_573 Depth 3
                                        ;       Child Loop BB12_652 Depth 3
                                        ;     Child Loop BB12_670 Depth 2
                                        ;       Child Loop BB12_676 Depth 3
                                        ;       Child Loop BB12_706 Depth 3
	;; [unrolled: 1-line block ×3, first 2 shown]
                                        ;     Child Loop BB12_744 Depth 2
                                        ;       Child Loop BB12_747 Depth 3
                                        ;         Child Loop BB12_755 Depth 4
                                        ;         Child Loop BB12_781 Depth 4
	;; [unrolled: 1-line block ×9, first 2 shown]
                                        ;           Child Loop BB12_828 Depth 5
                                        ;         Child Loop BB12_837 Depth 4
                                        ;         Child Loop BB12_842 Depth 4
                                        ;           Child Loop BB12_843 Depth 5
                                        ;         Child Loop BB12_884 Depth 4
                                        ;         Child Loop BB12_907 Depth 4
                                        ;       Child Loop BB12_926 Depth 3
                                        ;         Child Loop BB12_932 Depth 4
                                        ;         Child Loop BB12_962 Depth 4
	;; [unrolled: 1-line block ×3, first 2 shown]
                                        ;     Child Loop BB12_1003 Depth 2
                                        ;       Child Loop BB12_1011 Depth 3
                                        ;       Child Loop BB12_1035 Depth 3
	;; [unrolled: 1-line block ×9, first 2 shown]
                                        ;     Child Loop BB12_1143 Depth 2
                                        ;       Child Loop BB12_1149 Depth 3
                                        ;       Child Loop BB12_1173 Depth 3
	;; [unrolled: 1-line block ×3, first 2 shown]
	v_sub_co_u32_e32 v4, vcc, v18, v0
	v_accvgpr_write_b32 a6, v18
	s_nop 0
	v_subb_co_u32_e32 v5, vcc, v19, v1, vcc
	v_accvgpr_write_b32 a47, v5
	v_accvgpr_write_b32 a7, v19
	;; [unrolled: 1-line block ×3, first 2 shown]
	v_cmp_lt_i64_e32 vcc, v[4:5], v[46:47]
	s_mov_b64 s[24:25], exec
	s_and_b64 s[22:23], s[24:25], vcc
	v_mov_b64_e32 v[18:19], v[0:1]
	s_mov_b64 exec, s[22:23]
	s_cbranch_execz .LBB12_53
; %bb.48:                               ;   in Loop: Header=BB12_47 Depth=1
	v_accvgpr_read_b32 v0, a46
	v_accvgpr_read_b32 v1, a47
	v_lshl_add_u64 v[4:5], s[44:45], 0, v[0:1]
	v_or_b32_e32 v7, s73, v5
	v_mov_b32_e32 v6, v3
	v_cmp_ne_u64_e32 vcc, 0, v[6:7]
                                        ; implicit-def: $vgpr6_vgpr7
	s_and_saveexec_b64 s[22:23], vcc
	s_xor_b64 s[26:27], exec, s[22:23]
	s_cbranch_execz .LBB12_50
; %bb.49:                               ;   in Loop: Header=BB12_47 Depth=1
	s_add_u32 s22, s72, s73
	s_mov_b32 s28, s73
	s_mov_b32 s29, s73
	s_addc_u32 s23, s73, s73
	s_xor_b64 s[54:55], s[22:23], s[28:29]
	v_cvt_f32_u32_e32 v2, s54
	v_cvt_f32_u32_e32 v6, s55
	s_sub_u32 s22, 0, s54
	s_subb_u32 s23, 0, s55
	v_fmac_f32_e32 v2, 0x4f800000, v6
	v_rcp_f32_e32 v2, v2
	s_nop 0
	v_mul_f32_e32 v2, 0x5f7ffffc, v2
	v_mul_f32_e32 v6, 0x2f800000, v2
	v_trunc_f32_e32 v6, v6
	v_fmac_f32_e32 v2, 0xcf800000, v6
	v_cvt_u32_f32_e32 v8, v6
	v_cvt_u32_f32_e32 v9, v2
	v_mul_lo_u32 v2, s22, v8
	v_mul_hi_u32 v7, s22, v9
	v_mul_lo_u32 v6, s23, v9
	v_add_u32_e32 v2, v7, v2
	v_mul_lo_u32 v10, s22, v9
	v_add_u32_e32 v11, v2, v6
	v_mul_hi_u32 v7, v9, v11
	v_mul_lo_u32 v6, v9, v11
	v_mul_hi_u32 v2, v9, v10
	v_lshl_add_u64 v[6:7], v[2:3], 0, v[6:7]
	v_mul_hi_u32 v2, v8, v10
	v_mul_lo_u32 v10, v8, v10
	v_add_co_u32_e32 v6, vcc, v6, v10
	v_mul_hi_u32 v12, v8, v11
	s_nop 0
	v_addc_co_u32_e32 v2, vcc, v7, v2, vcc
	v_mul_lo_u32 v6, v8, v11
	s_nop 0
	v_addc_co_u32_e32 v7, vcc, 0, v12, vcc
	v_lshl_add_u64 v[6:7], v[2:3], 0, v[6:7]
	v_add_co_u32_e32 v9, vcc, v9, v6
	v_mul_hi_u32 v6, s22, v9
	s_nop 0
	v_addc_co_u32_e32 v8, vcc, v8, v7, vcc
	v_mul_lo_u32 v2, s22, v8
	v_add_u32_e32 v2, v6, v2
	v_mul_lo_u32 v6, s23, v9
	v_add_u32_e32 v10, v2, v6
	v_mul_lo_u32 v2, s22, v9
	v_mul_hi_u32 v12, v8, v2
	v_mul_lo_u32 v13, v8, v2
	v_mul_hi_u32 v7, v9, v10
	;; [unrolled: 2-line block ×3, first 2 shown]
	v_lshl_add_u64 v[6:7], v[2:3], 0, v[6:7]
	v_add_co_u32_e32 v2, vcc, v6, v13
	v_mul_hi_u32 v11, v8, v10
	s_nop 0
	v_addc_co_u32_e32 v2, vcc, v7, v12, vcc
	v_mul_lo_u32 v6, v8, v10
	s_nop 0
	v_addc_co_u32_e32 v7, vcc, 0, v11, vcc
	v_lshl_add_u64 v[6:7], v[2:3], 0, v[6:7]
	v_add_co_u32_e32 v10, vcc, v9, v6
	v_ashrrev_i32_e32 v6, 31, v5
	s_nop 0
	v_addc_co_u32_e32 v8, vcc, v8, v7, vcc
	v_mov_b32_e32 v7, v6
	v_lshl_add_u64 v[4:5], v[4:5], 0, v[6:7]
	v_xor_b32_e32 v12, v4, v6
	v_xor_b32_e32 v7, v5, v6
	v_mad_u64_u32 v[4:5], s[22:23], v12, v8, 0
	v_mul_hi_u32 v2, v12, v10
	v_lshl_add_u64 v[4:5], v[2:3], 0, v[4:5]
	v_mad_u64_u32 v[10:11], s[22:23], v7, v10, 0
	v_add_co_u32_e32 v2, vcc, v4, v10
	v_mad_u64_u32 v[8:9], s[22:23], v7, v8, 0
	s_nop 0
	v_addc_co_u32_e32 v2, vcc, v5, v11, vcc
	s_nop 1
	v_addc_co_u32_e32 v9, vcc, 0, v9, vcc
	v_lshl_add_u64 v[4:5], v[2:3], 0, v[8:9]
	v_mul_lo_u32 v2, s55, v4
	v_mul_lo_u32 v10, s54, v5
	v_mad_u64_u32 v[8:9], s[22:23], s54, v4, 0
	v_add3_u32 v2, v9, v10, v2
	v_sub_u32_e32 v9, v7, v2
	v_mov_b32_e32 v10, s55
	v_sub_co_u32_e32 v12, vcc, v12, v8
	s_nop 1
	v_subb_co_u32_e64 v8, s[22:23], v9, v10, vcc
	v_subrev_co_u32_e64 v9, s[22:23], s54, v12
	v_subb_co_u32_e32 v2, vcc, v7, v2, vcc
	s_nop 0
	v_subbrev_co_u32_e64 v8, s[22:23], 0, v8, s[22:23]
	v_cmp_le_u32_e64 s[22:23], s55, v8
	v_cmp_le_u32_e32 vcc, s55, v2
	s_nop 0
	v_cndmask_b32_e64 v10, 0, -1, s[22:23]
	v_cmp_le_u32_e64 s[22:23], s54, v9
	v_cndmask_b32_e64 v7, 0, -1, vcc
	v_cmp_le_u32_e32 vcc, s54, v12
	v_cndmask_b32_e64 v9, 0, -1, s[22:23]
	v_cmp_eq_u32_e64 s[22:23], s55, v8
	s_nop 1
	v_cndmask_b32_e64 v13, v10, v9, s[22:23]
	v_lshl_add_u64 v[8:9], v[4:5], 0, 2
	v_lshl_add_u64 v[10:11], v[4:5], 0, 1
	v_cmp_ne_u32_e64 s[22:23], 0, v13
	s_nop 1
	v_cndmask_b32_e64 v9, v11, v9, s[22:23]
	v_cndmask_b32_e64 v11, 0, -1, vcc
	v_cmp_eq_u32_e32 vcc, s55, v2
	s_nop 1
	v_cndmask_b32_e32 v2, v7, v11, vcc
	v_cmp_ne_u32_e32 vcc, 0, v2
	s_nop 1
	v_cndmask_b32_e32 v2, v5, v9, vcc
	v_cndmask_b32_e64 v5, v10, v8, s[22:23]
	v_cndmask_b32_e32 v4, v4, v5, vcc
	v_xor_b32_e32 v5, s29, v6
	v_xor_b32_e32 v6, s28, v6
	;; [unrolled: 1-line block ×4, first 2 shown]
	v_sub_co_u32_e32 v6, vcc, v4, v6
	s_nop 1
	v_subb_co_u32_e32 v7, vcc, v2, v5, vcc
                                        ; implicit-def: $vgpr4_vgpr5
.LBB12_50:                              ;   in Loop: Header=BB12_47 Depth=1
	s_andn2_saveexec_b64 s[22:23], s[26:27]
	s_cbranch_execz .LBB12_52
; %bb.51:                               ;   in Loop: Header=BB12_47 Depth=1
	v_cvt_f32_u32_e32 v2, s72
	s_sub_i32 s26, 0, s72
	v_rcp_iflag_f32_e32 v2, v2
	s_nop 0
	v_mul_f32_e32 v2, 0x4f7ffffe, v2
	v_cvt_u32_f32_e32 v2, v2
	v_mul_lo_u32 v5, s26, v2
	v_mul_hi_u32 v5, v2, v5
	v_add_u32_e32 v2, v2, v5
	v_mul_hi_u32 v2, v4, v2
	v_mul_lo_u32 v5, v2, s72
	v_sub_u32_e32 v4, v4, v5
	v_add_u32_e32 v6, 1, v2
	v_subrev_u32_e32 v5, s72, v4
	v_cmp_le_u32_e32 vcc, s72, v4
	s_nop 1
	v_cndmask_b32_e32 v4, v4, v5, vcc
	v_cndmask_b32_e32 v2, v2, v6, vcc
	v_add_u32_e32 v5, 1, v2
	v_cmp_le_u32_e32 vcc, s72, v4
	s_nop 1
	v_cndmask_b32_e32 v2, v2, v5, vcc
	v_mov_b64_e32 v[6:7], v[2:3]
.LBB12_52:                              ;   in Loop: Header=BB12_47 Depth=1
	s_or_b64 exec, exec, s[22:23]
	v_lshl_add_u64 v[0:1], v[6:7], 0, 7
	v_and_b32_e32 v0, -8, v0
	v_accvgpr_write_b32 a45, v1
	v_accvgpr_write_b32 a44, v0
.LBB12_53:                              ;   in Loop: Header=BB12_47 Depth=1
	s_or_b64 exec, exec, s[24:25]
	v_accvgpr_read_b32 v0, a4
	v_accvgpr_read_b32 v1, a5
	;; [unrolled: 1-line block ×3, first 2 shown]
	v_lshl_add_u64 v[0:1], v[18:19], 0, v[0:1]
	v_accvgpr_read_b32 v7, a45
	v_accvgpr_write_b32 a49, v1
	v_mul_lo_u32 v2, v7, s76
	v_mul_lo_u32 v4, v6, s77
	v_mad_u64_u32 v[10:11], s[22:23], v6, s76, 0
	v_accvgpr_write_b32 a48, v0
	v_accvgpr_read_b32 v0, a46
	v_add3_u32 v11, v11, v4, v2
	v_accvgpr_read_b32 v1, a47
	v_sub_co_u32_e32 v4, vcc, v0, v10
	v_mov_b32_e32 v8, 0
	s_nop 0
	v_subb_co_u32_e32 v5, vcc, v1, v11, vcc
	v_cmp_lt_i64_e32 vcc, v[6:7], v[4:5]
	s_nop 1
	v_cndmask_b32_e32 v2, v4, v6, vcc
	s_waitcnt vmcnt(0)
	v_max_i32_e32 v16, 0, v2
	v_add_u32_e32 v4, 31, v16
	v_ashrrev_i32_e32 v5, 31, v4
	v_lshrrev_b32_e32 v5, 27, v5
	v_add_u32_e32 v4, v4, v5
	v_ashrrev_i32_e32 v4, 5, v4
	v_lshlrev_b32_e32 v4, 4, v4
	v_max_i32_e32 v6, s78, v4
	v_cmp_lt_i32_e32 vcc, 0, v2
	v_mov_b32_e32 v2, 0
	s_and_b64 s[22:23], s[50:51], vcc
	s_mov_b64 s[24:25], exec
	v_accvgpr_write_b32 a43, v19
	s_and_b64 s[22:23], s[24:25], s[22:23]
	v_accvgpr_write_b32 a42, v18
	s_mov_b64 exec, s[22:23]
	s_cbranch_execz .LBB12_195
; %bb.54:                               ;   in Loop: Header=BB12_47 Depth=1
	s_mov_b32 s70, 1
	s_mov_b64 s[28:29], -1
	s_mov_b64 s[26:27], 0
	v_mov_b32_e32 v8, 0
	s_branch .LBB12_57
.LBB12_55:                              ;   in Loop: Header=BB12_57 Depth=2
	s_or_b64 exec, exec, vcc
	v_lshl_add_u64 v[40:41], v[40:41], 0, 2
	flat_store_dwordx2 v[42:43], v[40:41] sc0 sc1
.LBB12_56:                              ;   in Loop: Header=BB12_57 Depth=2
	s_or_b64 exec, exec, s[22:23]
	v_add_u32_e32 v8, v6, v8
	v_cmp_ge_i32_e32 vcc, v8, v16
	s_xor_b64 s[22:23], s[28:29], -1
	s_or_b64 s[22:23], s[22:23], vcc
	s_and_b64 s[22:23], exec, s[22:23]
	s_or_b64 s[26:27], s[22:23], s[26:27]
	s_mov_b64 s[28:29], 0
	v_mov_b32_e32 v2, s70
	s_mov_b32 s70, 2
	s_andn2_b64 exec, exec, s[26:27]
	s_cbranch_execz .LBB12_194
.LBB12_57:                              ;   Parent Loop BB12_47 Depth=1
                                        ; =>  This Loop Header: Depth=2
                                        ;       Child Loop BB12_65 Depth 3
                                        ;       Child Loop BB12_89 Depth 3
	;; [unrolled: 1-line block ×9, first 2 shown]
	s_and_saveexec_b64 s[22:23], s[0:1]
	s_cbranch_execz .LBB12_59
; %bb.58:                               ;   in Loop: Header=BB12_57 Depth=2
	s_trap 2
	ds_read_b64 v[4:5], v0
	v_accvgpr_read_b32 v0, a48
	v_accvgpr_read_b32 v1, a49
	v_ashrrev_i32_e32 v9, 31, v8
	v_mov_b32_e32 v2, v3
	s_waitcnt lgkmcnt(0)
	v_lshl_add_u64 v[4:5], v[0:1], 1, v[4:5]
	v_lshl_add_u64 v[4:5], v[10:11], 1, v[4:5]
	;; [unrolled: 1-line block ×3, first 2 shown]
	ds_write_b64 v0, v[4:5]
	ds_write_b64 v0, v[2:3]
.LBB12_59:                              ;   in Loop: Header=BB12_57 Depth=2
	s_or_b64 exec, exec, s[22:23]
	v_and_b32_e32 v2, 8, v62
	v_cmp_ne_u32_e32 vcc, 0, v2
	s_mov_b64 s[54:55], -1
	s_and_saveexec_b64 s[22:23], vcc
	s_cbranch_execz .LBB12_71
; %bb.60:                               ;   in Loop: Header=BB12_57 Depth=2
	v_lshl_add_u64 v[12:13], v[56:57], 0, 8
	v_lshl_add_u64 v[4:5], v[40:41], 0, 2
	v_cmp_lt_u64_e32 vcc, v[12:13], v[4:5]
	v_mov_b32_e32 v2, 1
	s_and_saveexec_b64 s[54:55], vcc
	s_cbranch_execz .LBB12_70
; %bb.61:                               ;   in Loop: Header=BB12_57 Depth=2
	s_mov_b64 s[56:57], 0
	v_mov_b32_e32 v2, 0
                                        ; implicit-def: $sgpr58_sgpr59
	s_branch .LBB12_65
.LBB12_62:                              ;   in Loop: Header=BB12_65 Depth=3
	s_or_b64 exec, exec, s[66:67]
	v_mov_b32_e32 v7, 0
	s_orn2_b64 s[64:65], s[64:65], exec
.LBB12_63:                              ;   in Loop: Header=BB12_65 Depth=3
	s_or_b64 exec, exec, s[62:63]
	s_andn2_b64 vcc, s[58:59], exec
	s_and_b64 s[58:59], s[64:65], exec
	s_or_b64 s[58:59], vcc, s[58:59]
	v_mov_b32_e32 v2, v7
.LBB12_64:                              ;   in Loop: Header=BB12_65 Depth=3
	s_or_b64 exec, exec, s[60:61]
	s_waitcnt vmcnt(0) lgkmcnt(0)
	v_lshl_add_u64 v[12:13], v[56:57], 0, 8
	v_cmp_ge_u64_e32 vcc, v[12:13], v[4:5]
	s_xor_b64 s[60:61], s[58:59], -1
	s_or_b64 vcc, s[60:61], vcc
	s_and_b64 vcc, exec, vcc
	s_or_b64 s[56:57], vcc, s[56:57]
	s_andn2_b64 exec, exec, s[56:57]
	s_cbranch_execz .LBB12_69
.LBB12_65:                              ;   Parent Loop BB12_47 Depth=1
                                        ;     Parent Loop BB12_57 Depth=2
                                        ; =>    This Inner Loop Header: Depth=3
	s_sleep 1
	flat_load_dwordx2 v[56:57], v[42:43] sc0 sc1
	v_and_b32_e32 v7, 64, v62
	v_cmp_eq_u32_e32 vcc, 0, v7
	s_andn2_b64 s[58:59], s[58:59], exec
	s_and_saveexec_b64 s[60:61], vcc
	s_cbranch_execz .LBB12_64
; %bb.66:                               ;   in Loop: Header=BB12_65 Depth=3
	v_add_u32_e32 v7, 1, v2
	v_cmp_lt_i32_e32 vcc, s82, v2
	s_mov_b64 s[64:65], -1
	s_and_saveexec_b64 s[62:63], vcc
	s_cbranch_execz .LBB12_63
; %bb.67:                               ;   in Loop: Header=BB12_65 Depth=3
	s_trap 2
	ds_read_b64 v[12:13], v0
	s_waitcnt vmcnt(0) lgkmcnt(0)
	flat_load_dword v2, v[12:13] sc0 sc1
	s_waitcnt vmcnt(0) lgkmcnt(0)
	buffer_inv sc0 sc1
	v_cmp_ne_u32_e32 vcc, 0, v2
	s_and_saveexec_b64 s[66:67], vcc
	s_cbranch_execz .LBB12_62
; %bb.68:                               ;   in Loop: Header=BB12_65 Depth=3
	v_or_b32_e32 v62, 64, v62
	s_xor_b64 s[64:65], exec, -1
	ds_write_b32 v0, v2
	s_trap 2
	s_branch .LBB12_62
.LBB12_69:                              ;   in Loop: Header=BB12_57 Depth=2
	s_or_b64 exec, exec, s[56:57]
	v_and_b32_e32 v2, 8, v62
.LBB12_70:                              ;   in Loop: Header=BB12_57 Depth=2
	s_or_b64 exec, exec, s[54:55]
	v_cmp_eq_u32_e32 vcc, 0, v2
	s_orn2_b64 s[54:55], vcc, exec
	;;#ASMSTART
	s_wakeup
	;;#ASMEND
.LBB12_71:                              ;   in Loop: Header=BB12_57 Depth=2
	s_or_b64 exec, exec, s[22:23]
	v_sub_u32_e32 v2, v16, v8
	s_xor_b64 s[22:23], s[54:55], -1
	v_min_i32_e32 v6, v6, v2
	s_and_saveexec_b64 s[54:55], s[22:23]
	s_cbranch_execz .LBB12_81
; %bb.72:                               ;   in Loop: Header=BB12_57 Depth=2
	v_and_b32_e32 v2, 0x100, v62
	v_cmp_ne_u32_e32 vcc, 0, v2
	v_and_b32_e32 v2, 7, v40
	s_mov_b64 s[22:23], -1
                                        ; implicit-def: $vgpr4_vgpr5
	s_and_saveexec_b64 s[56:57], vcc
	s_cbranch_execz .LBB12_76
; %bb.73:                               ;   in Loop: Header=BB12_57 Depth=2
	v_mad_u64_u32 v[12:13], s[22:23], v2, 24, v[48:49]
	flat_load_dword v9, v[12:13]
	v_ashrrev_i32_e32 v7, 31, v6
	v_lshlrev_b64 v[4:5], 1, v[6:7]
	flat_store_dwordx2 v[12:13], v[4:5] offset:8
                                        ; implicit-def: $vgpr4_vgpr5
	s_waitcnt vmcnt(0) lgkmcnt(0)
	v_cmp_ne_u32_e32 vcc, 1, v9
	v_cmp_eq_u32_e64 s[22:23], 1, v9
	s_and_saveexec_b64 s[58:59], s[22:23]
	s_cbranch_execz .LBB12_75
; %bb.74:                               ;   in Loop: Header=BB12_57 Depth=2
	flat_load_dword v4, v[12:13] offset:4 sc0 sc1
	s_waitcnt vmcnt(0) lgkmcnt(0)
	v_ashrrev_i32_e32 v5, 31, v4
	v_lshrrev_b64 v[4:5], 1, v[4:5]
.LBB12_75:                              ;   in Loop: Header=BB12_57 Depth=2
	s_or_b64 exec, exec, s[58:59]
	s_orn2_b64 s[22:23], vcc, exec
.LBB12_76:                              ;   in Loop: Header=BB12_57 Depth=2
	s_or_b64 exec, exec, s[56:57]
	s_and_saveexec_b64 vcc, s[22:23]
; %bb.77:                               ;   in Loop: Header=BB12_57 Depth=2
	v_mad_i64_i32 v[4:5], s[22:23], v2, v44, 0
; %bb.78:                               ;   in Loop: Header=BB12_57 Depth=2
	s_or_b64 exec, exec, vcc
	v_and_b32_e32 v2, 0x2000, v62
	v_lshl_add_u64 v[4:5], v[4:5], 1, v[38:39]
	v_cmp_ne_u32_e32 vcc, 0, v2
	ds_write_b64 v0, v[4:5] offset:784
	s_and_saveexec_b64 s[22:23], vcc
	s_cbranch_execz .LBB12_80
; %bb.79:                               ;   in Loop: Header=BB12_57 Depth=2
	ds_read_b64 v[4:5], v0 offset:584
	s_waitcnt lgkmcnt(0)
	v_lshl_add_u64 v[4:5], v[4:5], 0, 1
	ds_write_b64 v0, v[4:5] offset:584
.LBB12_80:                              ;   in Loop: Header=BB12_57 Depth=2
	s_or_b64 exec, exec, s[22:23]
	v_lshl_add_u64 v[40:41], v[40:41], 0, 2
.LBB12_81:                              ;   in Loop: Header=BB12_57 Depth=2
	s_or_b64 exec, exec, s[54:55]
	s_and_saveexec_b64 s[22:23], s[4:5]
	s_cbranch_execz .LBB12_100
; %bb.82:                               ;   in Loop: Header=BB12_57 Depth=2
	s_and_saveexec_b64 vcc, s[38:39]
	s_xor_b64 s[54:55], exec, vcc
	s_cbranch_execz .LBB12_97
; %bb.83:                               ;   in Loop: Header=BB12_57 Depth=2
	s_and_saveexec_b64 s[56:57], s[12:13]
	s_cbranch_execz .LBB12_96
; %bb.84:                               ;   in Loop: Header=BB12_57 Depth=2
	s_mov_b64 s[60:61], exec
	v_mbcnt_lo_u32_b32 v2, s60, 0
	v_mbcnt_hi_u32_b32 v2, s61, v2
	v_cmp_eq_u32_e32 vcc, 0, v2
	s_waitcnt lgkmcnt(0)
	s_and_saveexec_b64 s[58:59], vcc
	s_cbranch_execz .LBB12_86
; %bb.85:                               ;   in Loop: Header=BB12_57 Depth=2
	s_bcnt1_i32_b64 vcc_lo, s[60:61]
	v_mov_b32_e32 v2, vcc_lo
	ds_add_u64 v0, v[2:3]
	s_trap 2
.LBB12_86:                              ;   in Loop: Header=BB12_57 Depth=2
	s_or_b64 exec, exec, s[58:59]
	s_trap 2
	ds_read_b64 v[4:5], v0
	v_lshl_add_u64 v[32:33], v[32:33], 0, v[52:53]
	s_waitcnt lgkmcnt(0)
	v_cmp_lt_u64_e32 vcc, v[4:5], v[32:33]
	s_and_saveexec_b64 s[58:59], vcc
	s_cbranch_execz .LBB12_95
; %bb.87:                               ;   in Loop: Header=BB12_57 Depth=2
	s_mov_b32 s71, 0
	s_mov_b64 s[60:61], 0
                                        ; implicit-def: $sgpr62_sgpr63
                                        ; implicit-def: $sgpr64_sgpr65
	s_branch .LBB12_89
.LBB12_88:                              ;   in Loop: Header=BB12_89 Depth=3
	s_or_b64 exec, exec, s[68:69]
	s_and_b64 vcc, exec, vcc
	s_or_b64 s[60:61], vcc, s[60:61]
	s_andn2_b64 vcc, s[62:63], exec
	s_and_b64 s[62:63], s[64:65], exec
	s_or_b64 s[62:63], vcc, s[62:63]
	s_andn2_b64 exec, exec, s[60:61]
	s_cbranch_execz .LBB12_93
.LBB12_89:                              ;   Parent Loop BB12_47 Depth=1
                                        ;     Parent Loop BB12_57 Depth=2
                                        ; =>    This Inner Loop Header: Depth=3
	s_add_i32 s71, s71, 1
	s_cmpk_lg_i32 s71, 0x2710
	s_cselect_b64 s[66:67], -1, 0
	s_and_b64 vcc, exec, s[66:67]
                                        ; implicit-def: $sgpr68_sgpr69
	s_cbranch_vccnz .LBB12_91
; %bb.90:                               ;   in Loop: Header=BB12_89 Depth=3
	s_trap 2
	ds_read_b64 v[4:5], v0
	s_andn2_b64 s[66:67], s[66:67], exec
	s_mov_b32 s71, 0
	s_mov_b64 s[68:69], -1
	s_waitcnt vmcnt(0) lgkmcnt(0)
	flat_load_dword v2, v[4:5] sc0 sc1
	s_waitcnt vmcnt(0) lgkmcnt(0)
	buffer_inv sc0 sc1
	v_cmp_eq_u32_e32 vcc, 0, v2
	s_and_b64 vcc, vcc, exec
	s_or_b64 s[66:67], s[66:67], vcc
.LBB12_91:                              ;   in Loop: Header=BB12_89 Depth=3
	s_andn2_b64 s[64:65], s[64:65], exec
	s_and_b64 s[68:69], s[68:69], exec
	s_mov_b64 vcc, -1
	s_or_b64 s[64:65], s[64:65], s[68:69]
	s_and_saveexec_b64 s[68:69], s[66:67]
	s_cbranch_execz .LBB12_88
; %bb.92:                               ;   in Loop: Header=BB12_89 Depth=3
	s_sleep 1
	s_trap 2
	ds_read_b64 v[4:5], v0
	s_andn2_b64 s[64:65], s[64:65], exec
	s_waitcnt lgkmcnt(0)
	v_cmp_ge_u64_e32 vcc, v[4:5], v[32:33]
	s_orn2_b64 vcc, vcc, exec
	s_branch .LBB12_88
.LBB12_93:                              ;   in Loop: Header=BB12_57 Depth=2
	s_or_b64 exec, exec, s[60:61]
	s_and_saveexec_b64 vcc, s[62:63]
	s_xor_b64 vcc, exec, vcc
	s_cbranch_execz .LBB12_95
; %bb.94:                               ;   in Loop: Header=BB12_57 Depth=2
	ds_write_b32 v0, v31
	s_trap 2
.LBB12_95:                              ;   in Loop: Header=BB12_57 Depth=2
	s_or_b64 exec, exec, s[58:59]
	;;#ASMSTART
	s_wakeup
	;;#ASMEND
.LBB12_96:                              ;   in Loop: Header=BB12_57 Depth=2
	s_or_b64 exec, exec, s[56:57]
.LBB12_97:                              ;   in Loop: Header=BB12_57 Depth=2
	s_andn2_saveexec_b64 vcc, s[54:55]
	s_cbranch_execz .LBB12_99
; %bb.98:                               ;   in Loop: Header=BB12_57 Depth=2
	s_waitcnt lgkmcnt(0)
	s_barrier
.LBB12_99:                              ;   in Loop: Header=BB12_57 Depth=2
	s_or_b64 exec, exec, vcc
.LBB12_100:                             ;   in Loop: Header=BB12_57 Depth=2
	s_or_b64 exec, exec, s[22:23]
	s_trap 2
	ds_read_b32 v4, v0
	v_and_b32_e32 v2, 0x4000, v62
	v_cmp_ne_u32_e32 vcc, 0, v2
	s_xor_b64 s[22:23], s[2:3], -1
	s_and_b64 vcc, s[22:23], vcc
	s_and_saveexec_b64 s[22:23], vcc
	s_cbranch_execz .LBB12_119
; %bb.101:                              ;   in Loop: Header=BB12_57 Depth=2
	s_and_saveexec_b64 vcc, s[38:39]
	s_xor_b64 s[54:55], exec, vcc
	s_cbranch_execz .LBB12_116
; %bb.102:                              ;   in Loop: Header=BB12_57 Depth=2
	s_and_saveexec_b64 s[56:57], s[12:13]
	s_cbranch_execz .LBB12_115
; %bb.103:                              ;   in Loop: Header=BB12_57 Depth=2
	s_mov_b64 s[60:61], exec
	v_mbcnt_lo_u32_b32 v2, s60, 0
	v_mbcnt_hi_u32_b32 v2, s61, v2
	v_cmp_eq_u32_e32 vcc, 0, v2
	s_waitcnt lgkmcnt(0)
	s_and_saveexec_b64 s[58:59], vcc
	s_cbranch_execz .LBB12_105
; %bb.104:                              ;   in Loop: Header=BB12_57 Depth=2
	s_bcnt1_i32_b64 vcc_lo, s[60:61]
	v_mov_b32_e32 v2, vcc_lo
	ds_add_u64 v0, v[2:3]
	s_trap 2
.LBB12_105:                             ;   in Loop: Header=BB12_57 Depth=2
	s_or_b64 exec, exec, s[58:59]
	s_trap 2
	ds_read_b64 v[12:13], v0
	v_lshl_add_u64 v[32:33], v[32:33], 0, v[52:53]
	s_waitcnt lgkmcnt(0)
	v_cmp_lt_u64_e32 vcc, v[12:13], v[32:33]
	s_and_saveexec_b64 s[58:59], vcc
	s_cbranch_execz .LBB12_114
; %bb.106:                              ;   in Loop: Header=BB12_57 Depth=2
	s_mov_b32 s71, 0
	s_mov_b64 s[60:61], 0
                                        ; implicit-def: $sgpr62_sgpr63
                                        ; implicit-def: $sgpr64_sgpr65
	s_branch .LBB12_108
.LBB12_107:                             ;   in Loop: Header=BB12_108 Depth=3
	s_or_b64 exec, exec, s[68:69]
	s_and_b64 vcc, exec, vcc
	s_or_b64 s[60:61], vcc, s[60:61]
	s_andn2_b64 vcc, s[62:63], exec
	s_and_b64 s[62:63], s[64:65], exec
	s_or_b64 s[62:63], vcc, s[62:63]
	s_andn2_b64 exec, exec, s[60:61]
	s_cbranch_execz .LBB12_112
.LBB12_108:                             ;   Parent Loop BB12_47 Depth=1
                                        ;     Parent Loop BB12_57 Depth=2
                                        ; =>    This Inner Loop Header: Depth=3
	s_add_i32 s71, s71, 1
	s_cmpk_lg_i32 s71, 0x2710
	s_cselect_b64 s[66:67], -1, 0
	s_and_b64 vcc, exec, s[66:67]
                                        ; implicit-def: $sgpr68_sgpr69
	s_cbranch_vccnz .LBB12_110
; %bb.109:                              ;   in Loop: Header=BB12_108 Depth=3
	s_trap 2
	ds_read_b64 v[12:13], v0
	s_andn2_b64 s[66:67], s[66:67], exec
	s_mov_b32 s71, 0
	s_mov_b64 s[68:69], -1
	s_waitcnt vmcnt(0) lgkmcnt(0)
	flat_load_dword v2, v[12:13] sc0 sc1
	s_waitcnt vmcnt(0) lgkmcnt(0)
	buffer_inv sc0 sc1
	v_cmp_eq_u32_e32 vcc, 0, v2
	s_and_b64 vcc, vcc, exec
	s_or_b64 s[66:67], s[66:67], vcc
.LBB12_110:                             ;   in Loop: Header=BB12_108 Depth=3
	s_andn2_b64 s[64:65], s[64:65], exec
	s_and_b64 s[68:69], s[68:69], exec
	s_mov_b64 vcc, -1
	s_or_b64 s[64:65], s[64:65], s[68:69]
	s_and_saveexec_b64 s[68:69], s[66:67]
	s_cbranch_execz .LBB12_107
; %bb.111:                              ;   in Loop: Header=BB12_108 Depth=3
	s_sleep 1
	s_trap 2
	ds_read_b64 v[12:13], v0
	s_andn2_b64 s[64:65], s[64:65], exec
	s_waitcnt lgkmcnt(0)
	v_cmp_ge_u64_e32 vcc, v[12:13], v[32:33]
	s_orn2_b64 vcc, vcc, exec
	s_branch .LBB12_107
.LBB12_112:                             ;   in Loop: Header=BB12_57 Depth=2
	s_or_b64 exec, exec, s[60:61]
	s_and_saveexec_b64 vcc, s[62:63]
	s_xor_b64 vcc, exec, vcc
	s_cbranch_execz .LBB12_114
; %bb.113:                              ;   in Loop: Header=BB12_57 Depth=2
	ds_write_b32 v0, v31
	s_trap 2
.LBB12_114:                             ;   in Loop: Header=BB12_57 Depth=2
	s_or_b64 exec, exec, s[58:59]
	;;#ASMSTART
	s_wakeup
	;;#ASMEND
.LBB12_115:                             ;   in Loop: Header=BB12_57 Depth=2
	s_or_b64 exec, exec, s[56:57]
.LBB12_116:                             ;   in Loop: Header=BB12_57 Depth=2
	s_andn2_saveexec_b64 vcc, s[54:55]
	s_cbranch_execz .LBB12_118
; %bb.117:                              ;   in Loop: Header=BB12_57 Depth=2
	s_waitcnt lgkmcnt(0)
	s_barrier
.LBB12_118:                             ;   in Loop: Header=BB12_57 Depth=2
	s_or_b64 exec, exec, vcc
.LBB12_119:                             ;   in Loop: Header=BB12_57 Depth=2
	s_or_b64 exec, exec, s[22:23]
	s_trap 2
	ds_read_b64 v[12:13], v0
	v_mov_b32_e32 v7, 0
	s_waitcnt lgkmcnt(0)
	v_readfirstlane_b32 s22, v12
	v_readfirstlane_b32 s23, v13
	s_cmp_eq_u64 s[22:23], 0
	s_cselect_b64 s[22:23], -1, 0
	s_or_b64 s[22:23], s[22:23], s[22:23]
	s_and_b64 vcc, exec, s[22:23]
	s_cbranch_vccnz .LBB12_140
; %bb.120:                              ;   in Loop: Header=BB12_57 Depth=2
	s_mov_b64 s[22:23], -1
	s_and_saveexec_b64 s[54:55], s[14:15]
	s_cbranch_execz .LBB12_122
; %bb.121:                              ;   in Loop: Header=BB12_57 Depth=2
	ds_read_b32 v2, v0 offset:720
	s_waitcnt lgkmcnt(0)
	v_and_b32_e32 v2, 15, v2
	v_cmp_eq_u32_e32 vcc, 0, v2
	s_orn2_b64 s[22:23], vcc, exec
.LBB12_122:                             ;   in Loop: Header=BB12_57 Depth=2
	s_or_b64 exec, exec, s[54:55]
	s_and_saveexec_b64 s[54:55], s[16:17]
	s_cbranch_execz .LBB12_124
; %bb.123:                              ;   in Loop: Header=BB12_57 Depth=2
	ds_read_b32 v2, v0 offset:784
	s_waitcnt lgkmcnt(0)
	v_and_b32_e32 v2, 15, v2
	v_cmp_eq_u32_e32 vcc, 0, v2
	s_and_b64 vcc, s[22:23], vcc
	s_andn2_b64 s[22:23], s[22:23], exec
	s_and_b64 vcc, vcc, exec
	s_or_b64 s[22:23], s[22:23], vcc
.LBB12_124:                             ;   in Loop: Header=BB12_57 Depth=2
	s_or_b64 exec, exec, s[54:55]
	v_cmp_eq_u32_e32 vcc, 0, v4
	s_xor_b64 s[22:23], s[22:23], -1
	v_cndmask_b32_e64 v4, 0, 1, s[22:23]
	v_cndmask_b32_e32 v7, 0, v6, vcc
	v_mov_b32_e32 v9, 0
	v_lshlrev_b32_e32 v2, 1, v7
	s_mov_b64 s[56:57], -1
	;;#ASMSTART
	;;#ASMEND
	s_nop 0
	v_cmp_ne_u32_e32 vcc, 0, v4
	s_cbranch_vccz .LBB12_141
; %bb.125:                              ;   in Loop: Header=BB12_57 Depth=2
	v_mov_b32_e32 v17, v58
	v_mov_b32_e32 v12, v50
	s_and_saveexec_b64 s[22:23], s[56:57]
	s_cbranch_execz .LBB12_154
.LBB12_126:                             ;   in Loop: Header=BB12_57 Depth=2
	v_ashrrev_i32_e32 v4, 31, v2
	v_lshrrev_b32_e32 v4, 22, v4
	v_add_u32_e32 v4, v2, v4
	s_waitcnt vmcnt(0)
	v_ashrrev_i32_e32 v20, 10, v4
	v_sub_u32_e32 v18, v20, v12
	v_ashrrev_i32_e32 v4, 31, v17
	v_cmp_lt_i32_e32 vcc, 0, v18
	v_lshrrev_b32_e32 v19, 26, v4
	s_and_saveexec_b64 s[54:55], vcc
	s_cbranch_execz .LBB12_130
; %bb.127:                              ;   in Loop: Header=BB12_57 Depth=2
	v_mov_b64_e32 v[0:1], v[32:33]
	s_trap 2
	ds_read_b64 v[4:5], v0
	v_add_u32_e32 v13, v17, v19
	v_and_b32_e32 v13, 0x7fffffc0, v13
	v_sub_u32_e32 v13, v17, v13
	v_lshlrev_b32_e32 v13, 1, v13
	v_lshlrev_b32_e32 v12, 10, v12
	v_add3_u32 v12, v13, v9, v12
	v_ashrrev_i32_e32 v13, 31, v12
	s_mov_b64 s[56:57], 0
	s_waitcnt lgkmcnt(0)
	v_mov_b64_e32 v[14:15], v[4:5]
.LBB12_128:                             ;   Parent Loop BB12_47 Depth=1
                                        ;     Parent Loop BB12_57 Depth=2
                                        ; =>    This Inner Loop Header: Depth=3
	v_lshl_add_u64 v[22:23], v[12:13], 0, v[14:15]
	flat_load_ushort v21, v[22:23] nt
	flat_load_ushort v24, v[22:23] offset:128 nt
	flat_load_ushort v25, v[22:23] offset:256 nt
	;; [unrolled: 1-line block ×7, first 2 shown]
	v_sub_u32_e32 v18, v18, v52
	v_cmp_gt_i32_e32 vcc, 1, v18
	v_lshl_add_u64 v[22:23], v[12:13], 0, v[4:5]
	v_lshl_add_u64 v[14:15], v[14:15], 0, v[28:29]
	;; [unrolled: 1-line block ×3, first 2 shown]
	s_or_b64 s[56:57], vcc, s[56:57]
	s_waitcnt vmcnt(0) lgkmcnt(0)
	flat_store_short v[22:23], v21 nt
	flat_store_short v[22:23], v24 offset:128 nt
	flat_store_short v[22:23], v25 offset:256 nt
	;; [unrolled: 1-line block ×7, first 2 shown]
	s_andn2_b64 exec, exec, s[56:57]
	s_cbranch_execnz .LBB12_128
; %bb.129:                              ;   in Loop: Header=BB12_57 Depth=2
	s_or_b64 exec, exec, s[56:57]
	v_accvgpr_read_b32 v26, a36
	v_mov_b64_e32 v[32:33], v[0:1]
	v_accvgpr_read_b32 v27, a37
	v_mov_b32_e32 v31, 1
.LBB12_130:                             ;   in Loop: Header=BB12_57 Depth=2
	s_or_b64 exec, exec, s[54:55]
	v_lshlrev_b32_e32 v4, 10, v20
	v_cmp_ne_u32_e32 vcc, v2, v4
	s_and_saveexec_b64 s[54:55], vcc
	s_cbranch_execz .LBB12_134
; %bb.131:                              ;   in Loop: Header=BB12_57 Depth=2
	v_add_u32_e32 v5, v17, v19
	v_and_b32_e32 v5, 0xffffffc0, v5
	v_sub_u32_e32 v5, v17, v5
	v_lshlrev_b32_e32 v12, 6, v18
	v_sub_u32_e32 v5, v5, v12
	v_ashrrev_i32_e32 v12, 31, v5
	v_lshrrev_b32_e32 v12, 26, v12
	v_add_u32_e32 v12, v5, v12
	v_and_b32_e32 v13, 0x7fffffc0, v12
	v_sub_u32_e32 v5, v5, v13
	v_lshlrev_b32_e32 v12, 1, v12
	v_and_b32_e32 v12, 0xffffff80, v12
	v_lshlrev_b32_e32 v5, 1, v5
	v_add3_u32 v12, v12, v5, v4
	v_sub_u32_e32 v2, v2, v12
	v_cmp_lt_i32_e32 vcc, 1, v2
	s_and_b64 exec, exec, vcc
	s_cbranch_execz .LBB12_134
; %bb.132:                              ;   in Loop: Header=BB12_57 Depth=2
	s_trap 2
	ds_read_b64 v[4:5], v0
	v_add_u32_e32 v12, v12, v9
	v_ashrrev_i32_e32 v13, 31, v12
	s_mov_b64 s[56:57], 0
.LBB12_133:                             ;   Parent Loop BB12_47 Depth=1
                                        ;     Parent Loop BB12_57 Depth=2
                                        ; =>    This Inner Loop Header: Depth=3
	s_waitcnt lgkmcnt(0)
	v_lshl_add_u64 v[14:15], v[4:5], 0, v[12:13]
	flat_load_ushort v9, v[14:15] nt
	v_sub_u32_e32 v2, v2, v45
	v_cmp_gt_i32_e32 vcc, 2, v2
	v_lshl_add_u64 v[12:13], v[12:13], 0, v[26:27]
	s_or_b64 s[56:57], vcc, s[56:57]
	s_waitcnt vmcnt(0) lgkmcnt(0)
	flat_store_short v[14:15], v9 nt
	s_andn2_b64 exec, exec, s[56:57]
	s_cbranch_execnz .LBB12_133
.LBB12_134:                             ;   in Loop: Header=BB12_57 Depth=2
	s_or_b64 exec, exec, s[54:55]
	scratch_load_dwordx2 v[20:21], off, s33 offset:156 ; 8-byte Folded Reload
	v_accvgpr_read_b32 v18, a42
	v_accvgpr_read_b32 v19, a43
	s_or_b64 exec, exec, s[22:23]
	s_and_saveexec_b64 s[22:23], s[4:5]
	s_cbranch_execnz .LBB12_155
.LBB12_135:                             ;   in Loop: Header=BB12_57 Depth=2
	s_or_b64 exec, exec, s[22:23]
                                        ; implicit-def: $vgpr2
	s_and_saveexec_b64 s[22:23], s[20:21]
	s_xor_b64 s[54:55], exec, s[22:23]
	s_cbranch_execz .LBB12_173
.LBB12_136:                             ;   in Loop: Header=BB12_57 Depth=2
	v_and_b32_e32 v4, 16, v62
	v_cmp_lt_i32_e32 vcc, 0, v7
	v_cmp_ne_u32_e64 s[22:23], 0, v4
	v_and_b32_e32 v2, 16, v62
	s_and_b64 vcc, s[22:23], vcc
	s_and_saveexec_b64 s[22:23], vcc
	s_cbranch_execz .LBB12_138
; %bb.137:                              ;   in Loop: Header=BB12_57 Depth=2
	v_mov_b32_e32 v2, 1
	buffer_wbl2 sc1
	s_waitcnt vmcnt(0) lgkmcnt(0)
	buffer_inv sc1
.LBB12_138:                             ;   in Loop: Header=BB12_57 Depth=2
	s_or_b64 exec, exec, s[22:23]
	s_andn2_saveexec_b64 s[22:23], s[54:55]
	s_cbranch_execnz .LBB12_174
.LBB12_139:                             ;   in Loop: Header=BB12_57 Depth=2
	s_or_b64 exec, exec, s[22:23]
	v_cmp_ne_u32_e32 vcc, 0, v2
	s_and_saveexec_b64 s[22:23], vcc
	s_cbranch_execz .LBB12_56
	s_branch .LBB12_192
.LBB12_140:                             ;   in Loop: Header=BB12_57 Depth=2
	s_and_saveexec_b64 s[22:23], s[4:5]
	s_cbranch_execnz .LBB12_155
	s_branch .LBB12_135
.LBB12_141:                             ;   in Loop: Header=BB12_57 Depth=2
	v_ashrrev_i32_e32 v4, 31, v2
	v_lshrrev_b32_e32 v4, 20, v4
	v_add_u32_e32 v4, v2, v4
	v_ashrrev_i32_e32 v9, 12, v4
	v_sub_u32_e32 v15, v9, v50
	v_cmp_lt_i32_e32 vcc, 0, v15
	s_and_saveexec_b64 s[22:23], vcc
	s_cbranch_execz .LBB12_145
; %bb.142:                              ;   in Loop: Header=BB12_57 Depth=2
	v_mov_b64_e32 v[0:1], v[32:33]
	s_trap 2
	ds_read_b64 v[4:5], v0
	s_mov_b64 s[54:55], 0
	s_waitcnt lgkmcnt(0)
	v_mov_b64_e32 v[12:13], v[4:5]
.LBB12_143:                             ;   Parent Loop BB12_47 Depth=1
                                        ;     Parent Loop BB12_57 Depth=2
                                        ; =>    This Inner Loop Header: Depth=3
	s_waitcnt vmcnt(0)
	v_lshl_add_u64 v[26:27], v[20:21], 0, v[12:13]
	global_load_dwordx4 v[18:21], v[26:27], off nt
	global_load_dwordx4 v[22:25], v[26:27], off offset:1024 nt
	global_load_dwordx4 v[30:33], v[26:27], off offset:2048 nt
	;; [unrolled: 1-line block ×3, first 2 shown]
	s_nop 0
	scratch_load_dwordx2 v[26:27], off, s33 offset:156 ; 8-byte Folded Reload
	v_sub_u32_e32 v15, v15, v52
	v_cmp_gt_i32_e32 vcc, 1, v15
	v_lshl_add_u64 v[12:13], v[12:13], 0, v[54:55]
	s_or_b64 s[54:55], vcc, s[54:55]
	s_waitcnt vmcnt(0)
	v_lshl_add_u64 v[26:27], v[26:27], 0, v[4:5]
	global_store_dwordx4 v[26:27], v[18:21], off nt
	scratch_load_dwordx2 v[20:21], off, s33 offset:156 ; 8-byte Folded Reload
	v_lshl_add_u64 v[4:5], v[4:5], 0, v[54:55]
	global_store_dwordx4 v[26:27], v[22:25], off offset:1024 nt
	global_store_dwordx4 v[26:27], v[30:33], off offset:2048 nt
	;; [unrolled: 1-line block ×3, first 2 shown]
	s_andn2_b64 exec, exec, s[54:55]
	s_cbranch_execnz .LBB12_143
; %bb.144:                              ;   in Loop: Header=BB12_57 Depth=2
	s_or_b64 exec, exec, s[54:55]
	v_accvgpr_read_b32 v37, a21
	v_accvgpr_read_b32 v35, a29
	;; [unrolled: 1-line block ×6, first 2 shown]
	v_mov_b64_e32 v[32:33], v[0:1]
	v_accvgpr_read_b32 v27, a37
	v_accvgpr_read_b32 v19, a43
	v_mov_b32_e32 v31, 1
.LBB12_145:                             ;   in Loop: Header=BB12_57 Depth=2
	s_or_b64 exec, exec, s[22:23]
	v_lshlrev_b32_e32 v14, 12, v9
	v_cmp_ne_u32_e32 vcc, v2, v14
	s_mov_b64 s[56:57], 0
	v_mov_b32_e32 v9, 0
                                        ; implicit-def: $vgpr17
                                        ; implicit-def: $vgpr12
	s_and_saveexec_b64 s[54:55], vcc
	s_cbranch_execz .LBB12_153
; %bb.146:                              ;   in Loop: Header=BB12_57 Depth=2
	v_lshlrev_b32_e32 v5, 6, v15
	v_sub_u32_e32 v5, v59, v5
	v_ashrrev_i32_e32 v9, 31, v5
	v_lshrrev_b32_e32 v9, 26, v9
	v_add_u32_e32 v9, v5, v9
	v_ashrrev_i32_e32 v13, 6, v9
	v_and_b32_e32 v9, 0xffffffc0, v9
	v_sub_u32_e32 v15, v5, v9
	v_sub_u32_e32 v4, v2, v14
	v_lshlrev_b32_e32 v5, 4, v15
	v_lshl_add_u32 v12, v13, 10, v5
	v_ashrrev_i32_e32 v5, 31, v4
	v_lshrrev_b32_e32 v5, 22, v5
	v_add_u32_e32 v5, v4, v5
	v_and_b32_e32 v18, 0xfffffc00, v5
	s_waitcnt vmcnt(0)
	v_sub_u32_e32 v20, v4, v18
	v_ashrrev_i32_e32 v17, 10, v5
	v_cmp_lt_i32_e32 vcc, 15, v20
	v_sub_u32_e32 v9, v4, v12
	s_nop 0
	v_addc_co_u32_e64 v4, s[22:23], 0, v17, vcc
	v_sub_u32_e32 v19, v4, v13
	v_cmp_lt_i32_e64 s[22:23], 15, v9
	s_and_saveexec_b64 s[56:57], s[22:23]
	s_cbranch_execz .LBB12_150
; %bb.147:                              ;   in Loop: Header=BB12_57 Depth=2
	s_trap 2
	ds_read_b64 v[4:5], v0
	v_add_u32_e32 v12, v12, v14
	v_ashrrev_i32_e32 v13, 31, v12
	s_mov_b64 s[58:59], 0
	v_accvgpr_read_b32 v0, a3
.LBB12_148:                             ;   Parent Loop BB12_47 Depth=1
                                        ;     Parent Loop BB12_57 Depth=2
                                        ; =>    This Inner Loop Header: Depth=3
	s_waitcnt lgkmcnt(0)
	v_lshl_add_u64 v[26:27], v[4:5], 0, v[12:13]
	global_load_dwordx4 v[22:25], v[26:27], off nt
	v_sub_u32_e32 v9, v9, v0
	v_cmp_gt_i32_e64 s[22:23], 16, v9
	v_sub_u32_e32 v19, v19, v52
	v_lshl_add_u64 v[12:13], v[12:13], 0, v[28:29]
	s_or_b64 s[58:59], s[22:23], s[58:59]
	s_waitcnt vmcnt(0)
	global_store_dwordx4 v[26:27], v[22:25], off nt
	s_andn2_b64 exec, exec, s[58:59]
	s_cbranch_execnz .LBB12_148
; %bb.149:                              ;   in Loop: Header=BB12_57 Depth=2
	s_or_b64 exec, exec, s[58:59]
	v_accvgpr_read_b32 v26, a36
	v_accvgpr_read_b32 v27, a37
.LBB12_150:                             ;   in Loop: Header=BB12_57 Depth=2
	s_or_b64 exec, exec, s[56:57]
	v_and_b32_e32 v4, 14, v2
	v_cndmask_b32_e32 v2, v20, v4, vcc
	v_cmp_ne_u32_e64 s[22:23], 0, v2
	s_mov_b64 s[56:57], 0
	v_mov_b32_e32 v9, 0
                                        ; implicit-def: $vgpr17
                                        ; implicit-def: $vgpr12
	s_and_saveexec_b64 s[58:59], s[22:23]
	s_cbranch_execz .LBB12_152
; %bb.151:                              ;   in Loop: Header=BB12_57 Depth=2
	v_sub_u32_e32 v4, v20, v4
	v_cndmask_b32_e32 v4, 0, v4, vcc
	v_cmp_lt_i32_e32 vcc, 0, v19
	v_add3_u32 v9, v18, v14, v4
	s_mov_b64 s[56:57], exec
	v_cndmask_b32_e32 v4, 0, v52, vcc
	v_sub_u32_e32 v4, v4, v19
	v_lshl_add_u32 v17, v4, 6, v15
	v_ashrrev_i32_e32 v4, 31, v17
	v_lshrrev_b32_e32 v4, 26, v4
	v_add_u32_e32 v4, v17, v4
	v_ashrrev_i32_e32 v12, 6, v4
.LBB12_152:                             ;   in Loop: Header=BB12_57 Depth=2
	s_or_b64 exec, exec, s[58:59]
	scratch_load_dwordx2 v[20:21], off, s33 offset:156 ; 8-byte Folded Reload
	v_accvgpr_read_b32 v18, a42
	s_and_b64 s[56:57], s[56:57], exec
	v_accvgpr_read_b32 v19, a43
.LBB12_153:                             ;   in Loop: Header=BB12_57 Depth=2
	s_or_b64 exec, exec, s[54:55]
	s_and_saveexec_b64 s[22:23], s[56:57]
	s_cbranch_execnz .LBB12_126
.LBB12_154:                             ;   in Loop: Header=BB12_57 Depth=2
	s_or_b64 exec, exec, s[22:23]
	s_and_saveexec_b64 s[22:23], s[4:5]
	s_cbranch_execz .LBB12_135
.LBB12_155:                             ;   in Loop: Header=BB12_57 Depth=2
	s_and_saveexec_b64 vcc, s[38:39]
	s_xor_b64 s[54:55], exec, vcc
	s_cbranch_execz .LBB12_170
; %bb.156:                              ;   in Loop: Header=BB12_57 Depth=2
	s_and_saveexec_b64 s[56:57], s[12:13]
	s_cbranch_execz .LBB12_169
; %bb.157:                              ;   in Loop: Header=BB12_57 Depth=2
	s_mov_b64 s[60:61], exec
	v_mbcnt_lo_u32_b32 v2, s60, 0
	v_mbcnt_hi_u32_b32 v2, s61, v2
	v_cmp_eq_u32_e32 vcc, 0, v2
	s_waitcnt lgkmcnt(0)
	s_and_saveexec_b64 s[58:59], vcc
	s_cbranch_execz .LBB12_159
; %bb.158:                              ;   in Loop: Header=BB12_57 Depth=2
	s_bcnt1_i32_b64 vcc_lo, s[60:61]
	v_mov_b32_e32 v2, vcc_lo
	ds_add_u64 v0, v[2:3]
	s_trap 2
.LBB12_159:                             ;   in Loop: Header=BB12_57 Depth=2
	s_or_b64 exec, exec, s[58:59]
	s_trap 2
	ds_read_b64 v[4:5], v0
	v_lshl_add_u64 v[32:33], v[32:33], 0, v[52:53]
	s_waitcnt lgkmcnt(0)
	v_cmp_lt_u64_e32 vcc, v[4:5], v[32:33]
	s_and_saveexec_b64 s[58:59], vcc
	s_cbranch_execz .LBB12_168
; %bb.160:                              ;   in Loop: Header=BB12_57 Depth=2
	s_mov_b32 s71, 0
	s_mov_b64 s[60:61], 0
                                        ; implicit-def: $sgpr62_sgpr63
                                        ; implicit-def: $sgpr64_sgpr65
	s_branch .LBB12_162
.LBB12_161:                             ;   in Loop: Header=BB12_162 Depth=3
	s_or_b64 exec, exec, s[68:69]
	s_and_b64 vcc, exec, vcc
	s_or_b64 s[60:61], vcc, s[60:61]
	s_andn2_b64 vcc, s[62:63], exec
	s_and_b64 s[62:63], s[64:65], exec
	s_or_b64 s[62:63], vcc, s[62:63]
	s_andn2_b64 exec, exec, s[60:61]
	s_cbranch_execz .LBB12_166
.LBB12_162:                             ;   Parent Loop BB12_47 Depth=1
                                        ;     Parent Loop BB12_57 Depth=2
                                        ; =>    This Inner Loop Header: Depth=3
	s_add_i32 s71, s71, 1
	s_cmpk_lg_i32 s71, 0x2710
	s_cselect_b64 s[66:67], -1, 0
	s_and_b64 vcc, exec, s[66:67]
                                        ; implicit-def: $sgpr68_sgpr69
	s_cbranch_vccnz .LBB12_164
; %bb.163:                              ;   in Loop: Header=BB12_162 Depth=3
	s_trap 2
	ds_read_b64 v[4:5], v0
	s_andn2_b64 s[66:67], s[66:67], exec
	s_mov_b32 s71, 0
	s_mov_b64 s[68:69], -1
	s_waitcnt vmcnt(0) lgkmcnt(0)
	flat_load_dword v2, v[4:5] sc0 sc1
	s_waitcnt vmcnt(0) lgkmcnt(0)
	buffer_inv sc0 sc1
	v_cmp_eq_u32_e32 vcc, 0, v2
	s_and_b64 vcc, vcc, exec
	s_or_b64 s[66:67], s[66:67], vcc
.LBB12_164:                             ;   in Loop: Header=BB12_162 Depth=3
	s_andn2_b64 s[64:65], s[64:65], exec
	s_and_b64 s[68:69], s[68:69], exec
	s_mov_b64 vcc, -1
	s_or_b64 s[64:65], s[64:65], s[68:69]
	s_and_saveexec_b64 s[68:69], s[66:67]
	s_cbranch_execz .LBB12_161
; %bb.165:                              ;   in Loop: Header=BB12_162 Depth=3
	s_sleep 1
	s_trap 2
	ds_read_b64 v[4:5], v0
	s_andn2_b64 s[64:65], s[64:65], exec
	s_waitcnt lgkmcnt(0)
	v_cmp_ge_u64_e32 vcc, v[4:5], v[32:33]
	s_orn2_b64 vcc, vcc, exec
	s_branch .LBB12_161
.LBB12_166:                             ;   in Loop: Header=BB12_57 Depth=2
	s_or_b64 exec, exec, s[60:61]
	s_and_saveexec_b64 vcc, s[62:63]
	s_xor_b64 vcc, exec, vcc
	s_cbranch_execz .LBB12_168
; %bb.167:                              ;   in Loop: Header=BB12_57 Depth=2
	ds_write_b32 v0, v31
	s_trap 2
.LBB12_168:                             ;   in Loop: Header=BB12_57 Depth=2
	s_or_b64 exec, exec, s[58:59]
	;;#ASMSTART
	s_wakeup
	;;#ASMEND
.LBB12_169:                             ;   in Loop: Header=BB12_57 Depth=2
	s_or_b64 exec, exec, s[56:57]
.LBB12_170:                             ;   in Loop: Header=BB12_57 Depth=2
	s_andn2_saveexec_b64 vcc, s[54:55]
	s_cbranch_execz .LBB12_172
; %bb.171:                              ;   in Loop: Header=BB12_57 Depth=2
	s_waitcnt lgkmcnt(0)
	s_barrier
.LBB12_172:                             ;   in Loop: Header=BB12_57 Depth=2
	s_or_b64 exec, exec, vcc
	s_or_b64 exec, exec, s[22:23]
                                        ; implicit-def: $vgpr2
	s_and_saveexec_b64 s[22:23], s[20:21]
	s_xor_b64 s[54:55], exec, s[22:23]
	s_cbranch_execnz .LBB12_136
.LBB12_173:                             ;   in Loop: Header=BB12_57 Depth=2
	s_andn2_saveexec_b64 s[22:23], s[54:55]
	s_cbranch_execz .LBB12_139
.LBB12_174:                             ;   in Loop: Header=BB12_57 Depth=2
	s_and_saveexec_b64 vcc, s[38:39]
	s_xor_b64 s[54:55], exec, vcc
	s_cbranch_execz .LBB12_189
; %bb.175:                              ;   in Loop: Header=BB12_57 Depth=2
	s_and_saveexec_b64 s[56:57], s[12:13]
	s_cbranch_execz .LBB12_188
; %bb.176:                              ;   in Loop: Header=BB12_57 Depth=2
	s_mov_b64 s[60:61], exec
	v_mbcnt_lo_u32_b32 v2, s60, 0
	v_mbcnt_hi_u32_b32 v2, s61, v2
	v_cmp_eq_u32_e32 vcc, 0, v2
	;;#ASMSTART
	s_waitcnt lgkmcnt(0) vmcnt(0)
	;;#ASMEND
	s_and_saveexec_b64 s[58:59], vcc
	s_cbranch_execz .LBB12_178
; %bb.177:                              ;   in Loop: Header=BB12_57 Depth=2
	s_bcnt1_i32_b64 vcc_lo, s[60:61]
	v_mov_b32_e32 v2, vcc_lo
	ds_add_u64 v0, v[2:3]
	s_trap 2
.LBB12_178:                             ;   in Loop: Header=BB12_57 Depth=2
	s_or_b64 exec, exec, s[58:59]
	s_trap 2
	ds_read_b64 v[4:5], v0
	v_lshl_add_u64 v[32:33], v[32:33], 0, v[52:53]
	s_waitcnt lgkmcnt(0)
	v_cmp_lt_u64_e32 vcc, v[4:5], v[32:33]
	s_and_saveexec_b64 s[58:59], vcc
	s_cbranch_execz .LBB12_187
; %bb.179:                              ;   in Loop: Header=BB12_57 Depth=2
	s_mov_b32 s71, 0
	s_mov_b64 s[60:61], 0
                                        ; implicit-def: $sgpr62_sgpr63
                                        ; implicit-def: $sgpr64_sgpr65
	s_branch .LBB12_181
.LBB12_180:                             ;   in Loop: Header=BB12_181 Depth=3
	s_or_b64 exec, exec, s[68:69]
	s_and_b64 vcc, exec, vcc
	s_or_b64 s[60:61], vcc, s[60:61]
	s_andn2_b64 vcc, s[62:63], exec
	s_and_b64 s[62:63], s[64:65], exec
	s_or_b64 s[62:63], vcc, s[62:63]
	s_andn2_b64 exec, exec, s[60:61]
	s_cbranch_execz .LBB12_185
.LBB12_181:                             ;   Parent Loop BB12_47 Depth=1
                                        ;     Parent Loop BB12_57 Depth=2
                                        ; =>    This Inner Loop Header: Depth=3
	s_add_i32 s71, s71, 1
	s_cmpk_lg_i32 s71, 0x2710
	s_cselect_b64 s[66:67], -1, 0
	s_and_b64 vcc, exec, s[66:67]
                                        ; implicit-def: $sgpr68_sgpr69
	s_cbranch_vccnz .LBB12_183
; %bb.182:                              ;   in Loop: Header=BB12_181 Depth=3
	s_trap 2
	ds_read_b64 v[4:5], v0
	s_andn2_b64 s[66:67], s[66:67], exec
	s_mov_b32 s71, 0
	s_mov_b64 s[68:69], -1
	s_waitcnt vmcnt(0) lgkmcnt(0)
	flat_load_dword v2, v[4:5] sc0 sc1
	s_waitcnt vmcnt(0) lgkmcnt(0)
	buffer_inv sc0 sc1
	v_cmp_eq_u32_e32 vcc, 0, v2
	s_and_b64 vcc, vcc, exec
	s_or_b64 s[66:67], s[66:67], vcc
.LBB12_183:                             ;   in Loop: Header=BB12_181 Depth=3
	s_andn2_b64 s[64:65], s[64:65], exec
	s_and_b64 s[68:69], s[68:69], exec
	s_mov_b64 vcc, -1
	s_or_b64 s[64:65], s[64:65], s[68:69]
	s_and_saveexec_b64 s[68:69], s[66:67]
	s_cbranch_execz .LBB12_180
; %bb.184:                              ;   in Loop: Header=BB12_181 Depth=3
	s_sleep 1
	s_trap 2
	ds_read_b64 v[4:5], v0
	s_andn2_b64 s[64:65], s[64:65], exec
	s_waitcnt lgkmcnt(0)
	v_cmp_ge_u64_e32 vcc, v[4:5], v[32:33]
	s_orn2_b64 vcc, vcc, exec
	s_branch .LBB12_180
.LBB12_185:                             ;   in Loop: Header=BB12_57 Depth=2
	s_or_b64 exec, exec, s[60:61]
	s_and_saveexec_b64 vcc, s[62:63]
	s_xor_b64 vcc, exec, vcc
	s_cbranch_execz .LBB12_187
; %bb.186:                              ;   in Loop: Header=BB12_57 Depth=2
	ds_write_b32 v0, v31
	s_trap 2
.LBB12_187:                             ;   in Loop: Header=BB12_57 Depth=2
	s_or_b64 exec, exec, s[58:59]
	;;#ASMSTART
	s_wakeup
	;;#ASMEND
.LBB12_188:                             ;   in Loop: Header=BB12_57 Depth=2
	s_or_b64 exec, exec, s[56:57]
.LBB12_189:                             ;   in Loop: Header=BB12_57 Depth=2
	s_andn2_saveexec_b64 vcc, s[54:55]
	s_cbranch_execz .LBB12_191
; %bb.190:                              ;   in Loop: Header=BB12_57 Depth=2
	;;#ASMSTART
	s_waitcnt lgkmcnt(0) vmcnt(0)
	;;#ASMEND
	s_barrier
.LBB12_191:                             ;   in Loop: Header=BB12_57 Depth=2
	s_or_b64 exec, exec, vcc
	v_and_b32_e32 v2, 16, v62
	s_or_b64 exec, exec, s[22:23]
	v_cmp_ne_u32_e32 vcc, 0, v2
	s_and_saveexec_b64 s[22:23], vcc
	s_cbranch_execz .LBB12_56
.LBB12_192:                             ;   in Loop: Header=BB12_57 Depth=2
	s_and_saveexec_b64 vcc, s[10:11]
	s_cbranch_execz .LBB12_55
; %bb.193:                              ;   in Loop: Header=BB12_57 Depth=2
	flat_store_dword v[36:37], v31 sc0 sc1
	s_branch .LBB12_55
.LBB12_194:                             ;   in Loop: Header=BB12_47 Depth=1
	s_or_b64 exec, exec, s[26:27]
.LBB12_195:                             ;   in Loop: Header=BB12_47 Depth=1
	s_or_b64 exec, exec, s[24:25]
	v_cmp_gt_i32_e32 vcc, 2, v2
	s_and_saveexec_b64 s[24:25], vcc
	s_cbranch_execz .LBB12_267
; %bb.196:                              ;   in Loop: Header=BB12_47 Depth=1
	v_cmp_eq_u32_e64 s[22:23], 0, v2
	s_mov_b64 s[26:27], 0
	s_branch .LBB12_199
.LBB12_197:                             ;   in Loop: Header=BB12_199 Depth=2
	s_or_b64 exec, exec, s[28:29]
	v_lshl_add_u64 v[40:41], v[40:41], 0, 2
	flat_store_dwordx2 v[42:43], v[40:41] sc0 sc1
.LBB12_198:                             ;   in Loop: Header=BB12_199 Depth=2
	s_or_b64 exec, exec, s[22:23]
	v_add_u32_e32 v8, v6, v8
	s_mov_b64 s[22:23], 0
	s_andn2_b64 exec, exec, s[26:27]
	s_cbranch_execz .LBB12_266
.LBB12_199:                             ;   Parent Loop BB12_47 Depth=1
                                        ; =>  This Loop Header: Depth=2
                                        ;       Child Loop BB12_205 Depth 3
                                        ;       Child Loop BB12_234 Depth 3
	;; [unrolled: 1-line block ×3, first 2 shown]
	v_and_b32_e32 v2, 8, v62
	s_mov_b64 s[54:55], -1
	v_cmp_ne_u32_e32 vcc, 0, v2
	s_and_saveexec_b64 s[28:29], vcc
	s_cbranch_execz .LBB12_211
; %bb.200:                              ;   in Loop: Header=BB12_199 Depth=2
	v_lshl_add_u64 v[10:11], v[56:57], 0, 8
	v_lshl_add_u64 v[4:5], v[40:41], 0, 2
	v_cmp_lt_u64_e32 vcc, v[10:11], v[4:5]
	v_mov_b32_e32 v2, 1
	s_and_saveexec_b64 s[54:55], vcc
	s_cbranch_execz .LBB12_210
; %bb.201:                              ;   in Loop: Header=BB12_199 Depth=2
	s_mov_b64 s[56:57], 0
	v_mov_b32_e32 v2, 0
                                        ; implicit-def: $sgpr58_sgpr59
	s_branch .LBB12_205
.LBB12_202:                             ;   in Loop: Header=BB12_205 Depth=3
	s_or_b64 exec, exec, s[66:67]
	v_mov_b32_e32 v7, 0
	s_orn2_b64 s[64:65], s[64:65], exec
.LBB12_203:                             ;   in Loop: Header=BB12_205 Depth=3
	s_or_b64 exec, exec, s[62:63]
	s_andn2_b64 vcc, s[58:59], exec
	s_and_b64 s[58:59], s[64:65], exec
	s_or_b64 s[58:59], vcc, s[58:59]
	v_mov_b32_e32 v2, v7
.LBB12_204:                             ;   in Loop: Header=BB12_205 Depth=3
	s_or_b64 exec, exec, s[60:61]
	s_waitcnt vmcnt(0) lgkmcnt(0)
	v_lshl_add_u64 v[10:11], v[56:57], 0, 8
	v_cmp_ge_u64_e32 vcc, v[10:11], v[4:5]
	s_xor_b64 s[60:61], s[58:59], -1
	s_or_b64 vcc, s[60:61], vcc
	s_and_b64 vcc, exec, vcc
	s_or_b64 s[56:57], vcc, s[56:57]
	s_andn2_b64 exec, exec, s[56:57]
	s_cbranch_execz .LBB12_209
.LBB12_205:                             ;   Parent Loop BB12_47 Depth=1
                                        ;     Parent Loop BB12_199 Depth=2
                                        ; =>    This Inner Loop Header: Depth=3
	s_sleep 1
	flat_load_dwordx2 v[56:57], v[42:43] sc0 sc1
	v_and_b32_e32 v7, 64, v62
	v_cmp_eq_u32_e32 vcc, 0, v7
	s_andn2_b64 s[58:59], s[58:59], exec
	s_and_saveexec_b64 s[60:61], vcc
	s_cbranch_execz .LBB12_204
; %bb.206:                              ;   in Loop: Header=BB12_205 Depth=3
	v_add_u32_e32 v7, 1, v2
	v_cmp_lt_i32_e32 vcc, s82, v2
	s_mov_b64 s[64:65], -1
	s_and_saveexec_b64 s[62:63], vcc
	s_cbranch_execz .LBB12_203
; %bb.207:                              ;   in Loop: Header=BB12_205 Depth=3
	s_trap 2
	ds_read_b64 v[10:11], v0
	s_waitcnt vmcnt(0) lgkmcnt(0)
	flat_load_dword v2, v[10:11] sc0 sc1
	s_waitcnt vmcnt(0) lgkmcnt(0)
	buffer_inv sc0 sc1
	v_cmp_ne_u32_e32 vcc, 0, v2
	s_and_saveexec_b64 s[66:67], vcc
	s_cbranch_execz .LBB12_202
; %bb.208:                              ;   in Loop: Header=BB12_205 Depth=3
	v_or_b32_e32 v62, 64, v62
	s_xor_b64 s[64:65], exec, -1
	ds_write_b32 v0, v2
	s_trap 2
	s_branch .LBB12_202
.LBB12_209:                             ;   in Loop: Header=BB12_199 Depth=2
	s_or_b64 exec, exec, s[56:57]
	v_and_b32_e32 v2, 8, v62
.LBB12_210:                             ;   in Loop: Header=BB12_199 Depth=2
	s_or_b64 exec, exec, s[54:55]
	v_cmp_eq_u32_e32 vcc, 0, v2
	s_orn2_b64 s[54:55], vcc, exec
	;;#ASMSTART
	s_wakeup
	;;#ASMEND
.LBB12_211:                             ;   in Loop: Header=BB12_199 Depth=2
	s_or_b64 exec, exec, s[28:29]
	s_xor_b64 s[22:23], s[22:23], -1
	s_and_b64 s[22:23], exec, s[22:23]
	s_or_b64 s[26:27], s[22:23], s[26:27]
	v_sub_u32_e32 v2, v16, v8
	s_xor_b64 s[22:23], s[54:55], -1
	v_min_i32_e32 v6, v6, v2
	s_and_saveexec_b64 s[28:29], s[22:23]
	s_cbranch_execz .LBB12_226
; %bb.212:                              ;   in Loop: Header=BB12_199 Depth=2
	v_and_b32_e32 v2, 0x100, v62
	v_cmp_ne_u32_e32 vcc, 0, v2
	v_and_b32_e32 v2, 7, v40
	s_mov_b64 s[22:23], -1
                                        ; implicit-def: $vgpr4_vgpr5
	s_and_saveexec_b64 s[54:55], vcc
	s_cbranch_execz .LBB12_216
; %bb.213:                              ;   in Loop: Header=BB12_199 Depth=2
	v_mad_u64_u32 v[10:11], s[22:23], v2, 24, v[48:49]
	flat_load_dword v9, v[10:11]
	v_ashrrev_i32_e32 v7, 31, v6
	v_lshlrev_b64 v[4:5], 1, v[6:7]
	flat_store_dwordx2 v[10:11], v[4:5] offset:8
                                        ; implicit-def: $vgpr4_vgpr5
	s_waitcnt vmcnt(0) lgkmcnt(0)
	v_cmp_ne_u32_e32 vcc, 1, v9
	v_cmp_eq_u32_e64 s[22:23], 1, v9
	s_and_saveexec_b64 s[56:57], s[22:23]
	s_cbranch_execz .LBB12_215
; %bb.214:                              ;   in Loop: Header=BB12_199 Depth=2
	flat_load_dword v4, v[10:11] offset:4 sc0 sc1
	s_waitcnt vmcnt(0) lgkmcnt(0)
	v_ashrrev_i32_e32 v5, 31, v4
	v_lshrrev_b64 v[4:5], 1, v[4:5]
.LBB12_215:                             ;   in Loop: Header=BB12_199 Depth=2
	s_or_b64 exec, exec, s[56:57]
	s_orn2_b64 s[22:23], vcc, exec
.LBB12_216:                             ;   in Loop: Header=BB12_199 Depth=2
	s_or_b64 exec, exec, s[54:55]
	s_and_saveexec_b64 vcc, s[22:23]
; %bb.217:                              ;   in Loop: Header=BB12_199 Depth=2
	v_mad_i64_i32 v[4:5], s[22:23], v2, v44, 0
; %bb.218:                              ;   in Loop: Header=BB12_199 Depth=2
	s_or_b64 exec, exec, vcc
	v_and_b32_e32 v2, 0x2000, v62
	v_lshl_add_u64 v[4:5], v[4:5], 1, v[38:39]
	v_cmp_ne_u32_e32 vcc, 0, v2
	ds_write_b64 v0, v[4:5] offset:784
	s_and_saveexec_b64 s[22:23], vcc
	s_cbranch_execz .LBB12_220
; %bb.219:                              ;   in Loop: Header=BB12_199 Depth=2
	ds_read_b64 v[4:5], v0 offset:584
	s_waitcnt lgkmcnt(0)
	v_lshl_add_u64 v[4:5], v[4:5], 0, 1
	ds_write_b64 v0, v[4:5] offset:584
.LBB12_220:                             ;   in Loop: Header=BB12_199 Depth=2
	s_or_b64 exec, exec, s[22:23]
	v_lshl_add_u64 v[40:41], v[40:41], 0, 2
	s_or_b64 exec, exec, s[28:29]
	s_and_saveexec_b64 s[22:23], s[4:5]
	s_cbranch_execnz .LBB12_227
.LBB12_221:                             ;   in Loop: Header=BB12_199 Depth=2
	s_or_b64 exec, exec, s[22:23]
                                        ; implicit-def: $vgpr2
	s_and_saveexec_b64 s[22:23], s[20:21]
	s_xor_b64 s[22:23], exec, s[22:23]
	s_cbranch_execz .LBB12_245
.LBB12_222:                             ;   in Loop: Header=BB12_199 Depth=2
	s_trap 2
	ds_read_b32 v4, v0
	v_cmp_lt_i32_e32 vcc, 0, v6
	v_and_b32_e32 v5, 16, v62
	v_and_b32_e32 v2, 16, v62
	s_waitcnt lgkmcnt(0)
	v_readfirstlane_b32 s28, v4
	s_cmp_eq_u32 s28, 0
	s_cselect_b64 s[28:29], -1, 0
	s_and_b64 s[28:29], vcc, s[28:29]
	v_cmp_ne_u32_e32 vcc, 0, v5
	s_and_b64 vcc, vcc, s[28:29]
	s_and_saveexec_b64 s[28:29], vcc
	s_cbranch_execz .LBB12_224
; %bb.223:                              ;   in Loop: Header=BB12_199 Depth=2
	v_mov_b32_e32 v2, 1
	buffer_wbl2 sc1
	s_waitcnt vmcnt(0)
	buffer_inv sc1
.LBB12_224:                             ;   in Loop: Header=BB12_199 Depth=2
	s_or_b64 exec, exec, s[28:29]
	s_andn2_saveexec_b64 s[22:23], s[22:23]
	s_cbranch_execnz .LBB12_246
.LBB12_225:                             ;   in Loop: Header=BB12_199 Depth=2
	s_or_b64 exec, exec, s[22:23]
	v_cmp_ne_u32_e32 vcc, 0, v2
	s_and_saveexec_b64 s[22:23], vcc
	s_cbranch_execz .LBB12_198
	s_branch .LBB12_264
.LBB12_226:                             ;   in Loop: Header=BB12_199 Depth=2
	s_or_b64 exec, exec, s[28:29]
	s_and_saveexec_b64 s[22:23], s[4:5]
	s_cbranch_execz .LBB12_221
.LBB12_227:                             ;   in Loop: Header=BB12_199 Depth=2
	s_and_saveexec_b64 s[28:29], s[38:39]
	s_xor_b64 s[28:29], exec, s[28:29]
	s_cbranch_execz .LBB12_242
; %bb.228:                              ;   in Loop: Header=BB12_199 Depth=2
	s_and_saveexec_b64 s[54:55], s[12:13]
	s_cbranch_execz .LBB12_241
; %bb.229:                              ;   in Loop: Header=BB12_199 Depth=2
	s_mov_b64 s[58:59], exec
	v_mbcnt_lo_u32_b32 v2, s58, 0
	v_mbcnt_hi_u32_b32 v2, s59, v2
	v_cmp_eq_u32_e32 vcc, 0, v2
	s_waitcnt lgkmcnt(0)
	s_and_saveexec_b64 s[56:57], vcc
	s_cbranch_execz .LBB12_231
; %bb.230:                              ;   in Loop: Header=BB12_199 Depth=2
	s_bcnt1_i32_b64 vcc_lo, s[58:59]
	v_mov_b32_e32 v2, vcc_lo
	ds_add_u64 v0, v[2:3]
	s_trap 2
.LBB12_231:                             ;   in Loop: Header=BB12_199 Depth=2
	s_or_b64 exec, exec, s[56:57]
	s_trap 2
	ds_read_b64 v[4:5], v0
	v_lshl_add_u64 v[32:33], v[32:33], 0, v[52:53]
	s_waitcnt lgkmcnt(0)
	v_cmp_lt_u64_e32 vcc, v[4:5], v[32:33]
	s_and_saveexec_b64 s[56:57], vcc
	s_cbranch_execz .LBB12_240
; %bb.232:                              ;   in Loop: Header=BB12_199 Depth=2
	s_mov_b32 s68, 0
	s_mov_b64 s[58:59], 0
                                        ; implicit-def: $sgpr60_sgpr61
                                        ; implicit-def: $sgpr62_sgpr63
	s_branch .LBB12_234
.LBB12_233:                             ;   in Loop: Header=BB12_234 Depth=3
	s_or_b64 exec, exec, s[66:67]
	s_and_b64 vcc, exec, vcc
	s_or_b64 s[58:59], vcc, s[58:59]
	s_andn2_b64 vcc, s[60:61], exec
	s_and_b64 s[60:61], s[62:63], exec
	s_or_b64 s[60:61], vcc, s[60:61]
	s_andn2_b64 exec, exec, s[58:59]
	s_cbranch_execz .LBB12_238
.LBB12_234:                             ;   Parent Loop BB12_47 Depth=1
                                        ;     Parent Loop BB12_199 Depth=2
                                        ; =>    This Inner Loop Header: Depth=3
	s_add_i32 s68, s68, 1
	s_cmpk_lg_i32 s68, 0x2710
	s_cselect_b64 s[64:65], -1, 0
	s_and_b64 vcc, exec, s[64:65]
                                        ; implicit-def: $sgpr66_sgpr67
	s_cbranch_vccnz .LBB12_236
; %bb.235:                              ;   in Loop: Header=BB12_234 Depth=3
	s_trap 2
	ds_read_b64 v[4:5], v0
	s_andn2_b64 s[64:65], s[64:65], exec
	s_mov_b32 s68, 0
	s_mov_b64 s[66:67], -1
	s_waitcnt vmcnt(0) lgkmcnt(0)
	flat_load_dword v2, v[4:5] sc0 sc1
	s_waitcnt vmcnt(0) lgkmcnt(0)
	buffer_inv sc0 sc1
	v_cmp_eq_u32_e32 vcc, 0, v2
	s_and_b64 vcc, vcc, exec
	s_or_b64 s[64:65], s[64:65], vcc
.LBB12_236:                             ;   in Loop: Header=BB12_234 Depth=3
	s_andn2_b64 s[62:63], s[62:63], exec
	s_and_b64 s[66:67], s[66:67], exec
	s_mov_b64 vcc, -1
	s_or_b64 s[62:63], s[62:63], s[66:67]
	s_and_saveexec_b64 s[66:67], s[64:65]
	s_cbranch_execz .LBB12_233
; %bb.237:                              ;   in Loop: Header=BB12_234 Depth=3
	s_sleep 1
	s_trap 2
	ds_read_b64 v[4:5], v0
	s_andn2_b64 s[62:63], s[62:63], exec
	s_waitcnt lgkmcnt(0)
	v_cmp_ge_u64_e32 vcc, v[4:5], v[32:33]
	s_orn2_b64 vcc, vcc, exec
	s_branch .LBB12_233
.LBB12_238:                             ;   in Loop: Header=BB12_199 Depth=2
	s_or_b64 exec, exec, s[58:59]
	s_and_saveexec_b64 vcc, s[60:61]
	s_xor_b64 vcc, exec, vcc
	s_cbranch_execz .LBB12_240
; %bb.239:                              ;   in Loop: Header=BB12_199 Depth=2
	ds_write_b32 v0, v31
	s_trap 2
.LBB12_240:                             ;   in Loop: Header=BB12_199 Depth=2
	s_or_b64 exec, exec, s[56:57]
	;;#ASMSTART
	s_wakeup
	;;#ASMEND
.LBB12_241:                             ;   in Loop: Header=BB12_199 Depth=2
	s_or_b64 exec, exec, s[54:55]
.LBB12_242:                             ;   in Loop: Header=BB12_199 Depth=2
	s_andn2_saveexec_b64 s[28:29], s[28:29]
	s_cbranch_execz .LBB12_244
; %bb.243:                              ;   in Loop: Header=BB12_199 Depth=2
	s_waitcnt lgkmcnt(0)
	s_barrier
.LBB12_244:                             ;   in Loop: Header=BB12_199 Depth=2
	s_or_b64 exec, exec, s[28:29]
	s_or_b64 exec, exec, s[22:23]
                                        ; implicit-def: $vgpr2
	s_and_saveexec_b64 s[22:23], s[20:21]
	s_xor_b64 s[22:23], exec, s[22:23]
	s_cbranch_execnz .LBB12_222
.LBB12_245:                             ;   in Loop: Header=BB12_199 Depth=2
	s_andn2_saveexec_b64 s[22:23], s[22:23]
	s_cbranch_execz .LBB12_225
.LBB12_246:                             ;   in Loop: Header=BB12_199 Depth=2
	s_and_saveexec_b64 s[28:29], s[38:39]
	s_xor_b64 s[28:29], exec, s[28:29]
	s_cbranch_execz .LBB12_261
; %bb.247:                              ;   in Loop: Header=BB12_199 Depth=2
	s_and_saveexec_b64 s[54:55], s[12:13]
	s_cbranch_execz .LBB12_260
; %bb.248:                              ;   in Loop: Header=BB12_199 Depth=2
	s_mov_b64 s[58:59], exec
	v_mbcnt_lo_u32_b32 v2, s58, 0
	v_mbcnt_hi_u32_b32 v2, s59, v2
	v_cmp_eq_u32_e32 vcc, 0, v2
	;;#ASMSTART
	s_waitcnt lgkmcnt(0) vmcnt(0)
	;;#ASMEND
	s_and_saveexec_b64 s[56:57], vcc
	s_cbranch_execz .LBB12_250
; %bb.249:                              ;   in Loop: Header=BB12_199 Depth=2
	s_bcnt1_i32_b64 vcc_lo, s[58:59]
	v_mov_b32_e32 v2, vcc_lo
	ds_add_u64 v0, v[2:3]
	s_trap 2
.LBB12_250:                             ;   in Loop: Header=BB12_199 Depth=2
	s_or_b64 exec, exec, s[56:57]
	s_trap 2
	ds_read_b64 v[4:5], v0
	v_lshl_add_u64 v[32:33], v[32:33], 0, v[52:53]
	s_waitcnt lgkmcnt(0)
	v_cmp_lt_u64_e32 vcc, v[4:5], v[32:33]
	s_and_saveexec_b64 s[56:57], vcc
	s_cbranch_execz .LBB12_259
; %bb.251:                              ;   in Loop: Header=BB12_199 Depth=2
	s_mov_b32 s68, 0
	s_mov_b64 s[58:59], 0
                                        ; implicit-def: $sgpr60_sgpr61
                                        ; implicit-def: $sgpr62_sgpr63
	s_branch .LBB12_253
.LBB12_252:                             ;   in Loop: Header=BB12_253 Depth=3
	s_or_b64 exec, exec, s[66:67]
	s_and_b64 vcc, exec, vcc
	s_or_b64 s[58:59], vcc, s[58:59]
	s_andn2_b64 vcc, s[60:61], exec
	s_and_b64 s[60:61], s[62:63], exec
	s_or_b64 s[60:61], vcc, s[60:61]
	s_andn2_b64 exec, exec, s[58:59]
	s_cbranch_execz .LBB12_257
.LBB12_253:                             ;   Parent Loop BB12_47 Depth=1
                                        ;     Parent Loop BB12_199 Depth=2
                                        ; =>    This Inner Loop Header: Depth=3
	s_add_i32 s68, s68, 1
	s_cmpk_lg_i32 s68, 0x2710
	s_cselect_b64 s[64:65], -1, 0
	s_and_b64 vcc, exec, s[64:65]
                                        ; implicit-def: $sgpr66_sgpr67
	s_cbranch_vccnz .LBB12_255
; %bb.254:                              ;   in Loop: Header=BB12_253 Depth=3
	s_trap 2
	ds_read_b64 v[4:5], v0
	s_andn2_b64 s[64:65], s[64:65], exec
	s_mov_b32 s68, 0
	s_mov_b64 s[66:67], -1
	s_waitcnt vmcnt(0) lgkmcnt(0)
	flat_load_dword v2, v[4:5] sc0 sc1
	s_waitcnt vmcnt(0) lgkmcnt(0)
	buffer_inv sc0 sc1
	v_cmp_eq_u32_e32 vcc, 0, v2
	s_and_b64 vcc, vcc, exec
	s_or_b64 s[64:65], s[64:65], vcc
.LBB12_255:                             ;   in Loop: Header=BB12_253 Depth=3
	s_andn2_b64 s[62:63], s[62:63], exec
	s_and_b64 s[66:67], s[66:67], exec
	s_mov_b64 vcc, -1
	s_or_b64 s[62:63], s[62:63], s[66:67]
	s_and_saveexec_b64 s[66:67], s[64:65]
	s_cbranch_execz .LBB12_252
; %bb.256:                              ;   in Loop: Header=BB12_253 Depth=3
	s_sleep 1
	s_trap 2
	ds_read_b64 v[4:5], v0
	s_andn2_b64 s[62:63], s[62:63], exec
	s_waitcnt lgkmcnt(0)
	v_cmp_ge_u64_e32 vcc, v[4:5], v[32:33]
	s_orn2_b64 vcc, vcc, exec
	s_branch .LBB12_252
.LBB12_257:                             ;   in Loop: Header=BB12_199 Depth=2
	s_or_b64 exec, exec, s[58:59]
	s_and_saveexec_b64 vcc, s[60:61]
	s_xor_b64 vcc, exec, vcc
	s_cbranch_execz .LBB12_259
; %bb.258:                              ;   in Loop: Header=BB12_199 Depth=2
	ds_write_b32 v0, v31
	s_trap 2
.LBB12_259:                             ;   in Loop: Header=BB12_199 Depth=2
	s_or_b64 exec, exec, s[56:57]
	;;#ASMSTART
	s_wakeup
	;;#ASMEND
.LBB12_260:                             ;   in Loop: Header=BB12_199 Depth=2
	s_or_b64 exec, exec, s[54:55]
.LBB12_261:                             ;   in Loop: Header=BB12_199 Depth=2
	s_andn2_saveexec_b64 s[28:29], s[28:29]
	s_cbranch_execz .LBB12_263
; %bb.262:                              ;   in Loop: Header=BB12_199 Depth=2
	;;#ASMSTART
	s_waitcnt lgkmcnt(0) vmcnt(0)
	;;#ASMEND
	s_barrier
.LBB12_263:                             ;   in Loop: Header=BB12_199 Depth=2
	s_or_b64 exec, exec, s[28:29]
	v_and_b32_e32 v2, 16, v62
	s_or_b64 exec, exec, s[22:23]
	v_cmp_ne_u32_e32 vcc, 0, v2
	s_and_saveexec_b64 s[22:23], vcc
	s_cbranch_execz .LBB12_198
.LBB12_264:                             ;   in Loop: Header=BB12_199 Depth=2
	s_and_saveexec_b64 s[28:29], s[10:11]
	s_cbranch_execz .LBB12_197
; %bb.265:                              ;   in Loop: Header=BB12_199 Depth=2
	flat_store_dword v[36:37], v31 sc0 sc1
	s_branch .LBB12_197
.LBB12_266:                             ;   in Loop: Header=BB12_47 Depth=1
	s_or_b64 exec, exec, s[26:27]
.LBB12_267:                             ;   in Loop: Header=BB12_47 Depth=1
	s_or_b64 exec, exec, s[24:25]
	scratch_load_dwordx2 v[16:17], off, s33 offset:164 ; 8-byte Folded Reload
	v_cndmask_b32_e64 v2, 0, 1, s[46:47]
	v_cmp_ne_u32_e64 s[22:23], 1, v2
	s_andn2_b64 vcc, exec, s[46:47]
	s_cbranch_vccnz .LBB12_489
; %bb.268:                              ;   in Loop: Header=BB12_47 Depth=1
	s_mov_b32 s87, 2
	s_branch .LBB12_271
.LBB12_269:                             ;   in Loop: Header=BB12_271 Depth=2
	s_or_b64 exec, exec, s[28:29]
.LBB12_270:                             ;   in Loop: Header=BB12_271 Depth=2
	s_or_b64 exec, exec, s[26:27]
	s_add_i32 s87, s87, 1
	s_cmp_eq_u32 s87, s72
	s_cbranch_scc1 .LBB12_488
.LBB12_271:                             ;   Parent Loop BB12_47 Depth=1
                                        ; =>  This Loop Header: Depth=2
                                        ;       Child Loop BB12_274 Depth 3
                                        ;         Child Loop BB12_282 Depth 4
                                        ;         Child Loop BB12_308 Depth 4
	;; [unrolled: 1-line block ×9, first 2 shown]
                                        ;       Child Loop BB12_418 Depth 3
                                        ;         Child Loop BB12_424 Depth 4
                                        ;         Child Loop BB12_462 Depth 4
	;; [unrolled: 1-line block ×3, first 2 shown]
	s_sub_i32 s24, s75, s87
	s_cmp_le_i32 s72, s24
	s_cselect_b32 s25, s72, 0
	s_sub_i32 s24, s24, s25
	v_accvgpr_read_b32 v6, a44
	s_ashr_i32 s25, s24, 31
	v_accvgpr_read_b32 v7, a45
	v_mul_lo_u32 v0, v6, s25
	v_mul_lo_u32 v1, v7, s24
	v_mad_u64_u32 v[60:61], s[24:25], v6, s24, 0
	v_add3_u32 v61, v61, v0, v1
	v_accvgpr_read_b32 v0, a46
	v_accvgpr_read_b32 v1, a47
	v_sub_co_u32_e32 v4, vcc, v0, v60
	v_mov_b32_e32 v8, 0
	s_nop 0
	v_subb_co_u32_e32 v5, vcc, v1, v61, vcc
	v_cmp_lt_i64_e32 vcc, v[6:7], v[4:5]
	s_nop 1
	v_cndmask_b32_e32 v0, v4, v6, vcc
	v_max_i32_e32 v18, 0, v0
	v_add_u32_e32 v1, 31, v18
	v_ashrrev_i32_e32 v2, 31, v1
	v_lshrrev_b32_e32 v2, 27, v2
	v_add_u32_e32 v1, v1, v2
	v_ashrrev_i32_e32 v1, 5, v1
	v_lshlrev_b32_e32 v1, 4, v1
	v_cmp_lt_i32_e32 vcc, 0, v0
	v_max_i32_e32 v6, s78, v1
	s_and_b64 s[24:25], s[50:51], vcc
	v_mov_b32_e32 v2, 0
	s_and_saveexec_b64 s[26:27], s[24:25]
	s_cbranch_execz .LBB12_414
; %bb.272:                              ;   in Loop: Header=BB12_271 Depth=2
	v_accvgpr_write_b32 a34, v60
	s_mov_b32 s88, 1
	s_mov_b64 s[54:55], -1
	s_mov_b64 s[28:29], 0
	v_mov_b32_e32 v8, 0
	v_accvgpr_write_b32 a35, v61
	s_branch .LBB12_274
.LBB12_273:                             ;   in Loop: Header=BB12_274 Depth=3
	s_or_b64 exec, exec, s[24:25]
	v_add_u32_e32 v8, v6, v8
	v_cmp_ge_i32_e32 vcc, v8, v18
	s_xor_b64 s[24:25], s[54:55], -1
	s_or_b64 s[24:25], s[24:25], vcc
	s_and_b64 s[24:25], exec, s[24:25]
	s_or_b64 s[28:29], s[24:25], s[28:29]
	s_mov_b64 s[54:55], 0
	v_mov_b32_e32 v2, s88
	s_mov_b32 s88, 2
	s_andn2_b64 exec, exec, s[28:29]
	s_cbranch_execz .LBB12_415
.LBB12_274:                             ;   Parent Loop BB12_47 Depth=1
                                        ;     Parent Loop BB12_271 Depth=2
                                        ; =>    This Loop Header: Depth=3
                                        ;         Child Loop BB12_282 Depth 4
                                        ;         Child Loop BB12_308 Depth 4
	;; [unrolled: 1-line block ×9, first 2 shown]
	s_and_saveexec_b64 s[24:25], s[0:1]
	s_cbranch_execz .LBB12_276
; %bb.275:                              ;   in Loop: Header=BB12_274 Depth=3
	s_trap 2
	ds_read_b64 v[4:5], v0
	v_accvgpr_read_b32 v0, a48
	v_accvgpr_read_b32 v1, a49
	v_ashrrev_i32_e32 v9, 31, v8
	v_mov_b32_e32 v2, v3
	s_waitcnt lgkmcnt(0)
	v_lshl_add_u64 v[4:5], v[0:1], 1, v[4:5]
	v_lshl_add_u64 v[4:5], v[60:61], 1, v[4:5]
	;; [unrolled: 1-line block ×3, first 2 shown]
	ds_write_b64 v0, v[4:5]
	ds_write_b64 v0, v[2:3]
.LBB12_276:                             ;   in Loop: Header=BB12_274 Depth=3
	s_or_b64 exec, exec, s[24:25]
	v_and_b32_e32 v0, 12, v62
	v_cmp_ne_u32_e32 vcc, 0, v0
	s_mov_b64 s[56:57], -1
	s_and_saveexec_b64 s[24:25], vcc
	s_cbranch_execz .LBB12_288
; %bb.277:                              ;   in Loop: Header=BB12_274 Depth=3
	v_and_b32_e32 v2, 8, v62
	v_lshl_add_u64 v[12:13], v[56:57], 0, v[2:3]
	v_lshl_add_u64 v[4:5], v[40:41], 0, 2
	v_cmp_lt_u64_e32 vcc, v[12:13], v[4:5]
	v_mov_b32_e32 v7, 1
	s_and_saveexec_b64 s[56:57], vcc
	s_cbranch_execz .LBB12_287
; %bb.278:                              ;   in Loop: Header=BB12_274 Depth=3
	s_mov_b64 s[58:59], 0
	v_mov_b32_e32 v7, 0
                                        ; implicit-def: $sgpr60_sgpr61
	s_branch .LBB12_282
.LBB12_279:                             ;   in Loop: Header=BB12_282 Depth=4
	s_or_b64 exec, exec, s[68:69]
	v_mov_b32_e32 v9, 0
	s_orn2_b64 s[66:67], s[66:67], exec
.LBB12_280:                             ;   in Loop: Header=BB12_282 Depth=4
	s_or_b64 exec, exec, s[64:65]
	s_andn2_b64 vcc, s[60:61], exec
	s_and_b64 s[60:61], s[66:67], exec
	s_or_b64 s[60:61], vcc, s[60:61]
	v_mov_b32_e32 v7, v9
.LBB12_281:                             ;   in Loop: Header=BB12_282 Depth=4
	s_or_b64 exec, exec, s[62:63]
	s_waitcnt vmcnt(0) lgkmcnt(0)
	v_lshl_add_u64 v[12:13], v[56:57], 0, v[2:3]
	v_cmp_ge_u64_e32 vcc, v[12:13], v[4:5]
	s_xor_b64 s[62:63], s[60:61], -1
	s_or_b64 vcc, s[62:63], vcc
	s_and_b64 vcc, exec, vcc
	s_or_b64 s[58:59], vcc, s[58:59]
	s_andn2_b64 exec, exec, s[58:59]
	s_cbranch_execz .LBB12_286
.LBB12_282:                             ;   Parent Loop BB12_47 Depth=1
                                        ;     Parent Loop BB12_271 Depth=2
                                        ;       Parent Loop BB12_274 Depth=3
                                        ; =>      This Inner Loop Header: Depth=4
	s_sleep 1
	flat_load_dwordx2 v[56:57], v[42:43] sc0 sc1
	v_and_b32_e32 v0, 64, v62
	v_cmp_eq_u32_e32 vcc, 0, v0
	s_andn2_b64 s[60:61], s[60:61], exec
	s_and_saveexec_b64 s[62:63], vcc
	s_cbranch_execz .LBB12_281
; %bb.283:                              ;   in Loop: Header=BB12_282 Depth=4
	v_add_u32_e32 v9, 1, v7
	v_cmp_lt_i32_e32 vcc, s82, v7
	s_mov_b64 s[66:67], -1
	s_and_saveexec_b64 s[64:65], vcc
	s_cbranch_execz .LBB12_280
; %bb.284:                              ;   in Loop: Header=BB12_282 Depth=4
	s_trap 2
	ds_read_b64 v[12:13], v0
	s_waitcnt vmcnt(0) lgkmcnt(0)
	flat_load_dword v7, v[12:13] sc0 sc1
	s_waitcnt vmcnt(0) lgkmcnt(0)
	buffer_inv sc0 sc1
	v_cmp_ne_u32_e32 vcc, 0, v7
	s_and_saveexec_b64 s[68:69], vcc
	s_cbranch_execz .LBB12_279
; %bb.285:                              ;   in Loop: Header=BB12_282 Depth=4
	v_or_b32_e32 v62, 64, v62
	s_xor_b64 s[66:67], exec, -1
	ds_write_b32 v0, v7
	s_trap 2
	s_branch .LBB12_279
.LBB12_286:                             ;   in Loop: Header=BB12_274 Depth=3
	s_or_b64 exec, exec, s[58:59]
	v_and_b32_e32 v7, 12, v62
.LBB12_287:                             ;   in Loop: Header=BB12_274 Depth=3
	s_or_b64 exec, exec, s[56:57]
	v_cmp_eq_u32_e32 vcc, 0, v7
	s_orn2_b64 s[56:57], vcc, exec
	;;#ASMSTART
	s_wakeup
	;;#ASMEND
.LBB12_288:                             ;   in Loop: Header=BB12_274 Depth=3
	s_or_b64 exec, exec, s[24:25]
	v_sub_u32_e32 v0, v18, v8
	s_xor_b64 s[24:25], s[56:57], -1
	v_min_i32_e32 v6, v6, v0
	s_and_saveexec_b64 s[56:57], s[24:25]
	s_cbranch_execz .LBB12_300
; %bb.289:                              ;   in Loop: Header=BB12_274 Depth=3
	v_and_b32_e32 v0, 0x108, v62
	v_cmp_ne_u32_e32 vcc, s83, v0
	v_and_b32_e32 v2, 7, v40
	s_and_saveexec_b64 s[24:25], vcc
	s_xor_b64 s[24:25], exec, s[24:25]
	s_andn2_saveexec_b64 s[24:25], s[24:25]
	s_cbranch_execz .LBB12_291
; %bb.290:                              ;   in Loop: Header=BB12_274 Depth=3
	v_ashrrev_i32_e32 v7, 31, v6
	v_mad_u64_u32 v[4:5], vcc, v2, 24, v[48:49]
	v_lshlrev_b64 v[12:13], 1, v[6:7]
	flat_store_dwordx2 v[4:5], v[12:13] offset:8
.LBB12_291:                             ;   in Loop: Header=BB12_274 Depth=3
	s_or_b64 exec, exec, s[24:25]
	v_and_b32_e32 v0, 0x100, v62
	v_cmp_ne_u32_e32 vcc, 0, v0
	s_mov_b64 s[24:25], -1
                                        ; implicit-def: $vgpr4_vgpr5
	s_and_saveexec_b64 s[58:59], vcc
	s_cbranch_execz .LBB12_295
; %bb.292:                              ;   in Loop: Header=BB12_274 Depth=3
	v_mad_u64_u32 v[12:13], s[24:25], v2, 24, v[48:49]
	v_mov_b32_e32 v4, v13
	v_mad_u64_u32 v[4:5], s[24:25], v3, 24, v[4:5]
	v_mov_b32_e32 v13, v4
	flat_load_dword v0, v[12:13]
                                        ; implicit-def: $vgpr4_vgpr5
	s_waitcnt vmcnt(0) lgkmcnt(0)
	v_cmp_ne_u32_e32 vcc, 1, v0
	v_cmp_eq_u32_e64 s[24:25], 1, v0
	s_and_saveexec_b64 s[60:61], s[24:25]
	s_cbranch_execz .LBB12_294
; %bb.293:                              ;   in Loop: Header=BB12_274 Depth=3
	flat_load_dword v4, v[12:13] offset:4 sc0 sc1
	s_waitcnt vmcnt(0) lgkmcnt(0)
	v_ashrrev_i32_e32 v5, 31, v4
	v_lshrrev_b64 v[4:5], 1, v[4:5]
.LBB12_294:                             ;   in Loop: Header=BB12_274 Depth=3
	s_or_b64 exec, exec, s[60:61]
	s_orn2_b64 s[24:25], vcc, exec
.LBB12_295:                             ;   in Loop: Header=BB12_274 Depth=3
	s_or_b64 exec, exec, s[58:59]
	s_and_saveexec_b64 vcc, s[24:25]
; %bb.296:                              ;   in Loop: Header=BB12_274 Depth=3
	v_mul_lo_u32 v0, v3, v44
	v_mul_lo_u32 v1, v2, v51
	v_mad_u64_u32 v[4:5], s[24:25], v2, v44, 0
	v_add3_u32 v5, v5, v1, v0
; %bb.297:                              ;   in Loop: Header=BB12_274 Depth=3
	s_or_b64 exec, exec, vcc
	v_lshl_add_u64 v[4:5], v[4:5], 1, v[38:39]
	s_trap 2
	ds_write_b64 v0, v[4:5]
	v_and_b32_e32 v0, 0x2000, v62
	v_cmp_ne_u32_e32 vcc, 0, v0
	s_and_saveexec_b64 s[24:25], vcc
	s_cbranch_execz .LBB12_299
; %bb.298:                              ;   in Loop: Header=BB12_274 Depth=3
	ds_read_b64 v[4:5], v0 offset:584
	s_waitcnt lgkmcnt(0)
	v_lshl_add_u64 v[4:5], v[4:5], 0, 1
	ds_write_b64 v0, v[4:5] offset:584
.LBB12_299:                             ;   in Loop: Header=BB12_274 Depth=3
	s_or_b64 exec, exec, s[24:25]
	v_lshl_add_u64 v[40:41], v[40:41], 0, 2
.LBB12_300:                             ;   in Loop: Header=BB12_274 Depth=3
	s_or_b64 exec, exec, s[56:57]
	s_and_saveexec_b64 s[24:25], s[4:5]
	s_cbranch_execz .LBB12_319
; %bb.301:                              ;   in Loop: Header=BB12_274 Depth=3
	s_and_saveexec_b64 vcc, s[38:39]
	s_xor_b64 s[56:57], exec, vcc
	s_cbranch_execz .LBB12_316
; %bb.302:                              ;   in Loop: Header=BB12_274 Depth=3
	s_and_saveexec_b64 s[58:59], s[12:13]
	s_cbranch_execz .LBB12_315
; %bb.303:                              ;   in Loop: Header=BB12_274 Depth=3
	s_mov_b64 s[62:63], exec
	v_mbcnt_lo_u32_b32 v0, s62, 0
	v_mbcnt_hi_u32_b32 v0, s63, v0
	v_cmp_eq_u32_e32 vcc, 0, v0
	s_waitcnt lgkmcnt(0)
	s_and_saveexec_b64 s[60:61], vcc
	s_cbranch_execz .LBB12_305
; %bb.304:                              ;   in Loop: Header=BB12_274 Depth=3
	s_bcnt1_i32_b64 vcc_lo, s[62:63]
	v_mov_b32_e32 v2, vcc_lo
	ds_add_u64 v0, v[2:3]
	s_trap 2
.LBB12_305:                             ;   in Loop: Header=BB12_274 Depth=3
	s_or_b64 exec, exec, s[60:61]
	s_trap 2
	ds_read_b64 v[4:5], v0
	v_lshl_add_u64 v[32:33], v[32:33], 0, v[52:53]
	s_waitcnt lgkmcnt(0)
	v_cmp_lt_u64_e32 vcc, v[4:5], v[32:33]
	s_and_saveexec_b64 s[60:61], vcc
	s_cbranch_execz .LBB12_314
; %bb.306:                              ;   in Loop: Header=BB12_274 Depth=3
	s_mov_b32 s89, 0
	s_mov_b64 s[62:63], 0
                                        ; implicit-def: $sgpr64_sgpr65
                                        ; implicit-def: $sgpr66_sgpr67
	s_branch .LBB12_308
.LBB12_307:                             ;   in Loop: Header=BB12_308 Depth=4
	s_or_b64 exec, exec, s[70:71]
	s_and_b64 vcc, exec, vcc
	s_or_b64 s[62:63], vcc, s[62:63]
	s_andn2_b64 vcc, s[64:65], exec
	s_and_b64 s[64:65], s[66:67], exec
	s_or_b64 s[64:65], vcc, s[64:65]
	s_andn2_b64 exec, exec, s[62:63]
	s_cbranch_execz .LBB12_312
.LBB12_308:                             ;   Parent Loop BB12_47 Depth=1
                                        ;     Parent Loop BB12_271 Depth=2
                                        ;       Parent Loop BB12_274 Depth=3
                                        ; =>      This Inner Loop Header: Depth=4
	s_add_i32 s89, s89, 1
	s_cmpk_lg_i32 s89, 0x2710
	s_cselect_b64 s[68:69], -1, 0
	s_and_b64 vcc, exec, s[68:69]
                                        ; implicit-def: $sgpr70_sgpr71
	s_cbranch_vccnz .LBB12_310
; %bb.309:                              ;   in Loop: Header=BB12_308 Depth=4
	s_trap 2
	ds_read_b64 v[4:5], v0
	s_andn2_b64 s[68:69], s[68:69], exec
	s_mov_b32 s89, 0
	s_mov_b64 s[70:71], -1
	s_waitcnt vmcnt(0) lgkmcnt(0)
	flat_load_dword v0, v[4:5] sc0 sc1
	s_waitcnt vmcnt(0) lgkmcnt(0)
	buffer_inv sc0 sc1
	v_cmp_eq_u32_e32 vcc, 0, v0
	s_and_b64 vcc, vcc, exec
	s_or_b64 s[68:69], s[68:69], vcc
.LBB12_310:                             ;   in Loop: Header=BB12_308 Depth=4
	s_andn2_b64 s[66:67], s[66:67], exec
	s_and_b64 s[70:71], s[70:71], exec
	s_mov_b64 vcc, -1
	s_or_b64 s[66:67], s[66:67], s[70:71]
	s_and_saveexec_b64 s[70:71], s[68:69]
	s_cbranch_execz .LBB12_307
; %bb.311:                              ;   in Loop: Header=BB12_308 Depth=4
	s_sleep 1
	s_trap 2
	ds_read_b64 v[4:5], v0
	s_andn2_b64 s[66:67], s[66:67], exec
	s_waitcnt lgkmcnt(0)
	v_cmp_ge_u64_e32 vcc, v[4:5], v[32:33]
	s_orn2_b64 vcc, vcc, exec
	s_branch .LBB12_307
.LBB12_312:                             ;   in Loop: Header=BB12_274 Depth=3
	s_or_b64 exec, exec, s[62:63]
	s_and_saveexec_b64 vcc, s[64:65]
	s_xor_b64 vcc, exec, vcc
	s_cbranch_execz .LBB12_314
; %bb.313:                              ;   in Loop: Header=BB12_274 Depth=3
	ds_write_b32 v0, v31
	s_trap 2
.LBB12_314:                             ;   in Loop: Header=BB12_274 Depth=3
	s_or_b64 exec, exec, s[60:61]
	;;#ASMSTART
	s_wakeup
	;;#ASMEND
.LBB12_315:                             ;   in Loop: Header=BB12_274 Depth=3
	s_or_b64 exec, exec, s[58:59]
.LBB12_316:                             ;   in Loop: Header=BB12_274 Depth=3
	s_andn2_saveexec_b64 vcc, s[56:57]
	s_cbranch_execz .LBB12_318
; %bb.317:                              ;   in Loop: Header=BB12_274 Depth=3
	s_waitcnt lgkmcnt(0)
	s_barrier
.LBB12_318:                             ;   in Loop: Header=BB12_274 Depth=3
	s_or_b64 exec, exec, vcc
.LBB12_319:                             ;   in Loop: Header=BB12_274 Depth=3
	s_or_b64 exec, exec, s[24:25]
	s_trap 2
	ds_read_b32 v4, v0
	v_and_b32_e32 v0, 0x4000, v62
	v_cmp_ne_u32_e32 vcc, 0, v0
	s_xor_b64 s[24:25], s[2:3], -1
	s_and_b64 vcc, s[24:25], vcc
	s_and_saveexec_b64 s[24:25], vcc
	s_cbranch_execz .LBB12_338
; %bb.320:                              ;   in Loop: Header=BB12_274 Depth=3
	s_and_saveexec_b64 vcc, s[38:39]
	s_xor_b64 s[56:57], exec, vcc
	s_cbranch_execz .LBB12_335
; %bb.321:                              ;   in Loop: Header=BB12_274 Depth=3
	s_and_saveexec_b64 s[58:59], s[12:13]
	s_cbranch_execz .LBB12_334
; %bb.322:                              ;   in Loop: Header=BB12_274 Depth=3
	s_mov_b64 s[62:63], exec
	v_mbcnt_lo_u32_b32 v0, s62, 0
	v_mbcnt_hi_u32_b32 v0, s63, v0
	v_cmp_eq_u32_e32 vcc, 0, v0
	s_waitcnt lgkmcnt(0)
	s_and_saveexec_b64 s[60:61], vcc
	s_cbranch_execz .LBB12_324
; %bb.323:                              ;   in Loop: Header=BB12_274 Depth=3
	s_bcnt1_i32_b64 vcc_lo, s[62:63]
	v_mov_b32_e32 v2, vcc_lo
	ds_add_u64 v0, v[2:3]
	s_trap 2
.LBB12_324:                             ;   in Loop: Header=BB12_274 Depth=3
	s_or_b64 exec, exec, s[60:61]
	s_trap 2
	ds_read_b64 v[12:13], v0
	v_lshl_add_u64 v[32:33], v[32:33], 0, v[52:53]
	s_waitcnt lgkmcnt(0)
	v_cmp_lt_u64_e32 vcc, v[12:13], v[32:33]
	s_and_saveexec_b64 s[60:61], vcc
	s_cbranch_execz .LBB12_333
; %bb.325:                              ;   in Loop: Header=BB12_274 Depth=3
	s_mov_b32 s89, 0
	s_mov_b64 s[62:63], 0
                                        ; implicit-def: $sgpr64_sgpr65
                                        ; implicit-def: $sgpr66_sgpr67
	s_branch .LBB12_327
.LBB12_326:                             ;   in Loop: Header=BB12_327 Depth=4
	s_or_b64 exec, exec, s[70:71]
	s_and_b64 vcc, exec, vcc
	s_or_b64 s[62:63], vcc, s[62:63]
	s_andn2_b64 vcc, s[64:65], exec
	s_and_b64 s[64:65], s[66:67], exec
	s_or_b64 s[64:65], vcc, s[64:65]
	s_andn2_b64 exec, exec, s[62:63]
	s_cbranch_execz .LBB12_331
.LBB12_327:                             ;   Parent Loop BB12_47 Depth=1
                                        ;     Parent Loop BB12_271 Depth=2
                                        ;       Parent Loop BB12_274 Depth=3
                                        ; =>      This Inner Loop Header: Depth=4
	s_add_i32 s89, s89, 1
	s_cmpk_lg_i32 s89, 0x2710
	s_cselect_b64 s[68:69], -1, 0
	s_and_b64 vcc, exec, s[68:69]
                                        ; implicit-def: $sgpr70_sgpr71
	s_cbranch_vccnz .LBB12_329
; %bb.328:                              ;   in Loop: Header=BB12_327 Depth=4
	s_trap 2
	ds_read_b64 v[12:13], v0
	s_andn2_b64 s[68:69], s[68:69], exec
	s_mov_b32 s89, 0
	s_mov_b64 s[70:71], -1
	s_waitcnt vmcnt(0) lgkmcnt(0)
	flat_load_dword v0, v[12:13] sc0 sc1
	s_waitcnt vmcnt(0) lgkmcnt(0)
	buffer_inv sc0 sc1
	v_cmp_eq_u32_e32 vcc, 0, v0
	s_and_b64 vcc, vcc, exec
	s_or_b64 s[68:69], s[68:69], vcc
.LBB12_329:                             ;   in Loop: Header=BB12_327 Depth=4
	s_andn2_b64 s[66:67], s[66:67], exec
	s_and_b64 s[70:71], s[70:71], exec
	s_mov_b64 vcc, -1
	s_or_b64 s[66:67], s[66:67], s[70:71]
	s_and_saveexec_b64 s[70:71], s[68:69]
	s_cbranch_execz .LBB12_326
; %bb.330:                              ;   in Loop: Header=BB12_327 Depth=4
	s_sleep 1
	s_trap 2
	ds_read_b64 v[12:13], v0
	s_andn2_b64 s[66:67], s[66:67], exec
	s_waitcnt lgkmcnt(0)
	v_cmp_ge_u64_e32 vcc, v[12:13], v[32:33]
	s_orn2_b64 vcc, vcc, exec
	s_branch .LBB12_326
.LBB12_331:                             ;   in Loop: Header=BB12_274 Depth=3
	s_or_b64 exec, exec, s[62:63]
	s_and_saveexec_b64 vcc, s[64:65]
	s_xor_b64 vcc, exec, vcc
	s_cbranch_execz .LBB12_333
; %bb.332:                              ;   in Loop: Header=BB12_274 Depth=3
	ds_write_b32 v0, v31
	s_trap 2
.LBB12_333:                             ;   in Loop: Header=BB12_274 Depth=3
	s_or_b64 exec, exec, s[60:61]
	;;#ASMSTART
	s_wakeup
	;;#ASMEND
.LBB12_334:                             ;   in Loop: Header=BB12_274 Depth=3
	s_or_b64 exec, exec, s[58:59]
.LBB12_335:                             ;   in Loop: Header=BB12_274 Depth=3
	s_andn2_saveexec_b64 vcc, s[56:57]
	s_cbranch_execz .LBB12_337
; %bb.336:                              ;   in Loop: Header=BB12_274 Depth=3
	s_waitcnt lgkmcnt(0)
	s_barrier
.LBB12_337:                             ;   in Loop: Header=BB12_274 Depth=3
	s_or_b64 exec, exec, vcc
.LBB12_338:                             ;   in Loop: Header=BB12_274 Depth=3
	s_or_b64 exec, exec, s[24:25]
	s_trap 2
	ds_read_b64 v[12:13], v0
	v_mov_b32_e32 v7, 0
	s_waitcnt lgkmcnt(0)
	v_readfirstlane_b32 s24, v12
	v_readfirstlane_b32 s25, v13
	s_cmp_eq_u64 s[24:25], 0
	s_cselect_b64 s[24:25], -1, 0
	s_or_b64 s[24:25], s[24:25], s[24:25]
	s_and_b64 vcc, exec, s[24:25]
	s_cbranch_vccnz .LBB12_358
; %bb.339:                              ;   in Loop: Header=BB12_274 Depth=3
	s_mov_b64 s[56:57], -1
	s_and_saveexec_b64 s[24:25], s[18:19]
	s_cbranch_execz .LBB12_341
; %bb.340:                              ;   in Loop: Header=BB12_274 Depth=3
	ds_read_b32 v0, v0 offset:720
	s_waitcnt lgkmcnt(0)
	v_and_b32_e32 v0, 15, v0
	v_cmp_eq_u32_e32 vcc, 0, v0
	s_orn2_b64 s[56:57], vcc, exec
.LBB12_341:                             ;   in Loop: Header=BB12_274 Depth=3
	s_or_b64 exec, exec, s[24:25]
	s_and_saveexec_b64 s[24:25], s[16:17]
	s_cbranch_execz .LBB12_343
; %bb.342:                              ;   in Loop: Header=BB12_274 Depth=3
	ds_read_b32 v0, v0 offset:784
	s_waitcnt lgkmcnt(0)
	v_and_b32_e32 v0, 15, v0
	v_cmp_eq_u32_e32 vcc, 0, v0
	s_and_b64 vcc, s[56:57], vcc
	s_andn2_b64 s[56:57], s[56:57], exec
	s_and_b64 vcc, vcc, exec
	s_or_b64 s[56:57], s[56:57], vcc
.LBB12_343:                             ;   in Loop: Header=BB12_274 Depth=3
	s_or_b64 exec, exec, s[24:25]
	v_cmp_eq_u32_e32 vcc, 0, v4
	v_mov_b32_e32 v9, 0
	s_mov_b64 s[24:25], -1
	v_cndmask_b32_e32 v7, 0, v6, vcc
	s_xor_b64 vcc, s[56:57], -1
	v_cndmask_b32_e64 v0, 0, 1, vcc
	v_lshlrev_b32_e32 v2, 1, v7
	;;#ASMSTART
	;;#ASMEND
	s_nop 0
	v_cmp_ne_u32_e32 vcc, 0, v0
	s_cbranch_vccz .LBB12_359
; %bb.344:                              ;   in Loop: Header=BB12_274 Depth=3
	v_mov_b32_e32 v19, v58
	v_mov_b32_e32 v4, v50
	s_and_saveexec_b64 s[56:57], s[24:25]
	s_cbranch_execz .LBB12_372
.LBB12_345:                             ;   in Loop: Header=BB12_274 Depth=3
	v_ashrrev_i32_e32 v0, 31, v2
	v_lshrrev_b32_e32 v0, 22, v0
	v_add_u32_e32 v0, v2, v0
	v_ashrrev_i32_e32 v22, 10, v0
	s_waitcnt vmcnt(0)
	v_sub_u32_e32 v20, v22, v4
	v_ashrrev_i32_e32 v0, 31, v19
	v_cmp_lt_i32_e32 vcc, 0, v20
	v_lshrrev_b32_e32 v21, 26, v0
	s_and_saveexec_b64 s[58:59], vcc
	s_cbranch_execz .LBB12_349
; %bb.346:                              ;   in Loop: Header=BB12_274 Depth=3
	v_add_u32_e32 v0, v19, v21
	v_and_b32_e32 v0, 0x7fffffc0, v0
	v_sub_u32_e32 v0, v19, v0
	v_lshlrev_b32_e32 v0, 1, v0
	s_trap 2
	ds_read_b128 v[12:15], v0
	v_lshlrev_b32_e32 v1, 10, v4
	ds_read_b64 v[4:5], v0
	v_add3_u32 v16, v0, v9, v1
	v_accvgpr_write_b32 a12, v32
	v_ashrrev_i32_e32 v17, 31, v16
	v_accvgpr_write_b32 a13, v33
	s_waitcnt lgkmcnt(0)
	v_lshl_add_u64 v[4:5], v[4:5], 0, s[52:53]
	v_lshl_add_u64 v[12:13], v[12:13], 0, v[16:17]
	;; [unrolled: 1-line block ×4, first 2 shown]
	s_mov_b64 s[60:61], 0
.LBB12_347:                             ;   Parent Loop BB12_47 Depth=1
                                        ;     Parent Loop BB12_271 Depth=2
                                        ;       Parent Loop BB12_274 Depth=3
                                        ; =>      This Inner Loop Header: Depth=4
	flat_load_ushort v0, v[12:13] nt
	flat_load_ushort v1, v[12:13] offset:128 nt
	flat_load_ushort v23, v[12:13] offset:256 nt
	;; [unrolled: 1-line block ×7, first 2 shown]
	flat_load_ushort v51, v[14:15] nt
	flat_load_ushort v54, v[14:15] offset:128 nt
	flat_load_ushort v55, v[14:15] offset:256 nt
	;; [unrolled: 1-line block ×7, first 2 shown]
	v_add_co_u32_e32 v4, vcc, s84, v16
	v_sub_u32_e32 v20, v20, v52
	s_nop 0
	v_addc_co_u32_e32 v5, vcc, -1, v17, vcc
	v_add_co_u32_e32 v24, vcc, s85, v16
	v_cmp_gt_i32_e64 s[24:25], 1, v20
	s_nop 0
	v_addc_co_u32_e32 v25, vcc, -1, v17, vcc
	v_add_co_u32_e32 v26, vcc, s86, v16
	v_lshl_add_u64 v[12:13], v[12:13], 0, v[28:29]
	s_nop 0
	v_addc_co_u32_e32 v27, vcc, -1, v17, vcc
	v_add_co_u32_e32 v30, vcc, 0xfffffe00, v16
	v_lshl_add_u64 v[14:15], v[14:15], 0, v[28:29]
	s_nop 0
	v_addc_co_u32_e32 v31, vcc, -1, v17, vcc
	v_add_co_u32_e32 v32, vcc, 0xfffffe80, v16
	s_or_b64 s[60:61], s[24:25], s[60:61]
	s_nop 0
	v_addc_co_u32_e32 v33, vcc, -1, v17, vcc
	v_add_co_u32_e32 v34, vcc, 0xffffff00, v16
	s_waitcnt vmcnt(0) lgkmcnt(0)
	v_mul_f16_e32 v0, v0, v51
	v_addc_co_u32_e32 v35, vcc, -1, v17, vcc
	v_add_co_u32_e32 v36, vcc, 0xffffff80, v16
	v_mul_f16_e32 v1, v1, v54
	s_nop 0
	v_addc_co_u32_e32 v37, vcc, -1, v17, vcc
	v_mul_f16_e32 v11, v23, v55
	v_mul_f16_e32 v23, v38, v44
	;; [unrolled: 1-line block ×6, first 2 shown]
	flat_store_short v[4:5], v0 nt
	flat_store_short v[24:25], v1 nt
	;; [unrolled: 1-line block ×8, first 2 shown]
	v_lshl_add_u64 v[16:17], v[16:17], 0, v[28:29]
	s_andn2_b64 exec, exec, s[60:61]
	s_cbranch_execnz .LBB12_347
; %bb.348:                              ;   in Loop: Header=BB12_274 Depth=3
	s_or_b64 exec, exec, s[60:61]
	scratch_load_dwordx2 v[16:17], off, s33 offset:164 ; 8-byte Folded Reload
	v_accvgpr_read_b32 v49, a15
	v_accvgpr_read_b32 v39, a19
	;; [unrolled: 1-line block ×20, first 2 shown]
	v_mov_b32_e32 v31, 1
.LBB12_349:                             ;   in Loop: Header=BB12_274 Depth=3
	s_or_b64 exec, exec, s[58:59]
	v_lshlrev_b32_e32 v4, 10, v22
	v_cmp_ne_u32_e32 vcc, v2, v4
	s_and_saveexec_b64 s[24:25], vcc
	s_cbranch_execz .LBB12_353
; %bb.350:                              ;   in Loop: Header=BB12_274 Depth=3
	v_add_u32_e32 v0, v19, v21
	v_and_b32_e32 v0, 0xffffffc0, v0
	v_sub_u32_e32 v0, v19, v0
	v_lshlrev_b32_e32 v1, 6, v20
	v_sub_u32_e32 v0, v0, v1
	v_ashrrev_i32_e32 v1, 31, v0
	v_lshrrev_b32_e32 v1, 26, v1
	v_add_u32_e32 v1, v0, v1
	v_and_b32_e32 v5, 0x7fffffc0, v1
	v_sub_u32_e32 v0, v0, v5
	v_lshlrev_b32_e32 v1, 1, v1
	v_and_b32_e32 v1, 0xffffff80, v1
	v_lshlrev_b32_e32 v0, 1, v0
	v_add3_u32 v4, v1, v0, v4
	v_sub_u32_e32 v2, v2, v4
	v_cmp_lt_i32_e32 vcc, 1, v2
	s_and_b64 exec, exec, vcc
	s_cbranch_execz .LBB12_353
; %bb.351:                              ;   in Loop: Header=BB12_274 Depth=3
	s_trap 2
	ds_read_b128 v[12:15], v0
	s_waitcnt vmcnt(0)
	ds_read_b64 v[16:17], v0
	v_add_u32_e32 v20, v4, v9
	v_ashrrev_i32_e32 v21, 31, v20
	s_mov_b64 s[58:59], 0
	s_waitcnt lgkmcnt(0)
	v_lshl_add_u64 v[4:5], v[12:13], 0, v[20:21]
	v_lshl_add_u64 v[12:13], v[14:15], 0, v[20:21]
	v_lshl_add_u64 v[14:15], v[16:17], 0, v[20:21]
	scratch_load_dwordx2 v[16:17], off, s33 offset:164 ; 8-byte Folded Reload
.LBB12_352:                             ;   Parent Loop BB12_47 Depth=1
                                        ;     Parent Loop BB12_271 Depth=2
                                        ;       Parent Loop BB12_274 Depth=3
                                        ; =>      This Inner Loop Header: Depth=4
	flat_load_ushort v0, v[4:5] nt
	flat_load_ushort v1, v[12:13] nt
	v_sub_u32_e32 v2, v2, v45
	v_cmp_gt_i32_e32 vcc, 2, v2
	v_lshl_add_u64 v[4:5], v[4:5], 0, v[26:27]
	v_lshl_add_u64 v[12:13], v[12:13], 0, v[26:27]
	s_or_b64 s[58:59], vcc, s[58:59]
	s_waitcnt vmcnt(0) lgkmcnt(0)
	v_mul_f16_e32 v0, v0, v1
	flat_store_short v[14:15], v0 nt
	v_lshl_add_u64 v[14:15], v[14:15], 0, v[26:27]
	s_andn2_b64 exec, exec, s[58:59]
	s_cbranch_execnz .LBB12_352
.LBB12_353:                             ;   in Loop: Header=BB12_274 Depth=3
	s_or_b64 exec, exec, s[24:25]
	scratch_load_dwordx2 v[20:21], off, s33 offset:156 ; 8-byte Folded Reload
	s_or_b64 exec, exec, s[56:57]
	s_and_saveexec_b64 s[24:25], s[4:5]
	s_cbranch_execnz .LBB12_373
.LBB12_354:                             ;   in Loop: Header=BB12_274 Depth=3
	s_or_b64 exec, exec, s[24:25]
                                        ; implicit-def: $vgpr2
	s_and_saveexec_b64 s[24:25], s[20:21]
	s_xor_b64 s[56:57], exec, s[24:25]
	s_cbranch_execz .LBB12_391
.LBB12_355:                             ;   in Loop: Header=BB12_274 Depth=3
	v_and_b32_e32 v0, 16, v62
	v_cmp_lt_i32_e32 vcc, 0, v7
	v_cmp_ne_u32_e64 s[24:25], 0, v0
	v_and_b32_e32 v2, 16, v62
	s_and_b64 vcc, s[24:25], vcc
	s_and_saveexec_b64 s[24:25], vcc
	s_cbranch_execz .LBB12_357
; %bb.356:                              ;   in Loop: Header=BB12_274 Depth=3
	v_mov_b32_e32 v2, 1
	buffer_wbl2 sc1
	s_waitcnt vmcnt(0) lgkmcnt(0)
	buffer_inv sc1
.LBB12_357:                             ;   in Loop: Header=BB12_274 Depth=3
	s_or_b64 exec, exec, s[24:25]
	s_andn2_saveexec_b64 s[24:25], s[56:57]
	s_cbranch_execz .LBB12_410
	s_branch .LBB12_392
.LBB12_358:                             ;   in Loop: Header=BB12_274 Depth=3
	s_and_saveexec_b64 s[24:25], s[4:5]
	s_cbranch_execnz .LBB12_373
	s_branch .LBB12_354
.LBB12_359:                             ;   in Loop: Header=BB12_274 Depth=3
	v_ashrrev_i32_e32 v0, 31, v2
	v_lshrrev_b32_e32 v0, 21, v0
	v_add_u32_e32 v0, v2, v0
	v_ashrrev_i32_e32 v9, 11, v0
	s_waitcnt vmcnt(0)
	v_sub_u32_e32 v17, v9, v50
	v_cmp_lt_i32_e32 vcc, 0, v17
	s_and_saveexec_b64 s[24:25], vcc
	s_cbranch_execz .LBB12_363
; %bb.360:                              ;   in Loop: Header=BB12_274 Depth=3
	s_trap 2
	ds_read_b128 v[12:15], v0
	ds_read_b64 v[20:21], v0
	scratch_load_dwordx2 v[60:61], off, s33 offset:164 ; 8-byte Folded Reload
	v_accvgpr_read_b32 v0, a38
	v_accvgpr_read_b32 v1, a39
	v_mov_b64_e32 v[10:11], v[32:33]
	s_waitcnt lgkmcnt(1)
	v_lshl_add_u64 v[4:5], v[12:13], 0, v[0:1]
	v_lshl_add_u64 v[12:13], v[14:15], 0, v[0:1]
	s_waitcnt lgkmcnt(0)
	v_lshl_add_u64 v[14:15], v[20:21], 0, v[0:1]
	s_mov_b64 s[56:57], 0
.LBB12_361:                             ;   Parent Loop BB12_47 Depth=1
                                        ;     Parent Loop BB12_271 Depth=2
                                        ;       Parent Loop BB12_274 Depth=3
                                        ; =>      This Inner Loop Header: Depth=4
	global_load_dwordx4 v[20:23], v[12:13], off nt
	global_load_dwordx4 v[24:27], v[4:5], off nt
	global_load_dwordx4 v[30:33], v[4:5], off offset:1024 nt
	global_load_dwordx4 v[34:37], v[12:13], off offset:1024 nt
	v_sub_u32_e32 v17, v17, v52
	v_cmp_gt_i32_e32 vcc, 1, v17
	s_waitcnt vmcnt(4)
	v_lshl_add_u64 v[4:5], v[4:5], 0, v[60:61]
	v_lshl_add_u64 v[12:13], v[12:13], 0, v[60:61]
	s_or_b64 s[56:57], vcc, s[56:57]
	s_waitcnt vmcnt(2)
	v_mul_f16_e32 v0, v24, v20
	v_mul_f16_sdwa v1, v24, v20 dst_sel:WORD_1 dst_unused:UNUSED_PAD src0_sel:WORD_1 src1_sel:WORD_1
	v_mul_f16_e32 v16, v25, v21
	v_mul_f16_sdwa v19, v25, v21 dst_sel:WORD_1 dst_unused:UNUSED_PAD src0_sel:WORD_1 src1_sel:WORD_1
	;; [unrolled: 2-line block ×4, first 2 shown]
	s_waitcnt vmcnt(0)
	v_mul_f16_e32 v26, v30, v34
	v_mul_f16_sdwa v27, v30, v34 dst_sel:WORD_1 dst_unused:UNUSED_PAD src0_sel:WORD_1 src1_sel:WORD_1
	v_mul_f16_e32 v30, v31, v35
	v_mul_f16_sdwa v31, v31, v35 dst_sel:WORD_1 dst_unused:UNUSED_PAD src0_sel:WORD_1 src1_sel:WORD_1
	;; [unrolled: 2-line block ×4, first 2 shown]
	v_or_b32_e32 v21, v19, v16
	v_or_b32_e32 v20, v1, v0
	;; [unrolled: 1-line block ×8, first 2 shown]
	global_store_dwordx4 v[14:15], v[20:23], off nt
	global_store_dwordx4 v[14:15], v[24:27], off offset:1024 nt
	v_lshl_add_u64 v[14:15], v[14:15], 0, v[60:61]
	s_andn2_b64 exec, exec, s[56:57]
	s_cbranch_execnz .LBB12_361
; %bb.362:                              ;   in Loop: Header=BB12_274 Depth=3
	s_or_b64 exec, exec, s[56:57]
	scratch_load_dwordx2 v[20:21], off, s33 offset:156 ; 8-byte Folded Reload
	v_accvgpr_read_b32 v37, a21
	v_accvgpr_read_b32 v35, a29
	;; [unrolled: 1-line block ×6, first 2 shown]
	v_mov_b64_e32 v[32:33], v[10:11]
	v_accvgpr_read_b32 v27, a37
	v_mov_b32_e32 v31, 1
	v_accvgpr_read_b32 v60, a34
.LBB12_363:                             ;   in Loop: Header=BB12_274 Depth=3
	s_or_b64 exec, exec, s[24:25]
	v_lshlrev_b32_e32 v16, 11, v9
	v_cmp_ne_u32_e32 vcc, v2, v16
	s_mov_b64 s[24:25], 0
	v_mov_b32_e32 v9, 0
                                        ; implicit-def: $vgpr19
                                        ; implicit-def: $vgpr4
	s_and_saveexec_b64 s[56:57], vcc
	s_cbranch_execz .LBB12_371
; %bb.364:                              ;   in Loop: Header=BB12_274 Depth=3
	v_lshlrev_b32_e32 v1, 6, v17
	v_sub_u32_e32 v1, v59, v1
	v_ashrrev_i32_e32 v4, 31, v1
	v_lshrrev_b32_e32 v4, 26, v4
	v_add_u32_e32 v4, v1, v4
	v_ashrrev_i32_e32 v5, 6, v4
	v_and_b32_e32 v4, 0xffffffc0, v4
	v_sub_u32_e32 v17, v1, v4
	v_sub_u32_e32 v0, v2, v16
	v_lshlrev_b32_e32 v1, 4, v17
	v_lshl_add_u32 v4, v5, 10, v1
	v_ashrrev_i32_e32 v1, 31, v0
	v_lshrrev_b32_e32 v1, 22, v1
	v_add_u32_e32 v1, v0, v1
	s_waitcnt vmcnt(0)
	v_and_b32_e32 v20, 0xfffffc00, v1
	v_sub_u32_e32 v22, v0, v20
	v_ashrrev_i32_e32 v12, 10, v1
	v_cmp_lt_i32_e32 vcc, 15, v22
	v_sub_u32_e32 v9, v0, v4
	s_nop 0
	v_addc_co_u32_e64 v0, s[24:25], 0, v12, vcc
	v_sub_u32_e32 v21, v0, v5
	v_cmp_lt_i32_e64 s[24:25], 15, v9
	s_and_saveexec_b64 s[58:59], s[24:25]
	s_cbranch_execz .LBB12_368
; %bb.365:                              ;   in Loop: Header=BB12_274 Depth=3
	s_trap 2
	ds_read_b128 v[12:15], v0
	ds_read_b64 v[24:25], v0
	v_add_u32_e32 v26, v4, v16
	v_ashrrev_i32_e32 v27, 31, v26
	v_mov_b64_e32 v[10:11], v[32:33]
	s_waitcnt lgkmcnt(1)
	v_lshl_add_u64 v[4:5], v[12:13], 0, v[26:27]
	v_lshl_add_u64 v[12:13], v[14:15], 0, v[26:27]
	s_waitcnt lgkmcnt(0)
	v_lshl_add_u64 v[14:15], v[24:25], 0, v[26:27]
	s_mov_b64 s[60:61], 0
	v_accvgpr_read_b32 v60, a3
.LBB12_366:                             ;   Parent Loop BB12_47 Depth=1
                                        ;     Parent Loop BB12_271 Depth=2
                                        ;       Parent Loop BB12_274 Depth=3
                                        ; =>      This Inner Loop Header: Depth=4
	global_load_dwordx4 v[24:27], v[4:5], off nt
	global_load_dwordx4 v[30:33], v[12:13], off nt
	v_sub_u32_e32 v9, v9, v60
	v_cmp_gt_i32_e64 s[24:25], 16, v9
	v_lshl_add_u64 v[4:5], v[4:5], 0, v[28:29]
	v_lshl_add_u64 v[12:13], v[12:13], 0, v[28:29]
	v_sub_u32_e32 v21, v21, v52
	s_or_b64 s[60:61], s[24:25], s[60:61]
	s_waitcnt vmcnt(0)
	v_mul_f16_e32 v0, v24, v30
	v_mul_f16_sdwa v1, v24, v30 dst_sel:WORD_1 dst_unused:UNUSED_PAD src0_sel:WORD_1 src1_sel:WORD_1
	v_mul_f16_e32 v19, v25, v31
	v_mul_f16_sdwa v23, v25, v31 dst_sel:WORD_1 dst_unused:UNUSED_PAD src0_sel:WORD_1 src1_sel:WORD_1
	;; [unrolled: 2-line block ×4, first 2 shown]
	v_or_b32_e32 v25, v23, v19
	v_or_b32_e32 v24, v1, v0
	;; [unrolled: 1-line block ×4, first 2 shown]
	global_store_dwordx4 v[14:15], v[24:27], off nt
	v_lshl_add_u64 v[14:15], v[14:15], 0, v[28:29]
	s_andn2_b64 exec, exec, s[60:61]
	s_cbranch_execnz .LBB12_366
; %bb.367:                              ;   in Loop: Header=BB12_274 Depth=3
	s_or_b64 exec, exec, s[60:61]
	v_accvgpr_read_b32 v26, a36
	v_accvgpr_read_b32 v61, a35
	v_mov_b64_e32 v[32:33], v[10:11]
	v_accvgpr_read_b32 v27, a37
	v_mov_b32_e32 v31, 1
	v_accvgpr_read_b32 v60, a34
.LBB12_368:                             ;   in Loop: Header=BB12_274 Depth=3
	s_or_b64 exec, exec, s[58:59]
	v_and_b32_e32 v5, 14, v2
	v_cndmask_b32_e32 v2, v22, v5, vcc
	v_cmp_ne_u32_e64 s[24:25], 0, v2
	s_mov_b64 s[58:59], 0
	v_mov_b32_e32 v9, 0
                                        ; implicit-def: $vgpr19
                                        ; implicit-def: $vgpr4
	s_and_saveexec_b64 s[60:61], s[24:25]
	s_cbranch_execz .LBB12_370
; %bb.369:                              ;   in Loop: Header=BB12_274 Depth=3
	v_sub_u32_e32 v0, v22, v5
	v_cndmask_b32_e32 v0, 0, v0, vcc
	v_cmp_lt_i32_e32 vcc, 0, v21
	v_add3_u32 v9, v20, v16, v0
	s_mov_b64 s[58:59], exec
	v_cndmask_b32_e32 v0, 0, v52, vcc
	v_sub_u32_e32 v0, v0, v21
	v_lshl_add_u32 v19, v0, 6, v17
	v_ashrrev_i32_e32 v0, 31, v19
	v_lshrrev_b32_e32 v0, 26, v0
	v_add_u32_e32 v0, v19, v0
	v_ashrrev_i32_e32 v4, 6, v0
.LBB12_370:                             ;   in Loop: Header=BB12_274 Depth=3
	s_or_b64 exec, exec, s[60:61]
	scratch_load_dwordx2 v[20:21], off, s33 offset:156 ; 8-byte Folded Reload
	s_and_b64 s[24:25], s[58:59], exec
.LBB12_371:                             ;   in Loop: Header=BB12_274 Depth=3
	s_or_b64 exec, exec, s[56:57]
	scratch_load_dwordx2 v[16:17], off, s33 offset:164 ; 8-byte Folded Reload
	s_and_saveexec_b64 s[56:57], s[24:25]
	s_cbranch_execnz .LBB12_345
.LBB12_372:                             ;   in Loop: Header=BB12_274 Depth=3
	s_or_b64 exec, exec, s[56:57]
	s_and_saveexec_b64 s[24:25], s[4:5]
	s_cbranch_execz .LBB12_354
.LBB12_373:                             ;   in Loop: Header=BB12_274 Depth=3
	s_and_saveexec_b64 vcc, s[38:39]
	s_xor_b64 s[56:57], exec, vcc
	s_cbranch_execz .LBB12_388
; %bb.374:                              ;   in Loop: Header=BB12_274 Depth=3
	s_and_saveexec_b64 s[58:59], s[12:13]
	s_cbranch_execz .LBB12_387
; %bb.375:                              ;   in Loop: Header=BB12_274 Depth=3
	s_mov_b64 s[62:63], exec
	v_mbcnt_lo_u32_b32 v0, s62, 0
	v_mbcnt_hi_u32_b32 v0, s63, v0
	v_cmp_eq_u32_e32 vcc, 0, v0
	s_waitcnt lgkmcnt(0)
	s_and_saveexec_b64 s[60:61], vcc
	s_cbranch_execz .LBB12_377
; %bb.376:                              ;   in Loop: Header=BB12_274 Depth=3
	s_bcnt1_i32_b64 vcc_lo, s[62:63]
	v_mov_b32_e32 v2, vcc_lo
	ds_add_u64 v0, v[2:3]
	s_trap 2
.LBB12_377:                             ;   in Loop: Header=BB12_274 Depth=3
	s_or_b64 exec, exec, s[60:61]
	s_trap 2
	ds_read_b64 v[4:5], v0
	v_lshl_add_u64 v[32:33], v[32:33], 0, v[52:53]
	s_waitcnt lgkmcnt(0)
	v_cmp_lt_u64_e32 vcc, v[4:5], v[32:33]
	s_and_saveexec_b64 s[60:61], vcc
	s_cbranch_execz .LBB12_386
; %bb.378:                              ;   in Loop: Header=BB12_274 Depth=3
	s_mov_b32 s89, 0
	s_mov_b64 s[62:63], 0
                                        ; implicit-def: $sgpr64_sgpr65
                                        ; implicit-def: $sgpr66_sgpr67
	s_branch .LBB12_380
.LBB12_379:                             ;   in Loop: Header=BB12_380 Depth=4
	s_or_b64 exec, exec, s[70:71]
	s_and_b64 vcc, exec, vcc
	s_or_b64 s[62:63], vcc, s[62:63]
	s_andn2_b64 vcc, s[64:65], exec
	s_and_b64 s[64:65], s[66:67], exec
	s_or_b64 s[64:65], vcc, s[64:65]
	s_andn2_b64 exec, exec, s[62:63]
	s_cbranch_execz .LBB12_384
.LBB12_380:                             ;   Parent Loop BB12_47 Depth=1
                                        ;     Parent Loop BB12_271 Depth=2
                                        ;       Parent Loop BB12_274 Depth=3
                                        ; =>      This Inner Loop Header: Depth=4
	s_add_i32 s89, s89, 1
	s_cmpk_lg_i32 s89, 0x2710
	s_cselect_b64 s[68:69], -1, 0
	s_and_b64 vcc, exec, s[68:69]
                                        ; implicit-def: $sgpr70_sgpr71
	s_cbranch_vccnz .LBB12_382
; %bb.381:                              ;   in Loop: Header=BB12_380 Depth=4
	s_trap 2
	ds_read_b64 v[4:5], v0
	s_andn2_b64 s[68:69], s[68:69], exec
	s_mov_b32 s89, 0
	s_mov_b64 s[70:71], -1
	s_waitcnt vmcnt(0) lgkmcnt(0)
	flat_load_dword v0, v[4:5] sc0 sc1
	s_waitcnt vmcnt(0) lgkmcnt(0)
	buffer_inv sc0 sc1
	v_cmp_eq_u32_e32 vcc, 0, v0
	s_and_b64 vcc, vcc, exec
	s_or_b64 s[68:69], s[68:69], vcc
.LBB12_382:                             ;   in Loop: Header=BB12_380 Depth=4
	s_andn2_b64 s[66:67], s[66:67], exec
	s_and_b64 s[70:71], s[70:71], exec
	s_mov_b64 vcc, -1
	s_or_b64 s[66:67], s[66:67], s[70:71]
	s_and_saveexec_b64 s[70:71], s[68:69]
	s_cbranch_execz .LBB12_379
; %bb.383:                              ;   in Loop: Header=BB12_380 Depth=4
	s_sleep 1
	s_trap 2
	ds_read_b64 v[4:5], v0
	s_andn2_b64 s[66:67], s[66:67], exec
	s_waitcnt lgkmcnt(0)
	v_cmp_ge_u64_e32 vcc, v[4:5], v[32:33]
	s_orn2_b64 vcc, vcc, exec
	s_branch .LBB12_379
.LBB12_384:                             ;   in Loop: Header=BB12_274 Depth=3
	s_or_b64 exec, exec, s[62:63]
	s_and_saveexec_b64 vcc, s[64:65]
	s_xor_b64 vcc, exec, vcc
	s_cbranch_execz .LBB12_386
; %bb.385:                              ;   in Loop: Header=BB12_274 Depth=3
	ds_write_b32 v0, v31
	s_trap 2
.LBB12_386:                             ;   in Loop: Header=BB12_274 Depth=3
	s_or_b64 exec, exec, s[60:61]
	;;#ASMSTART
	s_wakeup
	;;#ASMEND
.LBB12_387:                             ;   in Loop: Header=BB12_274 Depth=3
	s_or_b64 exec, exec, s[58:59]
.LBB12_388:                             ;   in Loop: Header=BB12_274 Depth=3
	s_andn2_saveexec_b64 vcc, s[56:57]
	s_cbranch_execz .LBB12_390
; %bb.389:                              ;   in Loop: Header=BB12_274 Depth=3
	s_waitcnt lgkmcnt(0)
	s_barrier
.LBB12_390:                             ;   in Loop: Header=BB12_274 Depth=3
	s_or_b64 exec, exec, vcc
	s_or_b64 exec, exec, s[24:25]
                                        ; implicit-def: $vgpr2
	s_and_saveexec_b64 s[24:25], s[20:21]
	s_xor_b64 s[56:57], exec, s[24:25]
	s_cbranch_execnz .LBB12_355
.LBB12_391:                             ;   in Loop: Header=BB12_274 Depth=3
	s_andn2_saveexec_b64 s[24:25], s[56:57]
	s_cbranch_execz .LBB12_410
.LBB12_392:                             ;   in Loop: Header=BB12_274 Depth=3
	s_and_saveexec_b64 vcc, s[38:39]
	s_xor_b64 s[56:57], exec, vcc
	s_cbranch_execz .LBB12_407
; %bb.393:                              ;   in Loop: Header=BB12_274 Depth=3
	s_and_saveexec_b64 s[58:59], s[12:13]
	s_cbranch_execz .LBB12_406
; %bb.394:                              ;   in Loop: Header=BB12_274 Depth=3
	s_mov_b64 s[62:63], exec
	v_mbcnt_lo_u32_b32 v0, s62, 0
	v_mbcnt_hi_u32_b32 v0, s63, v0
	v_cmp_eq_u32_e32 vcc, 0, v0
	;;#ASMSTART
	s_waitcnt lgkmcnt(0) vmcnt(0)
	;;#ASMEND
	s_and_saveexec_b64 s[60:61], vcc
	s_cbranch_execz .LBB12_396
; %bb.395:                              ;   in Loop: Header=BB12_274 Depth=3
	s_bcnt1_i32_b64 vcc_lo, s[62:63]
	v_mov_b32_e32 v2, vcc_lo
	ds_add_u64 v0, v[2:3]
	s_trap 2
.LBB12_396:                             ;   in Loop: Header=BB12_274 Depth=3
	s_or_b64 exec, exec, s[60:61]
	s_trap 2
	ds_read_b64 v[4:5], v0
	v_lshl_add_u64 v[32:33], v[32:33], 0, v[52:53]
	s_waitcnt lgkmcnt(0)
	v_cmp_lt_u64_e32 vcc, v[4:5], v[32:33]
	s_and_saveexec_b64 s[60:61], vcc
	s_cbranch_execz .LBB12_405
; %bb.397:                              ;   in Loop: Header=BB12_274 Depth=3
	s_mov_b32 s89, 0
	s_mov_b64 s[62:63], 0
                                        ; implicit-def: $sgpr64_sgpr65
                                        ; implicit-def: $sgpr66_sgpr67
	s_branch .LBB12_399
.LBB12_398:                             ;   in Loop: Header=BB12_399 Depth=4
	s_or_b64 exec, exec, s[70:71]
	s_and_b64 vcc, exec, vcc
	s_or_b64 s[62:63], vcc, s[62:63]
	s_andn2_b64 vcc, s[64:65], exec
	s_and_b64 s[64:65], s[66:67], exec
	s_or_b64 s[64:65], vcc, s[64:65]
	s_andn2_b64 exec, exec, s[62:63]
	s_cbranch_execz .LBB12_403
.LBB12_399:                             ;   Parent Loop BB12_47 Depth=1
                                        ;     Parent Loop BB12_271 Depth=2
                                        ;       Parent Loop BB12_274 Depth=3
                                        ; =>      This Inner Loop Header: Depth=4
	s_add_i32 s89, s89, 1
	s_cmpk_lg_i32 s89, 0x2710
	s_cselect_b64 s[68:69], -1, 0
	s_and_b64 vcc, exec, s[68:69]
                                        ; implicit-def: $sgpr70_sgpr71
	s_cbranch_vccnz .LBB12_401
; %bb.400:                              ;   in Loop: Header=BB12_399 Depth=4
	s_trap 2
	ds_read_b64 v[4:5], v0
	s_andn2_b64 s[68:69], s[68:69], exec
	s_mov_b32 s89, 0
	s_mov_b64 s[70:71], -1
	s_waitcnt vmcnt(0) lgkmcnt(0)
	flat_load_dword v0, v[4:5] sc0 sc1
	s_waitcnt vmcnt(0) lgkmcnt(0)
	buffer_inv sc0 sc1
	v_cmp_eq_u32_e32 vcc, 0, v0
	s_and_b64 vcc, vcc, exec
	s_or_b64 s[68:69], s[68:69], vcc
.LBB12_401:                             ;   in Loop: Header=BB12_399 Depth=4
	s_andn2_b64 s[66:67], s[66:67], exec
	s_and_b64 s[70:71], s[70:71], exec
	s_mov_b64 vcc, -1
	s_or_b64 s[66:67], s[66:67], s[70:71]
	s_and_saveexec_b64 s[70:71], s[68:69]
	s_cbranch_execz .LBB12_398
; %bb.402:                              ;   in Loop: Header=BB12_399 Depth=4
	s_sleep 1
	s_trap 2
	ds_read_b64 v[4:5], v0
	s_andn2_b64 s[66:67], s[66:67], exec
	s_waitcnt lgkmcnt(0)
	v_cmp_ge_u64_e32 vcc, v[4:5], v[32:33]
	s_orn2_b64 vcc, vcc, exec
	s_branch .LBB12_398
.LBB12_403:                             ;   in Loop: Header=BB12_274 Depth=3
	s_or_b64 exec, exec, s[62:63]
	s_and_saveexec_b64 vcc, s[64:65]
	s_xor_b64 vcc, exec, vcc
	s_cbranch_execz .LBB12_405
; %bb.404:                              ;   in Loop: Header=BB12_274 Depth=3
	ds_write_b32 v0, v31
	s_trap 2
.LBB12_405:                             ;   in Loop: Header=BB12_274 Depth=3
	s_or_b64 exec, exec, s[60:61]
	;;#ASMSTART
	s_wakeup
	;;#ASMEND
.LBB12_406:                             ;   in Loop: Header=BB12_274 Depth=3
	s_or_b64 exec, exec, s[58:59]
.LBB12_407:                             ;   in Loop: Header=BB12_274 Depth=3
	s_andn2_saveexec_b64 vcc, s[56:57]
	s_cbranch_execz .LBB12_409
; %bb.408:                              ;   in Loop: Header=BB12_274 Depth=3
	;;#ASMSTART
	s_waitcnt lgkmcnt(0) vmcnt(0)
	;;#ASMEND
	s_barrier
.LBB12_409:                             ;   in Loop: Header=BB12_274 Depth=3
	s_or_b64 exec, exec, vcc
	v_and_b32_e32 v2, 16, v62
.LBB12_410:                             ;   in Loop: Header=BB12_274 Depth=3
	s_or_b64 exec, exec, s[24:25]
	v_cmp_ne_u32_e32 vcc, 0, v2
	s_xor_b64 s[24:25], s[6:7], -1
	s_and_b64 vcc, vcc, s[24:25]
	s_and_saveexec_b64 s[24:25], vcc
	s_cbranch_execz .LBB12_412
; %bb.411:                              ;   in Loop: Header=BB12_274 Depth=3
	flat_store_dword v[36:37], v31 sc0 sc1
.LBB12_412:                             ;   in Loop: Header=BB12_274 Depth=3
	s_or_b64 exec, exec, s[24:25]
	v_and_b32_e32 v0, 48, v62
	v_cmp_ne_u32_e32 vcc, 0, v0
	s_and_saveexec_b64 s[24:25], vcc
	s_cbranch_execz .LBB12_273
; %bb.413:                              ;   in Loop: Header=BB12_274 Depth=3
	v_lshl_add_u64 v[40:41], v[40:41], 0, 2
	flat_store_dwordx2 v[42:43], v[40:41] sc0 sc1
	s_branch .LBB12_273
.LBB12_414:                             ;   in Loop: Header=BB12_271 Depth=2
	s_or_b64 exec, exec, s[26:27]
	v_cmp_gt_i32_e32 vcc, 2, v2
	s_and_saveexec_b64 s[26:27], vcc
	s_cbranch_execz .LBB12_270
	s_branch .LBB12_416
.LBB12_415:                             ;   in Loop: Header=BB12_271 Depth=2
	s_or_b64 exec, exec, s[28:29]
	s_or_b64 exec, exec, s[26:27]
	v_cmp_gt_i32_e32 vcc, 2, v2
	s_and_saveexec_b64 s[26:27], vcc
	s_cbranch_execz .LBB12_270
.LBB12_416:                             ;   in Loop: Header=BB12_271 Depth=2
	v_cmp_eq_u32_e64 s[24:25], 0, v2
	s_mov_b64 s[28:29], 0
	s_branch .LBB12_418
.LBB12_417:                             ;   in Loop: Header=BB12_418 Depth=3
	s_or_b64 exec, exec, s[24:25]
	v_add_u32_e32 v8, v6, v8
	s_mov_b64 s[24:25], 0
	s_andn2_b64 exec, exec, s[28:29]
	s_cbranch_execz .LBB12_269
.LBB12_418:                             ;   Parent Loop BB12_47 Depth=1
                                        ;     Parent Loop BB12_271 Depth=2
                                        ; =>    This Loop Header: Depth=3
                                        ;         Child Loop BB12_424 Depth 4
                                        ;         Child Loop BB12_462 Depth 4
	;; [unrolled: 1-line block ×3, first 2 shown]
	v_and_b32_e32 v0, 12, v62
	s_mov_b64 s[56:57], -1
	v_cmp_ne_u32_e32 vcc, 0, v0
	s_and_saveexec_b64 s[54:55], vcc
	s_cbranch_execz .LBB12_430
; %bb.419:                              ;   in Loop: Header=BB12_418 Depth=3
	v_and_b32_e32 v2, 8, v62
	v_lshl_add_u64 v[10:11], v[56:57], 0, v[2:3]
	v_lshl_add_u64 v[4:5], v[40:41], 0, 2
	v_cmp_lt_u64_e32 vcc, v[10:11], v[4:5]
	v_mov_b32_e32 v7, 1
	s_and_saveexec_b64 s[56:57], vcc
	s_cbranch_execz .LBB12_429
; %bb.420:                              ;   in Loop: Header=BB12_418 Depth=3
	s_mov_b64 s[58:59], 0
	v_mov_b32_e32 v7, 0
                                        ; implicit-def: $sgpr60_sgpr61
	s_branch .LBB12_424
.LBB12_421:                             ;   in Loop: Header=BB12_424 Depth=4
	s_or_b64 exec, exec, s[68:69]
	v_mov_b32_e32 v9, 0
	s_orn2_b64 s[66:67], s[66:67], exec
.LBB12_422:                             ;   in Loop: Header=BB12_424 Depth=4
	s_or_b64 exec, exec, s[64:65]
	s_andn2_b64 vcc, s[60:61], exec
	s_and_b64 s[60:61], s[66:67], exec
	s_or_b64 s[60:61], vcc, s[60:61]
	v_mov_b32_e32 v7, v9
.LBB12_423:                             ;   in Loop: Header=BB12_424 Depth=4
	s_or_b64 exec, exec, s[62:63]
	s_waitcnt vmcnt(0) lgkmcnt(0)
	v_lshl_add_u64 v[10:11], v[56:57], 0, v[2:3]
	v_cmp_ge_u64_e32 vcc, v[10:11], v[4:5]
	s_xor_b64 s[62:63], s[60:61], -1
	s_or_b64 vcc, s[62:63], vcc
	s_and_b64 vcc, exec, vcc
	s_or_b64 s[58:59], vcc, s[58:59]
	s_andn2_b64 exec, exec, s[58:59]
	s_cbranch_execz .LBB12_428
.LBB12_424:                             ;   Parent Loop BB12_47 Depth=1
                                        ;     Parent Loop BB12_271 Depth=2
                                        ;       Parent Loop BB12_418 Depth=3
                                        ; =>      This Inner Loop Header: Depth=4
	s_sleep 1
	flat_load_dwordx2 v[56:57], v[42:43] sc0 sc1
	v_and_b32_e32 v0, 64, v62
	v_cmp_eq_u32_e32 vcc, 0, v0
	s_andn2_b64 s[60:61], s[60:61], exec
	s_and_saveexec_b64 s[62:63], vcc
	s_cbranch_execz .LBB12_423
; %bb.425:                              ;   in Loop: Header=BB12_424 Depth=4
	v_add_u32_e32 v9, 1, v7
	v_cmp_lt_i32_e32 vcc, s82, v7
	s_mov_b64 s[66:67], -1
	s_and_saveexec_b64 s[64:65], vcc
	s_cbranch_execz .LBB12_422
; %bb.426:                              ;   in Loop: Header=BB12_424 Depth=4
	s_trap 2
	ds_read_b64 v[10:11], v0
	s_waitcnt vmcnt(0) lgkmcnt(0)
	flat_load_dword v7, v[10:11] sc0 sc1
	s_waitcnt vmcnt(0) lgkmcnt(0)
	buffer_inv sc0 sc1
	v_cmp_ne_u32_e32 vcc, 0, v7
	s_and_saveexec_b64 s[68:69], vcc
	s_cbranch_execz .LBB12_421
; %bb.427:                              ;   in Loop: Header=BB12_424 Depth=4
	v_or_b32_e32 v62, 64, v62
	s_xor_b64 s[66:67], exec, -1
	ds_write_b32 v0, v7
	s_trap 2
	s_branch .LBB12_421
.LBB12_428:                             ;   in Loop: Header=BB12_418 Depth=3
	s_or_b64 exec, exec, s[58:59]
	v_and_b32_e32 v7, 12, v62
.LBB12_429:                             ;   in Loop: Header=BB12_418 Depth=3
	s_or_b64 exec, exec, s[56:57]
	v_cmp_eq_u32_e32 vcc, 0, v7
	s_orn2_b64 s[56:57], vcc, exec
	;;#ASMSTART
	s_wakeup
	;;#ASMEND
.LBB12_430:                             ;   in Loop: Header=BB12_418 Depth=3
	s_or_b64 exec, exec, s[54:55]
	s_xor_b64 s[24:25], s[24:25], -1
	s_and_b64 s[24:25], exec, s[24:25]
	s_or_b64 s[28:29], s[24:25], s[28:29]
	v_sub_u32_e32 v0, v18, v8
	s_xor_b64 s[24:25], s[56:57], -1
	v_min_i32_e32 v6, v6, v0
	s_and_saveexec_b64 s[54:55], s[24:25]
	s_cbranch_execz .LBB12_454
; %bb.431:                              ;   in Loop: Header=BB12_418 Depth=3
	v_and_b32_e32 v0, 0x108, v62
	v_cmp_ne_u32_e32 vcc, s83, v0
	v_and_b32_e32 v2, 7, v40
	s_and_saveexec_b64 s[24:25], vcc
	s_xor_b64 s[24:25], exec, s[24:25]
	s_andn2_saveexec_b64 s[24:25], s[24:25]
	s_cbranch_execz .LBB12_433
; %bb.432:                              ;   in Loop: Header=BB12_418 Depth=3
	v_ashrrev_i32_e32 v7, 31, v6
	v_mad_u64_u32 v[4:5], vcc, v2, 24, v[48:49]
	v_lshlrev_b64 v[10:11], 1, v[6:7]
	flat_store_dwordx2 v[4:5], v[10:11] offset:8
.LBB12_433:                             ;   in Loop: Header=BB12_418 Depth=3
	s_or_b64 exec, exec, s[24:25]
	v_and_b32_e32 v0, 0x100, v62
	v_cmp_ne_u32_e32 vcc, 0, v0
	s_mov_b64 s[24:25], -1
                                        ; implicit-def: $vgpr4_vgpr5
	s_and_saveexec_b64 s[56:57], vcc
	s_cbranch_execz .LBB12_437
; %bb.434:                              ;   in Loop: Header=BB12_418 Depth=3
	v_mad_u64_u32 v[10:11], s[24:25], v2, 24, v[48:49]
	v_mov_b32_e32 v4, v11
	v_mad_u64_u32 v[4:5], s[24:25], v3, 24, v[4:5]
	v_mov_b32_e32 v11, v4
	flat_load_dword v0, v[10:11]
                                        ; implicit-def: $vgpr4_vgpr5
	s_waitcnt vmcnt(0) lgkmcnt(0)
	v_cmp_ne_u32_e32 vcc, 1, v0
	v_cmp_eq_u32_e64 s[24:25], 1, v0
	s_and_saveexec_b64 s[58:59], s[24:25]
	s_cbranch_execz .LBB12_436
; %bb.435:                              ;   in Loop: Header=BB12_418 Depth=3
	flat_load_dword v4, v[10:11] offset:4 sc0 sc1
	s_waitcnt vmcnt(0) lgkmcnt(0)
	v_ashrrev_i32_e32 v5, 31, v4
	v_lshrrev_b64 v[4:5], 1, v[4:5]
.LBB12_436:                             ;   in Loop: Header=BB12_418 Depth=3
	s_or_b64 exec, exec, s[58:59]
	s_orn2_b64 s[24:25], vcc, exec
.LBB12_437:                             ;   in Loop: Header=BB12_418 Depth=3
	s_or_b64 exec, exec, s[56:57]
	s_and_saveexec_b64 vcc, s[24:25]
; %bb.438:                              ;   in Loop: Header=BB12_418 Depth=3
	v_mul_lo_u32 v0, v3, v44
	v_mul_lo_u32 v1, v2, v51
	v_mad_u64_u32 v[4:5], s[24:25], v2, v44, 0
	v_add3_u32 v5, v5, v1, v0
; %bb.439:                              ;   in Loop: Header=BB12_418 Depth=3
	s_or_b64 exec, exec, vcc
	v_lshl_add_u64 v[4:5], v[4:5], 1, v[38:39]
	s_trap 2
	ds_write_b64 v0, v[4:5]
	v_and_b32_e32 v0, 0x2000, v62
	v_cmp_ne_u32_e32 vcc, 0, v0
	s_and_saveexec_b64 s[24:25], vcc
	s_cbranch_execz .LBB12_441
; %bb.440:                              ;   in Loop: Header=BB12_418 Depth=3
	ds_read_b64 v[4:5], v0 offset:584
	s_waitcnt lgkmcnt(0)
	v_lshl_add_u64 v[4:5], v[4:5], 0, 1
	ds_write_b64 v0, v[4:5] offset:584
.LBB12_441:                             ;   in Loop: Header=BB12_418 Depth=3
	s_or_b64 exec, exec, s[24:25]
	v_lshl_add_u64 v[40:41], v[40:41], 0, 2
	s_or_b64 exec, exec, s[54:55]
	s_and_saveexec_b64 s[24:25], s[4:5]
	s_cbranch_execnz .LBB12_455
.LBB12_442:                             ;   in Loop: Header=BB12_418 Depth=3
	s_or_b64 exec, exec, s[24:25]
                                        ; implicit-def: $vgpr2
	s_and_saveexec_b64 s[24:25], s[48:49]
	s_xor_b64 s[24:25], exec, s[24:25]
	s_cbranch_execz .LBB12_480
.LBB12_443:                             ;   in Loop: Header=BB12_418 Depth=3
	s_and_saveexec_b64 vcc, s[38:39]
	s_xor_b64 s[54:55], exec, vcc
	s_cbranch_execz .LBB12_470
; %bb.444:                              ;   in Loop: Header=BB12_418 Depth=3
	s_and_saveexec_b64 s[56:57], s[12:13]
	s_cbranch_execz .LBB12_469
; %bb.445:                              ;   in Loop: Header=BB12_418 Depth=3
	s_mov_b64 s[60:61], exec
	v_mbcnt_lo_u32_b32 v0, s60, 0
	v_mbcnt_hi_u32_b32 v0, s61, v0
	v_cmp_eq_u32_e32 vcc, 0, v0
	;;#ASMSTART
	s_waitcnt lgkmcnt(0) vmcnt(0)
	;;#ASMEND
	s_and_saveexec_b64 s[58:59], vcc
	s_cbranch_execz .LBB12_447
; %bb.446:                              ;   in Loop: Header=BB12_418 Depth=3
	s_bcnt1_i32_b64 vcc_lo, s[60:61]
	v_mov_b32_e32 v2, vcc_lo
	ds_add_u64 v0, v[2:3]
	s_trap 2
.LBB12_447:                             ;   in Loop: Header=BB12_418 Depth=3
	s_or_b64 exec, exec, s[58:59]
	s_trap 2
	ds_read_b64 v[4:5], v0
	v_lshl_add_u64 v[32:33], v[32:33], 0, v[52:53]
	s_waitcnt lgkmcnt(0)
	v_cmp_lt_u64_e32 vcc, v[4:5], v[32:33]
	s_and_saveexec_b64 s[58:59], vcc
	s_cbranch_execz .LBB12_468
; %bb.448:                              ;   in Loop: Header=BB12_418 Depth=3
	s_mov_b32 s70, 0
	s_mov_b64 s[60:61], 0
                                        ; implicit-def: $sgpr62_sgpr63
                                        ; implicit-def: $sgpr64_sgpr65
	s_branch .LBB12_450
.LBB12_449:                             ;   in Loop: Header=BB12_450 Depth=4
	s_or_b64 exec, exec, s[68:69]
	s_and_b64 vcc, exec, vcc
	s_or_b64 s[60:61], vcc, s[60:61]
	s_andn2_b64 vcc, s[62:63], exec
	s_and_b64 s[62:63], s[64:65], exec
	s_or_b64 s[62:63], vcc, s[62:63]
	s_andn2_b64 exec, exec, s[60:61]
	s_cbranch_execz .LBB12_466
.LBB12_450:                             ;   Parent Loop BB12_47 Depth=1
                                        ;     Parent Loop BB12_271 Depth=2
                                        ;       Parent Loop BB12_418 Depth=3
                                        ; =>      This Inner Loop Header: Depth=4
	s_add_i32 s70, s70, 1
	s_cmpk_lg_i32 s70, 0x2710
	s_cselect_b64 s[66:67], -1, 0
	s_and_b64 vcc, exec, s[66:67]
                                        ; implicit-def: $sgpr68_sgpr69
	s_cbranch_vccnz .LBB12_452
; %bb.451:                              ;   in Loop: Header=BB12_450 Depth=4
	s_trap 2
	ds_read_b64 v[4:5], v0
	s_andn2_b64 s[66:67], s[66:67], exec
	s_mov_b32 s70, 0
	s_mov_b64 s[68:69], -1
	s_waitcnt vmcnt(0) lgkmcnt(0)
	flat_load_dword v0, v[4:5] sc0 sc1
	s_waitcnt vmcnt(0) lgkmcnt(0)
	buffer_inv sc0 sc1
	v_cmp_eq_u32_e32 vcc, 0, v0
	s_and_b64 vcc, vcc, exec
	s_or_b64 s[66:67], s[66:67], vcc
.LBB12_452:                             ;   in Loop: Header=BB12_450 Depth=4
	s_andn2_b64 s[64:65], s[64:65], exec
	s_and_b64 s[68:69], s[68:69], exec
	s_mov_b64 vcc, -1
	s_or_b64 s[64:65], s[64:65], s[68:69]
	s_and_saveexec_b64 s[68:69], s[66:67]
	s_cbranch_execz .LBB12_449
; %bb.453:                              ;   in Loop: Header=BB12_450 Depth=4
	s_sleep 1
	s_trap 2
	ds_read_b64 v[4:5], v0
	s_andn2_b64 s[64:65], s[64:65], exec
	s_waitcnt lgkmcnt(0)
	v_cmp_ge_u64_e32 vcc, v[4:5], v[32:33]
	s_orn2_b64 vcc, vcc, exec
	s_branch .LBB12_449
.LBB12_454:                             ;   in Loop: Header=BB12_418 Depth=3
	s_or_b64 exec, exec, s[54:55]
	s_and_saveexec_b64 s[24:25], s[4:5]
	s_cbranch_execz .LBB12_442
.LBB12_455:                             ;   in Loop: Header=BB12_418 Depth=3
	s_and_saveexec_b64 vcc, s[38:39]
	s_xor_b64 s[54:55], exec, vcc
	s_cbranch_execz .LBB12_477
; %bb.456:                              ;   in Loop: Header=BB12_418 Depth=3
	s_and_saveexec_b64 s[56:57], s[12:13]
	s_cbranch_execz .LBB12_476
; %bb.457:                              ;   in Loop: Header=BB12_418 Depth=3
	s_mov_b64 s[60:61], exec
	v_mbcnt_lo_u32_b32 v0, s60, 0
	v_mbcnt_hi_u32_b32 v0, s61, v0
	v_cmp_eq_u32_e32 vcc, 0, v0
	s_waitcnt lgkmcnt(0)
	s_and_saveexec_b64 s[58:59], vcc
	s_cbranch_execz .LBB12_459
; %bb.458:                              ;   in Loop: Header=BB12_418 Depth=3
	s_bcnt1_i32_b64 vcc_lo, s[60:61]
	v_mov_b32_e32 v2, vcc_lo
	ds_add_u64 v0, v[2:3]
	s_trap 2
.LBB12_459:                             ;   in Loop: Header=BB12_418 Depth=3
	s_or_b64 exec, exec, s[58:59]
	s_trap 2
	ds_read_b64 v[4:5], v0
	v_lshl_add_u64 v[32:33], v[32:33], 0, v[52:53]
	s_waitcnt lgkmcnt(0)
	v_cmp_lt_u64_e32 vcc, v[4:5], v[32:33]
	s_and_saveexec_b64 s[58:59], vcc
	s_cbranch_execz .LBB12_475
; %bb.460:                              ;   in Loop: Header=BB12_418 Depth=3
	s_mov_b32 s70, 0
	s_mov_b64 s[60:61], 0
                                        ; implicit-def: $sgpr62_sgpr63
                                        ; implicit-def: $sgpr64_sgpr65
	s_branch .LBB12_462
.LBB12_461:                             ;   in Loop: Header=BB12_462 Depth=4
	s_or_b64 exec, exec, s[68:69]
	s_and_b64 vcc, exec, vcc
	s_or_b64 s[60:61], vcc, s[60:61]
	s_andn2_b64 vcc, s[62:63], exec
	s_and_b64 s[62:63], s[64:65], exec
	s_or_b64 s[62:63], vcc, s[62:63]
	s_andn2_b64 exec, exec, s[60:61]
	s_cbranch_execz .LBB12_473
.LBB12_462:                             ;   Parent Loop BB12_47 Depth=1
                                        ;     Parent Loop BB12_271 Depth=2
                                        ;       Parent Loop BB12_418 Depth=3
                                        ; =>      This Inner Loop Header: Depth=4
	s_add_i32 s70, s70, 1
	s_cmpk_lg_i32 s70, 0x2710
	s_cselect_b64 s[66:67], -1, 0
	s_and_b64 vcc, exec, s[66:67]
                                        ; implicit-def: $sgpr68_sgpr69
	s_cbranch_vccnz .LBB12_464
; %bb.463:                              ;   in Loop: Header=BB12_462 Depth=4
	s_trap 2
	ds_read_b64 v[4:5], v0
	s_andn2_b64 s[66:67], s[66:67], exec
	s_mov_b32 s70, 0
	s_mov_b64 s[68:69], -1
	s_waitcnt vmcnt(0) lgkmcnt(0)
	flat_load_dword v0, v[4:5] sc0 sc1
	s_waitcnt vmcnt(0) lgkmcnt(0)
	buffer_inv sc0 sc1
	v_cmp_eq_u32_e32 vcc, 0, v0
	s_and_b64 vcc, vcc, exec
	s_or_b64 s[66:67], s[66:67], vcc
.LBB12_464:                             ;   in Loop: Header=BB12_462 Depth=4
	s_andn2_b64 s[64:65], s[64:65], exec
	s_and_b64 s[68:69], s[68:69], exec
	s_mov_b64 vcc, -1
	s_or_b64 s[64:65], s[64:65], s[68:69]
	s_and_saveexec_b64 s[68:69], s[66:67]
	s_cbranch_execz .LBB12_461
; %bb.465:                              ;   in Loop: Header=BB12_462 Depth=4
	s_sleep 1
	s_trap 2
	ds_read_b64 v[4:5], v0
	s_andn2_b64 s[64:65], s[64:65], exec
	s_waitcnt lgkmcnt(0)
	v_cmp_ge_u64_e32 vcc, v[4:5], v[32:33]
	s_orn2_b64 vcc, vcc, exec
	s_branch .LBB12_461
.LBB12_466:                             ;   in Loop: Header=BB12_418 Depth=3
	s_or_b64 exec, exec, s[60:61]
	s_and_saveexec_b64 vcc, s[62:63]
	s_xor_b64 vcc, exec, vcc
	s_cbranch_execz .LBB12_468
; %bb.467:                              ;   in Loop: Header=BB12_418 Depth=3
	ds_write_b32 v0, v31
	s_trap 2
.LBB12_468:                             ;   in Loop: Header=BB12_418 Depth=3
	s_or_b64 exec, exec, s[58:59]
	;;#ASMSTART
	s_wakeup
	;;#ASMEND
.LBB12_469:                             ;   in Loop: Header=BB12_418 Depth=3
	s_or_b64 exec, exec, s[56:57]
.LBB12_470:                             ;   in Loop: Header=BB12_418 Depth=3
	s_andn2_saveexec_b64 vcc, s[54:55]
	s_cbranch_execz .LBB12_472
; %bb.471:                              ;   in Loop: Header=BB12_418 Depth=3
	;;#ASMSTART
	s_waitcnt lgkmcnt(0) vmcnt(0)
	;;#ASMEND
	s_barrier
.LBB12_472:                             ;   in Loop: Header=BB12_418 Depth=3
	s_or_b64 exec, exec, vcc
	v_and_b32_e32 v2, 16, v62
	s_andn2_saveexec_b64 s[24:25], s[24:25]
	s_cbranch_execz .LBB12_484
	s_branch .LBB12_481
.LBB12_473:                             ;   in Loop: Header=BB12_418 Depth=3
	s_or_b64 exec, exec, s[60:61]
	s_and_saveexec_b64 vcc, s[62:63]
	s_xor_b64 vcc, exec, vcc
	s_cbranch_execz .LBB12_475
; %bb.474:                              ;   in Loop: Header=BB12_418 Depth=3
	ds_write_b32 v0, v31
	s_trap 2
.LBB12_475:                             ;   in Loop: Header=BB12_418 Depth=3
	s_or_b64 exec, exec, s[58:59]
	;;#ASMSTART
	s_wakeup
	;;#ASMEND
.LBB12_476:                             ;   in Loop: Header=BB12_418 Depth=3
	s_or_b64 exec, exec, s[56:57]
.LBB12_477:                             ;   in Loop: Header=BB12_418 Depth=3
	s_andn2_saveexec_b64 vcc, s[54:55]
	s_cbranch_execz .LBB12_479
; %bb.478:                              ;   in Loop: Header=BB12_418 Depth=3
	s_waitcnt lgkmcnt(0)
	s_barrier
.LBB12_479:                             ;   in Loop: Header=BB12_418 Depth=3
	s_or_b64 exec, exec, vcc
	s_or_b64 exec, exec, s[24:25]
                                        ; implicit-def: $vgpr2
	s_and_saveexec_b64 s[24:25], s[48:49]
	s_xor_b64 s[24:25], exec, s[24:25]
	s_cbranch_execnz .LBB12_443
.LBB12_480:                             ;   in Loop: Header=BB12_418 Depth=3
	s_andn2_saveexec_b64 s[24:25], s[24:25]
	s_cbranch_execz .LBB12_484
.LBB12_481:                             ;   in Loop: Header=BB12_418 Depth=3
	s_trap 2
	ds_read_b32 v0, v0
	v_cmp_lt_i32_e32 vcc, 0, v6
	v_and_b32_e32 v1, 16, v62
	v_and_b32_e32 v2, 16, v62
	s_waitcnt lgkmcnt(0)
	v_readfirstlane_b32 s54, v0
	s_cmp_eq_u32 s54, 0
	s_cselect_b64 s[54:55], -1, 0
	s_and_b64 s[54:55], vcc, s[54:55]
	v_cmp_ne_u32_e32 vcc, 0, v1
	s_and_b64 s[54:55], vcc, s[54:55]
	s_and_saveexec_b64 vcc, s[54:55]
	s_cbranch_execz .LBB12_483
; %bb.482:                              ;   in Loop: Header=BB12_418 Depth=3
	v_mov_b32_e32 v2, 1
	buffer_wbl2 sc1
	s_waitcnt vmcnt(0)
	buffer_inv sc1
.LBB12_483:                             ;   in Loop: Header=BB12_418 Depth=3
	s_or_b64 exec, exec, vcc
.LBB12_484:                             ;   in Loop: Header=BB12_418 Depth=3
	s_or_b64 exec, exec, s[24:25]
	v_cmp_ne_u32_e32 vcc, 0, v2
	s_xor_b64 s[24:25], s[6:7], -1
	s_and_b64 vcc, vcc, s[24:25]
	s_and_saveexec_b64 s[24:25], vcc
	s_cbranch_execz .LBB12_486
; %bb.485:                              ;   in Loop: Header=BB12_418 Depth=3
	flat_store_dword v[36:37], v31 sc0 sc1
.LBB12_486:                             ;   in Loop: Header=BB12_418 Depth=3
	s_or_b64 exec, exec, s[24:25]
	v_and_b32_e32 v0, 48, v62
	v_cmp_ne_u32_e32 vcc, 0, v0
	s_and_saveexec_b64 s[24:25], vcc
	s_cbranch_execz .LBB12_417
; %bb.487:                              ;   in Loop: Header=BB12_418 Depth=3
	v_lshl_add_u64 v[40:41], v[40:41], 0, 2
	flat_store_dwordx2 v[42:43], v[40:41] sc0 sc1
	s_branch .LBB12_417
.LBB12_488:                             ;   in Loop: Header=BB12_47 Depth=1
	v_accvgpr_read_b32 v18, a42
	v_accvgpr_read_b32 v19, a43
.LBB12_489:                             ;   in Loop: Header=BB12_47 Depth=1
	v_accvgpr_read_b32 v0, a44
	v_accvgpr_read_b32 v1, a45
	v_mul_lo_u32 v2, v1, s72
	v_mul_lo_u32 v6, v0, s73
	v_mad_u64_u32 v[4:5], s[24:25], v0, s72, 0
	v_add3_u32 v5, v5, v6, v2
	v_accvgpr_read_b32 v6, a46
	v_accvgpr_read_b32 v7, a47
	v_sub_co_u32_e32 v6, vcc, v6, v4
	v_mov_b32_e32 v12, 0
	s_nop 0
	v_subb_co_u32_e32 v7, vcc, v7, v5, vcc
	v_cmp_lt_i64_e32 vcc, v[0:1], v[6:7]
	s_nop 1
	v_cndmask_b32_e32 v2, v6, v0, vcc
	v_max_i32_e32 v22, 0, v2
	v_add_u32_e32 v6, 31, v22
	v_ashrrev_i32_e32 v7, 31, v6
	v_lshrrev_b32_e32 v7, 27, v7
	v_add_u32_e32 v6, v6, v7
	v_ashrrev_i32_e32 v6, 5, v6
	v_lshlrev_b32_e32 v6, 4, v6
	v_cmp_lt_i32_e32 vcc, 0, v2
	v_max_i32_e32 v24, s78, v6
	s_and_b64 s[24:25], s[50:51], vcc
	v_mov_b32_e32 v2, 0
	s_and_saveexec_b64 s[54:55], s[24:25]
	s_cbranch_execz .LBB12_667
; %bb.490:                              ;   in Loop: Header=BB12_47 Depth=1
	v_accvgpr_read_b32 v0, a48
	v_accvgpr_read_b32 v1, a49
	v_lshl_add_u64 v[4:5], v[4:5], 0, v[0:1]
	v_lshlrev_b64 v[0:1], 1, v[4:5]
	v_accvgpr_write_b32 a51, v1
	s_mov_b32 s87, 1
	s_mov_b64 s[58:59], -1
	s_mov_b64 s[56:57], 0
	v_mov_b32_e32 v12, 0
	v_accvgpr_write_b32 a50, v0
	v_accvgpr_write_b32 a24, v22
	s_branch .LBB12_492
.LBB12_491:                             ;   in Loop: Header=BB12_492 Depth=2
	s_or_b64 exec, exec, s[24:25]
	v_add_u32_e32 v12, v24, v12
	v_cmp_ge_i32_e32 vcc, v12, v22
	s_xor_b64 s[24:25], s[58:59], -1
	s_or_b64 s[24:25], s[24:25], vcc
	s_and_b64 s[24:25], exec, s[24:25]
	s_or_b64 s[56:57], s[24:25], s[56:57]
	s_mov_b64 s[58:59], 0
	v_mov_b32_e32 v2, s87
	s_mov_b32 s87, 2
	s_andn2_b64 exec, exec, s[56:57]
	s_cbranch_execz .LBB12_740
.LBB12_492:                             ;   Parent Loop BB12_47 Depth=1
                                        ; =>  This Loop Header: Depth=2
                                        ;       Child Loop BB12_500 Depth 3
                                        ;       Child Loop BB12_526 Depth 3
	;; [unrolled: 1-line block ×9, first 2 shown]
                                        ;         Child Loop BB12_586 Depth 4
                                        ;       Child Loop BB12_595 Depth 3
                                        ;       Child Loop BB12_600 Depth 3
                                        ;         Child Loop BB12_601 Depth 4
                                        ;       Child Loop BB12_573 Depth 3
                                        ;       Child Loop BB12_652 Depth 3
	s_and_saveexec_b64 s[24:25], s[0:1]
	s_cbranch_execz .LBB12_494
; %bb.493:                              ;   in Loop: Header=BB12_492 Depth=2
	s_trap 2
	s_waitcnt lgkmcnt(0)
	ds_read2_b64 v[4:7], v0 offset1:1
	ds_read_b64 v[8:9], v0
	v_accvgpr_read_b32 v0, a50
	v_ashrrev_i32_e32 v13, 31, v12
	v_accvgpr_read_b32 v1, a51
	v_lshlrev_b64 v[10:11], 1, v[12:13]
	s_waitcnt lgkmcnt(0)
	v_lshl_add_u64 v[4:5], v[4:5], 0, v[0:1]
	v_lshl_add_u64 v[4:5], v[4:5], 0, v[10:11]
	ds_write_b64 v0, v[4:5]
	v_lshl_add_u64 v[4:5], v[6:7], 0, v[0:1]
	v_lshl_add_u64 v[4:5], v[4:5], 0, v[10:11]
	ds_write_b64 v0, v[4:5]
	v_lshl_add_u64 v[4:5], v[8:9], 0, v[0:1]
	v_lshl_add_u64 v[4:5], v[4:5], 0, v[10:11]
	v_cmp_ne_u64_e32 vcc, 0, v[8:9]
	s_nop 1
	v_cndmask_b32_e32 v5, 0, v5, vcc
	v_cndmask_b32_e32 v4, 0, v4, vcc
	ds_write_b64 v0, v[4:5]
.LBB12_494:                             ;   in Loop: Header=BB12_492 Depth=2
	s_or_b64 exec, exec, s[24:25]
	v_and_b32_e32 v2, 12, v62
	v_cmp_ne_u32_e32 vcc, 0, v2
	s_mov_b64 s[26:27], -1
	s_and_saveexec_b64 s[24:25], vcc
	s_cbranch_execz .LBB12_506
; %bb.495:                              ;   in Loop: Header=BB12_492 Depth=2
	v_and_b32_e32 v2, 8, v62
	s_waitcnt lgkmcnt(0)
	v_lshl_add_u64 v[6:7], v[56:57], 0, v[2:3]
	v_lshl_add_u64 v[4:5], v[40:41], 0, 2
	v_cmp_lt_u64_e32 vcc, v[6:7], v[4:5]
	v_mov_b32_e32 v6, 1
	s_and_saveexec_b64 s[26:27], vcc
	s_cbranch_execz .LBB12_505
; %bb.496:                              ;   in Loop: Header=BB12_492 Depth=2
	s_mov_b64 s[28:29], 0
	v_mov_b32_e32 v6, 0
                                        ; implicit-def: $sgpr60_sgpr61
	s_branch .LBB12_500
.LBB12_497:                             ;   in Loop: Header=BB12_500 Depth=3
	s_or_b64 exec, exec, s[68:69]
	v_mov_b32_e32 v7, 0
	s_orn2_b64 s[66:67], s[66:67], exec
.LBB12_498:                             ;   in Loop: Header=BB12_500 Depth=3
	s_or_b64 exec, exec, s[64:65]
	s_andn2_b64 vcc, s[60:61], exec
	s_and_b64 s[60:61], s[66:67], exec
	s_or_b64 s[60:61], vcc, s[60:61]
	v_mov_b32_e32 v6, v7
.LBB12_499:                             ;   in Loop: Header=BB12_500 Depth=3
	s_or_b64 exec, exec, s[62:63]
	s_waitcnt vmcnt(0) lgkmcnt(0)
	v_lshl_add_u64 v[8:9], v[56:57], 0, v[2:3]
	v_cmp_ge_u64_e32 vcc, v[8:9], v[4:5]
	s_xor_b64 s[62:63], s[60:61], -1
	s_or_b64 vcc, s[62:63], vcc
	s_and_b64 vcc, exec, vcc
	s_or_b64 s[28:29], vcc, s[28:29]
	s_andn2_b64 exec, exec, s[28:29]
	s_cbranch_execz .LBB12_504
.LBB12_500:                             ;   Parent Loop BB12_47 Depth=1
                                        ;     Parent Loop BB12_492 Depth=2
                                        ; =>    This Inner Loop Header: Depth=3
	s_sleep 1
	flat_load_dwordx2 v[56:57], v[42:43] sc0 sc1
	v_and_b32_e32 v7, 64, v62
	v_cmp_eq_u32_e32 vcc, 0, v7
	s_andn2_b64 s[60:61], s[60:61], exec
	s_and_saveexec_b64 s[62:63], vcc
	s_cbranch_execz .LBB12_499
; %bb.501:                              ;   in Loop: Header=BB12_500 Depth=3
	v_add_u32_e32 v7, 1, v6
	v_cmp_lt_i32_e32 vcc, s82, v6
	s_mov_b64 s[66:67], -1
	s_and_saveexec_b64 s[64:65], vcc
	s_cbranch_execz .LBB12_498
; %bb.502:                              ;   in Loop: Header=BB12_500 Depth=3
	s_trap 2
	ds_read_b64 v[6:7], v0
	s_waitcnt vmcnt(0) lgkmcnt(0)
	flat_load_dword v6, v[6:7] sc0 sc1
	s_waitcnt vmcnt(0) lgkmcnt(0)
	buffer_inv sc0 sc1
	v_cmp_ne_u32_e32 vcc, 0, v6
	s_and_saveexec_b64 s[68:69], vcc
	s_cbranch_execz .LBB12_497
; %bb.503:                              ;   in Loop: Header=BB12_500 Depth=3
	v_or_b32_e32 v62, 64, v62
	s_xor_b64 s[66:67], exec, -1
	ds_write_b32 v0, v6
	s_trap 2
	s_branch .LBB12_497
.LBB12_504:                             ;   in Loop: Header=BB12_492 Depth=2
	s_or_b64 exec, exec, s[28:29]
	v_and_b32_e32 v6, 12, v62
.LBB12_505:                             ;   in Loop: Header=BB12_492 Depth=2
	s_or_b64 exec, exec, s[26:27]
	v_cmp_eq_u32_e32 vcc, 0, v6
	s_orn2_b64 s[26:27], vcc, exec
	;;#ASMSTART
	s_wakeup
	;;#ASMEND
.LBB12_506:                             ;   in Loop: Header=BB12_492 Depth=2
	s_or_b64 exec, exec, s[24:25]
	v_sub_u32_e32 v2, v22, v12
	s_xor_b64 s[24:25], s[26:27], -1
	v_min_i32_e32 v24, v24, v2
	s_and_saveexec_b64 s[26:27], s[24:25]
	s_cbranch_execz .LBB12_518
; %bb.507:                              ;   in Loop: Header=BB12_492 Depth=2
	v_and_b32_e32 v2, 0x108, v62
	v_cmp_ne_u32_e32 vcc, s83, v2
	v_and_b32_e32 v2, 7, v40
	s_and_saveexec_b64 s[24:25], vcc
	s_xor_b64 s[24:25], exec, s[24:25]
	s_andn2_saveexec_b64 s[24:25], s[24:25]
	s_cbranch_execz .LBB12_509
; %bb.508:                              ;   in Loop: Header=BB12_492 Depth=2
	v_ashrrev_i32_e32 v25, 31, v24
	v_mad_u64_u32 v[4:5], s[28:29], v2, 24, v[48:49]
	s_waitcnt lgkmcnt(0)
	v_lshlrev_b64 v[6:7], 1, v[24:25]
	flat_store_dwordx2 v[4:5], v[6:7] offset:8
.LBB12_509:                             ;   in Loop: Header=BB12_492 Depth=2
	s_or_b64 exec, exec, s[24:25]
	v_and_b32_e32 v4, 0x100, v62
	v_cmp_ne_u32_e32 vcc, 0, v4
	s_mov_b64 s[24:25], -1
                                        ; implicit-def: $vgpr4_vgpr5
	s_and_saveexec_b64 s[28:29], vcc
	s_cbranch_execz .LBB12_513
; %bb.510:                              ;   in Loop: Header=BB12_492 Depth=2
	s_waitcnt lgkmcnt(0)
	v_mad_u64_u32 v[6:7], s[24:25], v2, 24, v[48:49]
	v_mov_b32_e32 v4, v7
	v_mad_u64_u32 v[4:5], s[24:25], v3, 24, v[4:5]
	v_mov_b32_e32 v7, v4
	flat_load_dword v4, v[6:7]
	s_waitcnt vmcnt(0) lgkmcnt(0)
	v_cmp_ne_u32_e32 vcc, 1, v4
	v_cmp_eq_u32_e64 s[24:25], 1, v4
                                        ; implicit-def: $vgpr4_vgpr5
	s_and_saveexec_b64 s[60:61], s[24:25]
	s_cbranch_execz .LBB12_512
; %bb.511:                              ;   in Loop: Header=BB12_492 Depth=2
	flat_load_dword v4, v[6:7] offset:4 sc0 sc1
	s_waitcnt vmcnt(0) lgkmcnt(0)
	v_ashrrev_i32_e32 v5, 31, v4
	v_lshrrev_b64 v[4:5], 1, v[4:5]
.LBB12_512:                             ;   in Loop: Header=BB12_492 Depth=2
	s_or_b64 exec, exec, s[60:61]
	s_orn2_b64 s[24:25], vcc, exec
.LBB12_513:                             ;   in Loop: Header=BB12_492 Depth=2
	s_or_b64 exec, exec, s[28:29]
	s_and_saveexec_b64 s[28:29], s[24:25]
	s_cbranch_execz .LBB12_515
; %bb.514:                              ;   in Loop: Header=BB12_492 Depth=2
	s_waitcnt lgkmcnt(0)
	v_mul_lo_u32 v6, v3, v44
	v_mul_lo_u32 v7, v2, v51
	v_mad_u64_u32 v[4:5], s[24:25], v2, v44, 0
	v_add3_u32 v5, v5, v7, v6
.LBB12_515:                             ;   in Loop: Header=BB12_492 Depth=2
	s_or_b64 exec, exec, s[28:29]
	v_and_b32_e32 v2, 0x2000, v62
	v_lshl_add_u64 v[4:5], v[4:5], 1, v[38:39]
	v_cmp_ne_u32_e32 vcc, 0, v2
	s_trap 2
	ds_write_b64 v0, v[4:5]
	s_and_saveexec_b64 s[24:25], vcc
	s_cbranch_execz .LBB12_517
; %bb.516:                              ;   in Loop: Header=BB12_492 Depth=2
	ds_read_b64 v[4:5], v0 offset:584
	s_waitcnt lgkmcnt(0)
	v_lshl_add_u64 v[4:5], v[4:5], 0, 1
	ds_write_b64 v0, v[4:5] offset:584
.LBB12_517:                             ;   in Loop: Header=BB12_492 Depth=2
	s_or_b64 exec, exec, s[24:25]
	v_lshl_add_u64 v[40:41], v[40:41], 0, 2
.LBB12_518:                             ;   in Loop: Header=BB12_492 Depth=2
	s_or_b64 exec, exec, s[26:27]
	s_and_saveexec_b64 s[24:25], s[4:5]
	s_cbranch_execz .LBB12_537
; %bb.519:                              ;   in Loop: Header=BB12_492 Depth=2
	s_and_saveexec_b64 s[26:27], s[38:39]
	s_xor_b64 s[26:27], exec, s[26:27]
	s_cbranch_execz .LBB12_534
; %bb.520:                              ;   in Loop: Header=BB12_492 Depth=2
	s_and_saveexec_b64 s[28:29], s[12:13]
	s_cbranch_execz .LBB12_533
; %bb.521:                              ;   in Loop: Header=BB12_492 Depth=2
	s_mov_b64 s[62:63], exec
	v_mbcnt_lo_u32_b32 v2, s62, 0
	v_mbcnt_hi_u32_b32 v2, s63, v2
	v_cmp_eq_u32_e32 vcc, 0, v2
	s_waitcnt lgkmcnt(0)
	s_and_saveexec_b64 s[60:61], vcc
	s_cbranch_execz .LBB12_523
; %bb.522:                              ;   in Loop: Header=BB12_492 Depth=2
	s_bcnt1_i32_b64 vcc_lo, s[62:63]
	v_mov_b32_e32 v2, vcc_lo
	ds_add_u64 v0, v[2:3]
	s_trap 2
.LBB12_523:                             ;   in Loop: Header=BB12_492 Depth=2
	s_or_b64 exec, exec, s[60:61]
	s_trap 2
	ds_read_b64 v[4:5], v0
	v_lshl_add_u64 v[32:33], v[32:33], 0, v[52:53]
	s_waitcnt lgkmcnt(0)
	v_cmp_lt_u64_e32 vcc, v[4:5], v[32:33]
	s_and_saveexec_b64 s[60:61], vcc
	s_cbranch_execz .LBB12_532
; %bb.524:                              ;   in Loop: Header=BB12_492 Depth=2
	s_mov_b32 s88, 0
	s_mov_b64 s[62:63], 0
                                        ; implicit-def: $sgpr64_sgpr65
                                        ; implicit-def: $sgpr66_sgpr67
	s_branch .LBB12_526
.LBB12_525:                             ;   in Loop: Header=BB12_526 Depth=3
	s_or_b64 exec, exec, s[70:71]
	s_and_b64 vcc, exec, vcc
	s_or_b64 s[62:63], vcc, s[62:63]
	s_andn2_b64 vcc, s[64:65], exec
	s_and_b64 s[64:65], s[66:67], exec
	s_or_b64 s[64:65], vcc, s[64:65]
	s_andn2_b64 exec, exec, s[62:63]
	s_cbranch_execz .LBB12_530
.LBB12_526:                             ;   Parent Loop BB12_47 Depth=1
                                        ;     Parent Loop BB12_492 Depth=2
                                        ; =>    This Inner Loop Header: Depth=3
	s_add_i32 s88, s88, 1
	s_cmpk_lg_i32 s88, 0x2710
	s_cselect_b64 s[68:69], -1, 0
	s_and_b64 vcc, exec, s[68:69]
                                        ; implicit-def: $sgpr70_sgpr71
	s_cbranch_vccnz .LBB12_528
; %bb.527:                              ;   in Loop: Header=BB12_526 Depth=3
	s_trap 2
	ds_read_b64 v[4:5], v0
	s_andn2_b64 s[68:69], s[68:69], exec
	s_mov_b32 s88, 0
	s_mov_b64 s[70:71], -1
	s_waitcnt vmcnt(0) lgkmcnt(0)
	flat_load_dword v2, v[4:5] sc0 sc1
	s_waitcnt vmcnt(0) lgkmcnt(0)
	buffer_inv sc0 sc1
	v_cmp_eq_u32_e32 vcc, 0, v2
	s_and_b64 vcc, vcc, exec
	s_or_b64 s[68:69], s[68:69], vcc
.LBB12_528:                             ;   in Loop: Header=BB12_526 Depth=3
	s_andn2_b64 s[66:67], s[66:67], exec
	s_and_b64 s[70:71], s[70:71], exec
	s_mov_b64 vcc, -1
	s_or_b64 s[66:67], s[66:67], s[70:71]
	s_and_saveexec_b64 s[70:71], s[68:69]
	s_cbranch_execz .LBB12_525
; %bb.529:                              ;   in Loop: Header=BB12_526 Depth=3
	s_sleep 1
	s_trap 2
	ds_read_b64 v[4:5], v0
	s_andn2_b64 s[66:67], s[66:67], exec
	s_waitcnt lgkmcnt(0)
	v_cmp_ge_u64_e32 vcc, v[4:5], v[32:33]
	s_orn2_b64 vcc, vcc, exec
	s_branch .LBB12_525
.LBB12_530:                             ;   in Loop: Header=BB12_492 Depth=2
	s_or_b64 exec, exec, s[62:63]
	s_and_saveexec_b64 vcc, s[64:65]
	s_xor_b64 vcc, exec, vcc
	s_cbranch_execz .LBB12_532
; %bb.531:                              ;   in Loop: Header=BB12_492 Depth=2
	ds_write_b32 v0, v31
	s_trap 2
.LBB12_532:                             ;   in Loop: Header=BB12_492 Depth=2
	s_or_b64 exec, exec, s[60:61]
	;;#ASMSTART
	s_wakeup
	;;#ASMEND
.LBB12_533:                             ;   in Loop: Header=BB12_492 Depth=2
	s_or_b64 exec, exec, s[28:29]
.LBB12_534:                             ;   in Loop: Header=BB12_492 Depth=2
	s_andn2_saveexec_b64 s[26:27], s[26:27]
	s_cbranch_execz .LBB12_536
; %bb.535:                              ;   in Loop: Header=BB12_492 Depth=2
	s_waitcnt lgkmcnt(0)
	s_barrier
.LBB12_536:                             ;   in Loop: Header=BB12_492 Depth=2
	s_or_b64 exec, exec, s[26:27]
.LBB12_537:                             ;   in Loop: Header=BB12_492 Depth=2
	s_or_b64 exec, exec, s[24:25]
	s_trap 2
	ds_read_b32 v4, v0
	v_and_b32_e32 v2, 0x4000, v62
	v_cmp_ne_u32_e32 vcc, 0, v2
	s_xor_b64 s[24:25], s[2:3], -1
	s_and_b64 s[26:27], s[24:25], vcc
	s_and_saveexec_b64 s[24:25], s[26:27]
	s_cbranch_execz .LBB12_556
; %bb.538:                              ;   in Loop: Header=BB12_492 Depth=2
	s_and_saveexec_b64 s[26:27], s[38:39]
	s_xor_b64 s[26:27], exec, s[26:27]
	s_cbranch_execz .LBB12_553
; %bb.539:                              ;   in Loop: Header=BB12_492 Depth=2
	s_and_saveexec_b64 s[28:29], s[12:13]
	s_cbranch_execz .LBB12_552
; %bb.540:                              ;   in Loop: Header=BB12_492 Depth=2
	s_mov_b64 s[62:63], exec
	v_mbcnt_lo_u32_b32 v2, s62, 0
	v_mbcnt_hi_u32_b32 v2, s63, v2
	v_cmp_eq_u32_e32 vcc, 0, v2
	s_waitcnt lgkmcnt(0)
	s_and_saveexec_b64 s[60:61], vcc
	s_cbranch_execz .LBB12_542
; %bb.541:                              ;   in Loop: Header=BB12_492 Depth=2
	s_bcnt1_i32_b64 vcc_lo, s[62:63]
	v_mov_b32_e32 v2, vcc_lo
	ds_add_u64 v0, v[2:3]
	s_trap 2
.LBB12_542:                             ;   in Loop: Header=BB12_492 Depth=2
	s_or_b64 exec, exec, s[60:61]
	s_trap 2
	ds_read_b64 v[6:7], v0
	v_lshl_add_u64 v[32:33], v[32:33], 0, v[52:53]
	s_waitcnt lgkmcnt(0)
	v_cmp_lt_u64_e32 vcc, v[6:7], v[32:33]
	s_and_saveexec_b64 s[60:61], vcc
	s_cbranch_execz .LBB12_551
; %bb.543:                              ;   in Loop: Header=BB12_492 Depth=2
	s_mov_b32 s88, 0
	s_mov_b64 s[62:63], 0
                                        ; implicit-def: $sgpr64_sgpr65
                                        ; implicit-def: $sgpr66_sgpr67
	s_branch .LBB12_545
.LBB12_544:                             ;   in Loop: Header=BB12_545 Depth=3
	s_or_b64 exec, exec, s[70:71]
	s_and_b64 vcc, exec, vcc
	s_or_b64 s[62:63], vcc, s[62:63]
	s_andn2_b64 vcc, s[64:65], exec
	s_and_b64 s[64:65], s[66:67], exec
	s_or_b64 s[64:65], vcc, s[64:65]
	s_andn2_b64 exec, exec, s[62:63]
	s_cbranch_execz .LBB12_549
.LBB12_545:                             ;   Parent Loop BB12_47 Depth=1
                                        ;     Parent Loop BB12_492 Depth=2
                                        ; =>    This Inner Loop Header: Depth=3
	s_add_i32 s88, s88, 1
	s_cmpk_lg_i32 s88, 0x2710
	s_cselect_b64 s[68:69], -1, 0
	s_and_b64 vcc, exec, s[68:69]
                                        ; implicit-def: $sgpr70_sgpr71
	s_cbranch_vccnz .LBB12_547
; %bb.546:                              ;   in Loop: Header=BB12_545 Depth=3
	s_trap 2
	ds_read_b64 v[6:7], v0
	s_andn2_b64 s[68:69], s[68:69], exec
	s_mov_b32 s88, 0
	s_mov_b64 s[70:71], -1
	s_waitcnt vmcnt(0) lgkmcnt(0)
	flat_load_dword v2, v[6:7] sc0 sc1
	s_waitcnt vmcnt(0) lgkmcnt(0)
	buffer_inv sc0 sc1
	v_cmp_eq_u32_e32 vcc, 0, v2
	s_and_b64 vcc, vcc, exec
	s_or_b64 s[68:69], s[68:69], vcc
.LBB12_547:                             ;   in Loop: Header=BB12_545 Depth=3
	s_andn2_b64 s[66:67], s[66:67], exec
	s_and_b64 s[70:71], s[70:71], exec
	s_mov_b64 vcc, -1
	s_or_b64 s[66:67], s[66:67], s[70:71]
	s_and_saveexec_b64 s[70:71], s[68:69]
	s_cbranch_execz .LBB12_544
; %bb.548:                              ;   in Loop: Header=BB12_545 Depth=3
	s_sleep 1
	s_trap 2
	ds_read_b64 v[6:7], v0
	s_andn2_b64 s[66:67], s[66:67], exec
	s_waitcnt lgkmcnt(0)
	v_cmp_ge_u64_e32 vcc, v[6:7], v[32:33]
	s_orn2_b64 vcc, vcc, exec
	s_branch .LBB12_544
.LBB12_549:                             ;   in Loop: Header=BB12_492 Depth=2
	s_or_b64 exec, exec, s[62:63]
	s_and_saveexec_b64 vcc, s[64:65]
	s_xor_b64 vcc, exec, vcc
	s_cbranch_execz .LBB12_551
; %bb.550:                              ;   in Loop: Header=BB12_492 Depth=2
	ds_write_b32 v0, v31
	s_trap 2
.LBB12_551:                             ;   in Loop: Header=BB12_492 Depth=2
	s_or_b64 exec, exec, s[60:61]
	;;#ASMSTART
	s_wakeup
	;;#ASMEND
.LBB12_552:                             ;   in Loop: Header=BB12_492 Depth=2
	s_or_b64 exec, exec, s[28:29]
.LBB12_553:                             ;   in Loop: Header=BB12_492 Depth=2
	s_andn2_saveexec_b64 s[26:27], s[26:27]
	s_cbranch_execz .LBB12_555
; %bb.554:                              ;   in Loop: Header=BB12_492 Depth=2
	s_waitcnt lgkmcnt(0)
	s_barrier
.LBB12_555:                             ;   in Loop: Header=BB12_492 Depth=2
	s_or_b64 exec, exec, s[26:27]
.LBB12_556:                             ;   in Loop: Header=BB12_492 Depth=2
	s_or_b64 exec, exec, s[24:25]
	s_trap 2
	s_waitcnt lgkmcnt(0)
	ds_read_b64 v[6:7], v0
	v_mov_b32_e32 v23, 0
	s_waitcnt lgkmcnt(0)
	v_readfirstlane_b32 s24, v6
	v_readfirstlane_b32 s25, v7
	s_cmp_eq_u64 s[24:25], 0
	s_cselect_b64 s[24:25], -1, 0
	s_or_b64 s[24:25], s[24:25], s[24:25]
	s_and_b64 vcc, exec, s[24:25]
	s_cbranch_vccnz .LBB12_565
; %bb.557:                              ;   in Loop: Header=BB12_492 Depth=2
	s_trap 2
	ds_read_b64 v[6:7], v0
	v_cmp_eq_u32_e64 s[24:25], 0, v4
	s_waitcnt lgkmcnt(0)
	v_cmp_ne_u64_e32 vcc, 0, v[6:7]
	v_cndmask_b32_e64 v23, 0, v24, s[24:25]
	s_cbranch_vccz .LBB12_577
; %bb.558:                              ;   in Loop: Header=BB12_492 Depth=2
	s_trap 2
	ds_read_b64 v[6:7], v0
	s_mov_b64 s[26:27], -1
	s_and_saveexec_b64 s[24:25], s[18:19]
	s_cbranch_execz .LBB12_560
; %bb.559:                              ;   in Loop: Header=BB12_492 Depth=2
	ds_read_b32 v0, v0 offset:720
	s_waitcnt lgkmcnt(0)
	v_and_b32_e32 v0, 15, v0
	v_cmp_eq_u32_e32 vcc, 0, v0
	s_orn2_b64 s[26:27], vcc, exec
.LBB12_560:                             ;   in Loop: Header=BB12_492 Depth=2
	s_or_b64 exec, exec, s[24:25]
	s_and_saveexec_b64 s[24:25], s[18:19]
	s_cbranch_execz .LBB12_562
; %bb.561:                              ;   in Loop: Header=BB12_492 Depth=2
	ds_read_b32 v0, v0 offset:784
	s_waitcnt lgkmcnt(0)
	v_and_b32_e32 v0, 15, v0
	v_cmp_eq_u32_e32 vcc, 0, v0
	s_and_b64 s[28:29], s[26:27], vcc
	s_andn2_b64 s[26:27], s[26:27], exec
	s_and_b64 s[28:29], s[28:29], exec
	s_or_b64 s[26:27], s[26:27], s[28:29]
.LBB12_562:                             ;   in Loop: Header=BB12_492 Depth=2
	s_or_b64 exec, exec, s[24:25]
	s_xor_b64 s[26:27], s[26:27], -1
	v_cndmask_b32_e64 v0, 0, 1, s[26:27]
	v_lshlrev_b32_e32 v30, 1, v23
	s_mov_b64 s[24:25], -1
	;;#ASMSTART
	;;#ASMEND
	v_mov_b32_e32 v2, 0
	v_cmp_ne_u32_e32 vcc, 0, v0
	s_cbranch_vccz .LBB12_578
; %bb.563:                              ;   in Loop: Header=BB12_492 Depth=2
	v_mov_b32_e32 v14, v58
	v_mov_b32_e32 v5, v50
	s_and_saveexec_b64 s[28:29], s[24:25]
	s_cbranch_execnz .LBB12_593
.LBB12_564:                             ;   in Loop: Header=BB12_492 Depth=2
	s_or_b64 exec, exec, s[28:29]
.LBB12_565:                             ;   in Loop: Header=BB12_492 Depth=2
	s_and_saveexec_b64 s[24:25], s[4:5]
	s_cbranch_execz .LBB12_611
.LBB12_566:                             ;   in Loop: Header=BB12_492 Depth=2
	s_and_saveexec_b64 s[26:27], s[38:39]
	s_xor_b64 s[26:27], exec, s[26:27]
	s_cbranch_execz .LBB12_641
; %bb.567:                              ;   in Loop: Header=BB12_492 Depth=2
	s_and_saveexec_b64 s[28:29], s[12:13]
	s_cbranch_execz .LBB12_640
; %bb.568:                              ;   in Loop: Header=BB12_492 Depth=2
	s_mov_b64 s[62:63], exec
	v_mbcnt_lo_u32_b32 v0, s62, 0
	v_mbcnt_hi_u32_b32 v0, s63, v0
	v_cmp_eq_u32_e32 vcc, 0, v0
	s_waitcnt lgkmcnt(0)
	s_and_saveexec_b64 s[60:61], vcc
	s_cbranch_execz .LBB12_570
; %bb.569:                              ;   in Loop: Header=BB12_492 Depth=2
	s_bcnt1_i32_b64 vcc_lo, s[62:63]
	v_mov_b32_e32 v2, vcc_lo
	ds_add_u64 v0, v[2:3]
	s_trap 2
.LBB12_570:                             ;   in Loop: Header=BB12_492 Depth=2
	s_or_b64 exec, exec, s[60:61]
	s_trap 2
	ds_read_b64 v[4:5], v0
	v_lshl_add_u64 v[32:33], v[32:33], 0, v[52:53]
	s_waitcnt lgkmcnt(0)
	v_cmp_lt_u64_e32 vcc, v[4:5], v[32:33]
	s_and_saveexec_b64 s[60:61], vcc
	s_cbranch_execz .LBB12_639
; %bb.571:                              ;   in Loop: Header=BB12_492 Depth=2
	s_mov_b32 s88, 0
	s_mov_b64 s[62:63], 0
                                        ; implicit-def: $sgpr64_sgpr65
                                        ; implicit-def: $sgpr66_sgpr67
	s_branch .LBB12_573
.LBB12_572:                             ;   in Loop: Header=BB12_573 Depth=3
	s_or_b64 exec, exec, s[70:71]
	s_and_b64 vcc, exec, vcc
	s_or_b64 s[62:63], vcc, s[62:63]
	s_andn2_b64 vcc, s[64:65], exec
	s_and_b64 s[64:65], s[66:67], exec
	s_or_b64 s[64:65], vcc, s[64:65]
	s_andn2_b64 exec, exec, s[62:63]
	s_cbranch_execz .LBB12_637
.LBB12_573:                             ;   Parent Loop BB12_47 Depth=1
                                        ;     Parent Loop BB12_492 Depth=2
                                        ; =>    This Inner Loop Header: Depth=3
	s_add_i32 s88, s88, 1
	s_cmpk_lg_i32 s88, 0x2710
	s_cselect_b64 s[68:69], -1, 0
	s_and_b64 vcc, exec, s[68:69]
                                        ; implicit-def: $sgpr70_sgpr71
	s_cbranch_vccnz .LBB12_575
; %bb.574:                              ;   in Loop: Header=BB12_573 Depth=3
	s_trap 2
	ds_read_b64 v[4:5], v0
	s_andn2_b64 s[68:69], s[68:69], exec
	s_mov_b32 s88, 0
	s_mov_b64 s[70:71], -1
	s_waitcnt vmcnt(0) lgkmcnt(0)
	flat_load_dword v0, v[4:5] sc0 sc1
	s_waitcnt vmcnt(0) lgkmcnt(0)
	buffer_inv sc0 sc1
	v_cmp_eq_u32_e32 vcc, 0, v0
	s_and_b64 vcc, vcc, exec
	s_or_b64 s[68:69], s[68:69], vcc
.LBB12_575:                             ;   in Loop: Header=BB12_573 Depth=3
	s_andn2_b64 s[66:67], s[66:67], exec
	s_and_b64 s[70:71], s[70:71], exec
	s_mov_b64 vcc, -1
	s_or_b64 s[66:67], s[66:67], s[70:71]
	s_and_saveexec_b64 s[70:71], s[68:69]
	s_cbranch_execz .LBB12_572
; %bb.576:                              ;   in Loop: Header=BB12_573 Depth=3
	s_sleep 1
	s_trap 2
	ds_read_b64 v[4:5], v0
	s_andn2_b64 s[66:67], s[66:67], exec
	s_waitcnt lgkmcnt(0)
	v_cmp_ge_u64_e32 vcc, v[4:5], v[32:33]
	s_orn2_b64 vcc, vcc, exec
	s_branch .LBB12_572
.LBB12_577:                             ;   in Loop: Header=BB12_492 Depth=2
	s_cbranch_execnz .LBB12_604
	s_branch .LBB12_565
.LBB12_578:                             ;   in Loop: Header=BB12_492 Depth=2
	v_ashrrev_i32_e32 v0, 31, v30
	v_lshrrev_b32_e32 v0, 21, v0
	v_add_u32_e32 v0, v30, v0
	v_ashrrev_i32_e32 v61, 11, v0
	v_sub_u32_e32 v4, v61, v50
	v_cmp_lt_i32_e32 vcc, 0, v4
	s_and_saveexec_b64 s[24:25], vcc
	s_cbranch_execz .LBB12_582
; %bb.579:                              ;   in Loop: Header=BB12_492 Depth=2
	s_trap 2
	s_waitcnt lgkmcnt(0)
	v_mov_b64_e32 v[10:11], v[6:7]
	ds_read_b128 v[6:9], v0
	v_accvgpr_read_b32 v0, a38
	v_accvgpr_read_b32 v1, a39
	v_accvgpr_write_b32 a12, v32
	v_accvgpr_write_b32 a53, v11
	s_waitcnt lgkmcnt(0)
	v_lshl_add_u64 v[48:49], v[6:7], 0, v[0:1]
	v_lshl_add_u64 v[6:7], v[8:9], 0, v[0:1]
	v_accvgpr_write_b32 a31, v23
	v_accvgpr_write_b32 a34, v12
	v_mov_b32_e32 v60, v24
	v_accvgpr_write_b32 a13, v33
	v_accvgpr_write_b32 a52, v10
	v_lshl_add_u64 v[50:51], v[10:11], 0, v[0:1]
	s_mov_b64 s[26:27], 0
	v_mov_b64_e32 v[54:55], v[48:49]
	v_mov_b64_e32 v[46:47], v[6:7]
.LBB12_580:                             ;   Parent Loop BB12_47 Depth=1
                                        ;     Parent Loop BB12_492 Depth=2
                                        ; =>    This Inner Loop Header: Depth=3
	global_load_dwordx4 v[16:19], v[6:7], off nt
	global_load_dwordx4 v[20:23], v[48:49], off nt
	global_load_dwordx4 v[8:11], v[48:49], off offset:1024 nt
	global_load_dwordx4 v[12:15], v[6:7], off offset:1024 nt
	global_load_dwordx4 v[32:35], v[50:51], off nt
	global_load_dwordx4 v[24:27], v[50:51], off offset:1024 nt
	scratch_load_dwordx2 v[0:1], off, s33 offset:164 ; 8-byte Folded Reload
	v_sub_u32_e32 v4, v4, v52
	v_cmp_gt_i32_e32 vcc, 1, v4
	s_or_b64 s[26:27], vcc, s[26:27]
	s_waitcnt vmcnt(0)
	v_mul_f16_e32 v5, v21, v17
	v_lshl_add_u64 v[48:49], v[48:49], 0, v[0:1]
	scratch_load_dwordx2 v[0:1], off, s33 offset:164 ; 8-byte Folded Reload
	s_waitcnt vmcnt(0)
	v_lshl_add_u64 v[6:7], v[6:7], 0, v[0:1]
	scratch_load_dwordx2 v[0:1], off, s33 offset:164 ; 8-byte Folded Reload
	s_waitcnt vmcnt(0)
	v_lshl_add_u64 v[50:51], v[50:51], 0, v[0:1]
	v_mul_f16_e32 v0, v20, v16
	v_mul_f16_sdwa v1, v20, v16 dst_sel:DWORD dst_unused:UNUSED_PAD src0_sel:WORD_1 src1_sel:WORD_1
	v_mul_f16_sdwa v16, v21, v17 dst_sel:DWORD dst_unused:UNUSED_PAD src0_sel:WORD_1 src1_sel:WORD_1
	v_mul_f16_e32 v17, v22, v18
	v_mul_f16_sdwa v18, v22, v18 dst_sel:DWORD dst_unused:UNUSED_PAD src0_sel:WORD_1 src1_sel:WORD_1
	v_mul_f16_e32 v20, v23, v19
	;; [unrolled: 2-line block ×6, first 2 shown]
	v_mul_f16_sdwa v11, v11, v15 dst_sel:DWORD dst_unused:UNUSED_PAD src0_sel:WORD_1 src1_sel:WORD_1
	v_lshlrev_b32_e32 v15, 16, v16
	v_lshlrev_b32_e32 v22, 16, v1
	;; [unrolled: 1-line block ×4, first 2 shown]
	v_mul_f16_e32 v44, v0, v32
	v_mul_f16_sdwa v1, v1, v32 dst_sel:WORD_1 dst_unused:UNUSED_PAD src0_sel:DWORD src1_sel:WORD_1
	v_mul_f16_e32 v32, v5, v33
	v_mul_f16_sdwa v16, v16, v33 dst_sel:WORD_1 dst_unused:UNUSED_PAD src0_sel:DWORD src1_sel:WORD_1
	;; [unrolled: 2-line block ×4, first 2 shown]
	v_lshlrev_b32_e32 v36, 16, v9
	v_lshlrev_b32_e32 v39, 16, v10
	v_mul_f16_e32 v45, v12, v25
	v_mul_f16_sdwa v9, v9, v25 dst_sel:WORD_1 dst_unused:UNUSED_PAD src0_sel:DWORD src1_sel:WORD_1
	v_mul_f16_e32 v25, v13, v26
	v_mul_f16_sdwa v26, v10, v26 dst_sel:WORD_1 dst_unused:UNUSED_PAD src0_sel:DWORD src1_sel:WORD_1
	v_or3_b32 v10, v31, v17, 0
	v_or_b32_e32 v17, v16, v32
	v_or_b32_e32 v16, v1, v44
	;; [unrolled: 1-line block ×4, first 2 shown]
	global_store_dwordx4 v[54:55], v[16:19], off nt
	scratch_load_dwordx2 v[16:17], off, s33 offset:164 ; 8-byte Folded Reload
	v_lshlrev_b32_e32 v37, 16, v8
	v_lshlrev_b32_e32 v38, 16, v11
	v_mul_f16_e32 v35, v21, v24
	v_mul_f16_sdwa v24, v8, v24 dst_sel:WORD_1 dst_unused:UNUSED_PAD src0_sel:DWORD src1_sel:WORD_1
	v_mul_f16_e32 v2, v14, v27
	v_mul_f16_sdwa v11, v11, v27 dst_sel:WORD_1 dst_unused:UNUSED_PAD src0_sel:DWORD src1_sel:WORD_1
	v_or_b32_e32 v5, v15, v5
	v_or3_b32 v8, v22, v0, 0
	v_or_b32_e32 v0, v23, v20
	v_or_b32_e32 v15, v36, v12
	v_or3_b32 v12, v37, v21, 0
	v_or_b32_e32 v27, v38, v14
	v_or_b32_e32 v21, v9, v45
	v_or_b32_e32 v20, v24, v35
	v_or_b32_e32 v23, v11, v2
	v_or_b32_e32 v22, v26, v25
	v_or3_b32 v9, 0, 0, v5
	v_or3_b32 v11, 0, 0, v0
	;; [unrolled: 1-line block ×5, first 2 shown]
	global_store_dwordx4 v[54:55], v[20:23], off offset:1024 nt
	global_store_dwordx4 v[46:47], v[8:11], off nt
	global_store_dwordx4 v[46:47], v[12:15], off offset:1024 nt
	s_waitcnt vmcnt(3)
	v_lshl_add_u64 v[54:55], v[54:55], 0, v[16:17]
	v_lshl_add_u64 v[46:47], v[46:47], 0, v[16:17]
	s_andn2_b64 exec, exec, s[26:27]
	s_cbranch_execnz .LBB12_580
; %bb.581:                              ;   in Loop: Header=BB12_492 Depth=2
	s_or_b64 exec, exec, s[26:27]
	v_accvgpr_read_b32 v49, a15
	v_accvgpr_read_b32 v39, a19
	;; [unrolled: 1-line block ×23, first 2 shown]
	v_mov_b32_e32 v31, 1
	v_accvgpr_read_b32 v22, a24
	v_mov_b32_e32 v24, v60
	v_accvgpr_read_b32 v12, a34
	v_accvgpr_read_b32 v23, a31
	;; [unrolled: 1-line block ×3, first 2 shown]
.LBB12_582:                             ;   in Loop: Header=BB12_492 Depth=2
	s_or_b64 exec, exec, s[24:25]
	s_waitcnt vmcnt(0)
	v_lshlrev_b32_e32 v20, 11, v61
	v_cmp_ne_u32_e32 vcc, v30, v20
	s_mov_b64 s[24:25], 0
	v_mov_b32_e32 v2, 0
                                        ; implicit-def: $vgpr14
                                        ; implicit-def: $vgpr5
	s_and_saveexec_b64 s[60:61], vcc
	s_cbranch_execz .LBB12_592
; %bb.583:                              ;   in Loop: Header=BB12_492 Depth=2
	v_lshlrev_b32_e32 v1, 6, v4
	v_sub_u32_e32 v1, v59, v1
	v_ashrrev_i32_e32 v2, 31, v1
	v_lshrrev_b32_e32 v2, 26, v2
	v_add_u32_e32 v2, v1, v2
	v_ashrrev_i32_e32 v4, 6, v2
	v_and_b32_e32 v2, 0xffffffc0, v2
	v_sub_u32_e32 v22, v1, v2
	v_sub_u32_e32 v0, v30, v20
	v_lshlrev_b32_e32 v1, 4, v22
	v_lshl_add_u32 v2, v4, 10, v1
	v_ashrrev_i32_e32 v1, 31, v0
	v_lshrrev_b32_e32 v1, 22, v1
	v_add_u32_e32 v1, v0, v1
	v_accvgpr_write_b32 a31, v23
	v_and_b32_e32 v23, 0xfffffc00, v1
	v_sub_u32_e32 v25, v0, v23
	v_ashrrev_i32_e32 v5, 10, v1
	v_cmp_lt_i32_e64 s[24:25], 15, v25
	v_sub_u32_e32 v26, v0, v2
	v_mov_b32_e32 v60, v24
	v_addc_co_u32_e64 v0, vcc, 0, v5, s[24:25]
	v_sub_u32_e32 v24, v0, v4
	v_cmp_lt_i32_e32 vcc, 15, v26
	s_and_saveexec_b64 s[62:63], vcc
	s_cbranch_execz .LBB12_589
; %bb.584:                              ;   in Loop: Header=BB12_492 Depth=2
	s_waitcnt lgkmcnt(0)
	v_mov_b64_e32 v[0:1], v[6:7]
	s_trap 2
	ds_read_b128 v[4:7], v0
	v_accvgpr_write_b32 a34, v12
	v_add_u32_e32 v12, v2, v20
	v_ashrrev_i32_e32 v13, 31, v12
	v_accvgpr_write_b32 a12, v32
	v_accvgpr_write_b32 a53, v1
	v_lshl_add_u64 v[8:9], v[12:13], 0, v[0:1]
	s_waitcnt lgkmcnt(0)
	v_lshl_add_u64 v[10:11], v[4:5], 0, v[12:13]
	v_lshl_add_u64 v[12:13], v[6:7], 0, v[12:13]
	v_accvgpr_write_b32 a13, v33
	v_accvgpr_write_b32 a52, v0
	s_mov_b64 s[64:65], 0
	v_mov_b64_e32 v[14:15], v[10:11]
	v_mov_b64_e32 v[16:17], v[12:13]
.LBB12_585:                             ;   Parent Loop BB12_47 Depth=1
                                        ;     Parent Loop BB12_492 Depth=2
                                        ; =>    This Loop Header: Depth=3
                                        ;         Child Loop BB12_586 Depth 4
	global_load_dwordx4 v[4:7], v[14:15], off nt
	global_load_dwordx4 v[32:35], v[16:17], off nt
	global_load_dwordx4 v[48:51], v[8:9], off nt
	s_mov_b64 s[66:67], -1
	s_mov_b64 s[68:69], 0
	s_waitcnt vmcnt(1)
	v_mul_f16_e32 v0, v4, v32
	v_mul_f16_sdwa v1, v4, v32 dst_sel:DWORD dst_unused:UNUSED_PAD src0_sel:WORD_1 src1_sel:WORD_1
	v_mul_f16_sdwa v4, v5, v33 dst_sel:DWORD dst_unused:UNUSED_PAD src0_sel:WORD_1 src1_sel:WORD_1
	v_mul_f16_e32 v18, v7, v35
	v_mul_f16_sdwa v7, v7, v35 dst_sel:DWORD dst_unused:UNUSED_PAD src0_sel:WORD_1 src1_sel:WORD_1
	v_mul_f16_e32 v2, v5, v33
	v_mul_f16_e32 v5, v6, v34
	v_mul_f16_sdwa v6, v6, v34 dst_sel:DWORD dst_unused:UNUSED_PAD src0_sel:WORD_1 src1_sel:WORD_1
	v_lshlrev_b32_e32 v19, 16, v4
	v_lshlrev_b32_e32 v21, 16, v1
	;; [unrolled: 1-line block ×4, first 2 shown]
	s_waitcnt vmcnt(0)
	v_mul_f16_e32 v32, v0, v48
	v_mul_f16_sdwa v1, v1, v48 dst_sel:WORD_1 dst_unused:UNUSED_PAD src0_sel:DWORD src1_sel:WORD_1
	v_mul_f16_e32 v33, v2, v49
	v_mul_f16_sdwa v34, v4, v49 dst_sel:WORD_1 dst_unused:UNUSED_PAD src0_sel:DWORD src1_sel:WORD_1
	v_mul_f16_e32 v35, v5, v50
	v_mul_f16_sdwa v36, v6, v50 dst_sel:WORD_1 dst_unused:UNUSED_PAD src0_sel:DWORD src1_sel:WORD_1
	v_mul_f16_e32 v37, v18, v51
	v_mul_f16_sdwa v7, v7, v51 dst_sel:WORD_1 dst_unused:UNUSED_PAD src0_sel:DWORD src1_sel:WORD_1
	v_or_b32_e32 v19, v19, v2
	v_or3_b32 v2, v21, v0, 0
	v_or_b32_e32 v0, v27, v18
	v_or3_b32 v4, v31, v5, 0
	v_or_b32_e32 v5, v34, v33
	v_or_b32_e32 v6, v1, v32
	v_or_b32_e32 v7, v7, v37
	v_or_b32_e32 v18, v36, v35
	v_or3_b32 v19, 0, 0, v19
	v_or3_b32 v21, 0, 0, v0
.LBB12_586:                             ;   Parent Loop BB12_47 Depth=1
                                        ;     Parent Loop BB12_492 Depth=2
                                        ;       Parent Loop BB12_585 Depth=3
                                        ; =>      This Inner Loop Header: Depth=4
	v_cndmask_b32_e64 v0, 0, 1, s[66:67]
	v_cndmask_b32_e64 v33, v19, v5, s[66:67]
	v_readfirstlane_b32 s26, v0
	s_cmp_lg_u32 s26, 1
	s_cselect_b64 vcc, -1, 0
	s_cmp_eq_u32 s68, 1
	s_cselect_b64 s[26:27], -1, 0
	v_cndmask_b32_e64 v32, v2, v6, s[66:67]
	v_cndmask_b32_e64 v35, v21, v7, s[66:67]
	;; [unrolled: 1-line block ×3, first 2 shown]
	v_cndmask_b32_e32 v37, v11, v13, vcc
	v_cndmask_b32_e32 v36, v10, v12, vcc
	v_cndmask_b32_e64 v49, v11, v13, s[26:27]
	s_cmp_eq_u32 s68, 0
	v_cndmask_b32_e64 v48, v10, v12, s[26:27]
	global_store_dwordx4 v[36:37], v[32:35], off nt
	s_cselect_b64 s[28:29], -1, 0
	s_mov_b64 s[66:67], 0
	v_lshl_add_u64 v[32:33], v[48:49], 0, s[40:41]
	s_mov_b64 s[68:69], 1
	s_and_b64 vcc, exec, vcc
	v_cndmask_b32_e64 v13, v13, v33, s[26:27]
	v_cndmask_b32_e64 v12, v12, v32, s[26:27]
	;; [unrolled: 1-line block ×4, first 2 shown]
	s_cbranch_vccz .LBB12_586
; %bb.587:                              ;   in Loop: Header=BB12_585 Depth=3
	v_accvgpr_read_b32 v0, a26
	v_accvgpr_read_b32 v1, a27
	v_lshl_add_u64 v[10:11], v[10:11], 0, v[0:1]
	v_lshl_add_u64 v[12:13], v[12:13], 0, v[0:1]
	v_accvgpr_read_b32 v0, a3
	v_sub_u32_e32 v26, v26, v0
	v_cmp_gt_i32_e32 vcc, 16, v26
	v_lshl_add_u64 v[14:15], v[14:15], 0, v[28:29]
	v_lshl_add_u64 v[16:17], v[16:17], 0, v[28:29]
	;; [unrolled: 1-line block ×3, first 2 shown]
	s_or_b64 s[64:65], vcc, s[64:65]
	v_sub_u32_e32 v24, v24, v52
	s_andn2_b64 exec, exec, s[64:65]
	s_cbranch_execnz .LBB12_585
; %bb.588:                              ;   in Loop: Header=BB12_492 Depth=2
	s_or_b64 exec, exec, s[64:65]
	scratch_load_dwordx2 v[16:17], off, s33 offset:164 ; 8-byte Folded Reload
	v_accvgpr_read_b32 v49, a15
	v_accvgpr_read_b32 v37, a21
	;; [unrolled: 1-line block ×13, first 2 shown]
	v_mov_b32_e32 v31, 1
	v_accvgpr_read_b32 v12, a34
	v_accvgpr_read_b32 v7, a53
.LBB12_589:                             ;   in Loop: Header=BB12_492 Depth=2
	s_or_b64 exec, exec, s[62:63]
	v_and_b32_e32 v4, 14, v30
	v_cndmask_b32_e64 v30, v25, v4, s[24:25]
	s_mov_b64 s[26:27], 0
	v_mov_b32_e32 v2, 0
	v_cmp_ne_u32_e32 vcc, 0, v30
                                        ; implicit-def: $vgpr14
                                        ; implicit-def: $vgpr5
	s_mov_b64 s[28:29], exec
	v_accvgpr_read_b32 v26, a36
	s_and_b64 vcc, s[28:29], vcc
	v_accvgpr_read_b32 v27, a37
	s_mov_b64 exec, vcc
	s_cbranch_execz .LBB12_591
; %bb.590:                              ;   in Loop: Header=BB12_492 Depth=2
	v_sub_u32_e32 v0, v25, v4
	v_cndmask_b32_e64 v0, 0, v0, s[24:25]
	v_cmp_lt_i32_e32 vcc, 0, v24
	v_add3_u32 v2, v23, v20, v0
	s_mov_b64 s[26:27], exec
	v_cndmask_b32_e32 v0, 0, v52, vcc
	v_sub_u32_e32 v0, v0, v24
	v_lshl_add_u32 v14, v0, 6, v22
	v_ashrrev_i32_e32 v0, 31, v14
	v_lshrrev_b32_e32 v0, 26, v0
	v_add_u32_e32 v0, v14, v0
	v_ashrrev_i32_e32 v5, 6, v0
.LBB12_591:                             ;   in Loop: Header=BB12_492 Depth=2
	s_or_b64 exec, exec, s[28:29]
	s_and_b64 s[24:25], s[26:27], exec
	v_accvgpr_read_b32 v22, a24
	v_mov_b32_e32 v24, v60
	v_accvgpr_read_b32 v23, a31
.LBB12_592:                             ;   in Loop: Header=BB12_492 Depth=2
	s_or_b64 exec, exec, s[60:61]
	scratch_load_dwordx2 v[20:21], off, s33 offset:156 ; 8-byte Folded Reload
	s_and_saveexec_b64 s[28:29], s[24:25]
	s_cbranch_execz .LBB12_564
.LBB12_593:                             ;   in Loop: Header=BB12_492 Depth=2
	v_ashrrev_i32_e32 v0, 31, v30
	v_lshrrev_b32_e32 v0, 22, v0
	v_add_u32_e32 v0, v30, v0
	s_waitcnt vmcnt(0)
	v_ashrrev_i32_e32 v17, 10, v0
	v_sub_u32_e32 v15, v17, v5
	v_ashrrev_i32_e32 v0, 31, v14
	v_accvgpr_write_b32 a34, v12
	v_cmp_lt_i32_e32 vcc, 0, v15
	v_lshrrev_b32_e32 v16, 26, v0
	s_and_saveexec_b64 s[24:25], vcc
	s_cbranch_execz .LBB12_597
; %bb.594:                              ;   in Loop: Header=BB12_492 Depth=2
	v_add_u32_e32 v0, v14, v16
	v_and_b32_e32 v0, 0x7fffffc0, v0
	v_sub_u32_e32 v0, v14, v0
	v_lshlrev_b32_e32 v0, 1, v0
	s_trap 2
	ds_read_b128 v[8:11], v0
	v_lshlrev_b32_e32 v1, 10, v5
	v_add3_u32 v4, v0, v2, v1
	v_ashrrev_i32_e32 v5, 31, v4
	s_waitcnt lgkmcnt(1)
	v_accvgpr_write_b32 a53, v7
	v_accvgpr_write_b32 a12, v32
	;; [unrolled: 1-line block ×3, first 2 shown]
	v_lshl_add_u64 v[6:7], v[4:5], 0, v[6:7]
	s_waitcnt lgkmcnt(0)
	v_lshl_add_u64 v[8:9], v[8:9], 0, v[4:5]
	v_lshl_add_u64 v[4:5], v[10:11], 0, v[4:5]
	v_accvgpr_write_b32 a31, v23
	v_mov_b32_e32 v60, v24
	v_accvgpr_write_b32 a13, v33
	s_mov_b64 s[26:27], 0
	v_mov_b64_e32 v[10:11], v[8:9]
	v_mov_b64_e32 v[12:13], v[4:5]
.LBB12_595:                             ;   Parent Loop BB12_47 Depth=1
                                        ;     Parent Loop BB12_492 Depth=2
                                        ; =>    This Inner Loop Header: Depth=3
	flat_load_ushort v0, v[8:9] nt
	flat_load_ushort v1, v[8:9] offset:128 nt
	flat_load_ushort v18, v[8:9] offset:256 nt
	flat_load_ushort v19, v[8:9] offset:384 nt
	flat_load_ushort v20, v[8:9] offset:512 nt
	flat_load_ushort v21, v[8:9] offset:640 nt
	flat_load_ushort v22, v[8:9] offset:768 nt
	flat_load_ushort v23, v[8:9] offset:896 nt
	flat_load_ushort v24, v[6:7] offset:256 nt
	flat_load_ushort v25, v[6:7] offset:384 nt
	flat_load_ushort v26, v[6:7] offset:512 nt
	flat_load_ushort v27, v[6:7] offset:640 nt
	flat_load_ushort v31, v[6:7] offset:768 nt
	flat_load_ushort v32, v[6:7] offset:896 nt
	flat_load_ushort v33, v[4:5] nt
	flat_load_ushort v34, v[4:5] offset:128 nt
	flat_load_ushort v35, v[4:5] offset:256 nt
	;; [unrolled: 1-line block ×7, first 2 shown]
	flat_load_ushort v49, v[6:7] nt
	flat_load_ushort v50, v[6:7] offset:128 nt
	v_sub_u32_e32 v15, v15, v52
	v_cmp_gt_i32_e32 vcc, 1, v15
	v_lshl_add_u64 v[8:9], v[8:9], 0, v[28:29]
	v_lshl_add_u64 v[4:5], v[4:5], 0, v[28:29]
	;; [unrolled: 1-line block ×3, first 2 shown]
	s_or_b64 s[26:27], vcc, s[26:27]
	s_waitcnt vmcnt(0) lgkmcnt(0)
	v_mul_f16_e32 v0, v0, v33
	v_mul_f16_e32 v1, v1, v34
	;; [unrolled: 1-line block ×16, first 2 shown]
	flat_store_short v[10:11], v33 nt
	flat_store_short v[10:11], v34 offset:128 nt
	flat_store_short v[10:11], v24 offset:256 nt
	;; [unrolled: 1-line block ×7, first 2 shown]
	flat_store_short v[12:13], v0 nt
	flat_store_short v[12:13], v1 offset:128 nt
	flat_store_short v[12:13], v18 offset:256 nt
	flat_store_short v[12:13], v19 offset:384 nt
	flat_store_short v[12:13], v20 offset:512 nt
	flat_store_short v[12:13], v21 offset:640 nt
	flat_store_short v[12:13], v22 offset:768 nt
	flat_store_short v[12:13], v23 offset:896 nt
	v_lshl_add_u64 v[10:11], v[10:11], 0, v[28:29]
	v_lshl_add_u64 v[12:13], v[12:13], 0, v[28:29]
	s_andn2_b64 exec, exec, s[26:27]
	s_cbranch_execnz .LBB12_595
; %bb.596:                              ;   in Loop: Header=BB12_492 Depth=2
	s_or_b64 exec, exec, s[26:27]
	scratch_load_dwordx2 v[20:21], off, s33 offset:156 ; 8-byte Folded Reload
	v_accvgpr_read_b32 v49, a15
	v_accvgpr_read_b32 v39, a19
	;; [unrolled: 1-line block ×15, first 2 shown]
	v_mov_b32_e32 v31, 1
	v_accvgpr_read_b32 v22, a24
	v_mov_b32_e32 v24, v60
	v_accvgpr_read_b32 v23, a31
	v_accvgpr_read_b32 v7, a53
.LBB12_597:                             ;   in Loop: Header=BB12_492 Depth=2
	s_or_b64 exec, exec, s[24:25]
	v_lshlrev_b32_e32 v4, 10, v17
	v_cmp_ne_u32_e32 vcc, v30, v4
	s_and_saveexec_b64 s[60:61], vcc
	s_cbranch_execz .LBB12_603
; %bb.598:                              ;   in Loop: Header=BB12_492 Depth=2
	v_add_u32_e32 v0, v14, v16
	v_and_b32_e32 v0, 0xffffffc0, v0
	v_sub_u32_e32 v0, v14, v0
	v_lshlrev_b32_e32 v1, 6, v15
	v_sub_u32_e32 v0, v0, v1
	v_ashrrev_i32_e32 v1, 31, v0
	v_lshrrev_b32_e32 v1, 26, v1
	v_add_u32_e32 v1, v0, v1
	v_and_b32_e32 v5, 0x7fffffc0, v1
	v_sub_u32_e32 v0, v0, v5
	v_lshlrev_b32_e32 v1, 1, v1
	v_and_b32_e32 v1, 0xffffff80, v1
	v_lshlrev_b32_e32 v0, 1, v0
	v_add3_u32 v4, v1, v0, v4
	v_sub_u32_e32 v14, v30, v4
	v_cmp_lt_i32_e32 vcc, 1, v14
	s_and_b64 exec, exec, vcc
	s_cbranch_execz .LBB12_603
; %bb.599:                              ;   in Loop: Header=BB12_492 Depth=2
	s_trap 2
	ds_read_b128 v[8:11], v0
	v_add_u32_e32 v12, v4, v2
	v_ashrrev_i32_e32 v13, 31, v12
	s_waitcnt lgkmcnt(0)
	v_lshl_add_u64 v[6:7], v[12:13], 0, v[6:7]
	s_mov_b64 s[62:63], 0
	v_lshl_add_u64 v[4:5], v[8:9], 0, v[12:13]
	v_lshl_add_u64 v[8:9], v[10:11], 0, v[12:13]
	v_mov_b64_e32 v[10:11], v[4:5]
	v_mov_b64_e32 v[12:13], v[8:9]
.LBB12_600:                             ;   Parent Loop BB12_47 Depth=1
                                        ;     Parent Loop BB12_492 Depth=2
                                        ; =>    This Loop Header: Depth=3
                                        ;         Child Loop BB12_601 Depth 4
	flat_load_ushort v0, v[10:11] nt
	flat_load_ushort v1, v[12:13] nt
	;; [unrolled: 1-line block ×3, first 2 shown]
	s_mov_b64 s[66:67], -1
	s_mov_b64 s[64:65], 0
	s_waitcnt vmcnt(0) lgkmcnt(0)
	v_mul_f16_e32 v2, v0, v1
	v_mul_f16_e32 v15, v15, v2
.LBB12_601:                             ;   Parent Loop BB12_47 Depth=1
                                        ;     Parent Loop BB12_492 Depth=2
                                        ;       Parent Loop BB12_600 Depth=3
                                        ; =>      This Inner Loop Header: Depth=4
	v_cndmask_b32_e64 v1, 0, 1, s[66:67]
	v_cndmask_b32_e64 v0, v2, v15, s[66:67]
	v_readfirstlane_b32 s24, v1
	s_cmp_lg_u32 s24, 1
	s_cselect_b64 vcc, -1, 0
	s_cmp_eq_u32 s64, 1
	s_cselect_b64 s[24:25], -1, 0
	v_cndmask_b32_e32 v17, v5, v9, vcc
	v_cndmask_b32_e32 v16, v4, v8, vcc
	v_cndmask_b32_e64 v19, v5, v9, s[24:25]
	s_cmp_eq_u32 s64, 0
	v_cndmask_b32_e64 v18, v4, v8, s[24:25]
	flat_store_short v[16:17], v0 nt
	v_lshl_add_u64 v[16:17], v[18:19], 0, s[42:43]
	s_cselect_b64 s[26:27], -1, 0
	s_mov_b64 s[66:67], 0
	s_mov_b64 s[64:65], 1
	s_and_b64 vcc, exec, vcc
	v_cndmask_b32_e64 v9, v9, v17, s[24:25]
	v_cndmask_b32_e64 v8, v8, v16, s[24:25]
	;; [unrolled: 1-line block ×4, first 2 shown]
	s_cbranch_vccz .LBB12_601
; %bb.602:                              ;   in Loop: Header=BB12_600 Depth=3
	v_sub_u32_e32 v14, v14, v45
	v_cmp_gt_i32_e32 vcc, 2, v14
	v_lshl_add_u64 v[10:11], v[10:11], 0, v[26:27]
	v_lshl_add_u64 v[12:13], v[12:13], 0, v[26:27]
	;; [unrolled: 1-line block ×4, first 2 shown]
	s_or_b64 s[62:63], vcc, s[62:63]
	v_lshl_add_u64 v[6:7], v[6:7], 0, v[26:27]
	s_andn2_b64 exec, exec, s[62:63]
	s_cbranch_execnz .LBB12_600
.LBB12_603:                             ;   in Loop: Header=BB12_492 Depth=2
	s_or_b64 exec, exec, s[60:61]
	scratch_load_dwordx2 v[16:17], off, s33 offset:164 ; 8-byte Folded Reload
	v_accvgpr_read_b32 v18, a42
	v_accvgpr_read_b32 v19, a43
	;; [unrolled: 1-line block ×3, first 2 shown]
	s_or_b64 exec, exec, s[28:29]
	s_branch .LBB12_565
.LBB12_604:                             ;   in Loop: Header=BB12_492 Depth=2
	s_mov_b64 s[24:25], -1
	s_and_saveexec_b64 s[26:27], s[18:19]
	s_cbranch_execz .LBB12_606
; %bb.605:                              ;   in Loop: Header=BB12_492 Depth=2
	ds_read_b32 v2, v0 offset:720
	s_waitcnt lgkmcnt(0)
	v_and_b32_e32 v2, 15, v2
	v_cmp_eq_u32_e32 vcc, 0, v2
	s_orn2_b64 s[24:25], vcc, exec
.LBB12_606:                             ;   in Loop: Header=BB12_492 Depth=2
	s_or_b64 exec, exec, s[26:27]
	s_and_saveexec_b64 s[26:27], s[14:15]
	s_cbranch_execz .LBB12_608
; %bb.607:                              ;   in Loop: Header=BB12_492 Depth=2
	ds_read_b32 v2, v0 offset:784
	s_waitcnt lgkmcnt(0)
	v_and_b32_e32 v2, 15, v2
	v_cmp_eq_u32_e32 vcc, 0, v2
	s_and_b64 s[28:29], s[24:25], vcc
	s_andn2_b64 s[24:25], s[24:25], exec
	s_and_b64 s[28:29], s[28:29], exec
	s_or_b64 s[24:25], s[24:25], s[28:29]
.LBB12_608:                             ;   in Loop: Header=BB12_492 Depth=2
	s_or_b64 exec, exec, s[26:27]
	s_xor_b64 s[24:25], s[24:25], -1
	v_cndmask_b32_e64 v2, 0, 1, s[24:25]
	v_lshlrev_b32_e32 v61, 1, v23
	s_mov_b64 s[28:29], -1
	;;#ASMSTART
	;;#ASMEND
	s_waitcnt lgkmcnt(0)
	v_mov_b32_e32 v6, 0
	v_cmp_ne_u32_e32 vcc, 0, v2
	s_cbranch_vccz .LBB12_615
; %bb.609:                              ;   in Loop: Header=BB12_492 Depth=2
	v_mov_b32_e32 v1, v58
	v_mov_b32_e32 v4, v50
	s_and_saveexec_b64 s[24:25], s[28:29]
	s_cbranch_execnz .LBB12_628
.LBB12_610:                             ;   in Loop: Header=BB12_492 Depth=2
	s_or_b64 exec, exec, s[24:25]
	s_and_saveexec_b64 s[24:25], s[4:5]
	s_cbranch_execnz .LBB12_566
.LBB12_611:                             ;   in Loop: Header=BB12_492 Depth=2
	s_or_b64 exec, exec, s[24:25]
                                        ; implicit-def: $vgpr2
	s_and_saveexec_b64 s[24:25], s[20:21]
	s_xor_b64 s[26:27], exec, s[24:25]
	s_cbranch_execz .LBB12_644
.LBB12_612:                             ;   in Loop: Header=BB12_492 Depth=2
	v_and_b32_e32 v0, 16, v62
	v_cmp_lt_i32_e32 vcc, 0, v23
	v_cmp_ne_u32_e64 s[24:25], 0, v0
	v_and_b32_e32 v2, 16, v62
	s_and_b64 s[28:29], s[24:25], vcc
	s_and_saveexec_b64 s[24:25], s[28:29]
	s_cbranch_execz .LBB12_614
; %bb.613:                              ;   in Loop: Header=BB12_492 Depth=2
	v_mov_b32_e32 v2, 1
	buffer_wbl2 sc1
	s_waitcnt vmcnt(0) lgkmcnt(0)
	buffer_inv sc1
.LBB12_614:                             ;   in Loop: Header=BB12_492 Depth=2
	s_or_b64 exec, exec, s[24:25]
	s_andn2_saveexec_b64 s[24:25], s[26:27]
	s_cbranch_execz .LBB12_663
	s_branch .LBB12_645
.LBB12_615:                             ;   in Loop: Header=BB12_492 Depth=2
	v_ashrrev_i32_e32 v2, 31, v61
	v_lshrrev_b32_e32 v2, 21, v2
	v_add_u32_e32 v2, v61, v2
	v_ashrrev_i32_e32 v54, 11, v2
	v_sub_u32_e32 v39, v54, v50
	v_accvgpr_write_b32 a34, v12
	v_cmp_lt_i32_e32 vcc, 0, v39
	s_and_saveexec_b64 s[24:25], vcc
	s_cbranch_execz .LBB12_619
; %bb.616:                              ;   in Loop: Header=BB12_492 Depth=2
	v_mov_b64_e32 v[0:1], v[32:33]
	s_trap 2
	ds_read_b128 v[6:9], v0
	ds_read_b64 v[4:5], v0
	v_accvgpr_read_b32 v49, a39
	v_accvgpr_read_b32 v48, a38
	v_accvgpr_write_b32 a12, v61
	v_mov_b32_e32 v55, v23
	v_mov_b32_e32 v38, v24
	s_mov_b64 s[26:27], 0
	s_waitcnt lgkmcnt(0)
	v_lshl_add_u64 v[6:7], v[6:7], 0, v[48:49]
	v_lshl_add_u64 v[30:31], v[8:9], 0, v[48:49]
	s_waitcnt vmcnt(0)
	v_mov_b64_e32 v[60:61], v[16:17]
.LBB12_617:                             ;   Parent Loop BB12_47 Depth=1
                                        ;     Parent Loop BB12_492 Depth=2
                                        ; =>    This Inner Loop Header: Depth=3
	global_load_dwordx4 v[24:27], v[30:31], off nt
	global_load_dwordx4 v[32:35], v[6:7], off nt
	global_load_dwordx4 v[16:19], v[6:7], off offset:1024 nt
	global_load_dwordx4 v[20:23], v[30:31], off offset:1024 nt
	global_load_dwordx4 v[12:15], v[48:49], off nt
	global_load_dwordx4 v[8:11], v[48:49], off offset:1024 nt
	v_sub_u32_e32 v39, v39, v52
	v_cmp_gt_i32_e32 vcc, 1, v39
	v_lshl_add_u64 v[50:51], v[4:5], 0, v[48:49]
	v_lshl_add_u64 v[6:7], v[6:7], 0, v[60:61]
	;; [unrolled: 1-line block ×4, first 2 shown]
	s_or_b64 s[26:27], vcc, s[26:27]
	s_waitcnt vmcnt(4)
	v_mul_f16_e32 v2, v32, v24
	v_mul_f16_sdwa v24, v32, v24 dst_sel:DWORD dst_unused:UNUSED_PAD src0_sel:WORD_1 src1_sel:WORD_1
	v_mul_f16_e32 v32, v33, v25
	v_mul_f16_sdwa v25, v33, v25 dst_sel:DWORD dst_unused:UNUSED_PAD src0_sel:WORD_1 src1_sel:WORD_1
	v_mul_f16_e32 v33, v34, v26
	v_mul_f16_sdwa v26, v34, v26 dst_sel:DWORD dst_unused:UNUSED_PAD src0_sel:WORD_1 src1_sel:WORD_1
	v_mul_f16_e32 v34, v35, v27
	v_mul_f16_sdwa v27, v35, v27 dst_sel:DWORD dst_unused:UNUSED_PAD src0_sel:WORD_1 src1_sel:WORD_1
	s_waitcnt vmcnt(2)
	v_mul_f16_e32 v35, v16, v20
	v_mul_f16_sdwa v16, v16, v20 dst_sel:DWORD dst_unused:UNUSED_PAD src0_sel:WORD_1 src1_sel:WORD_1
	v_mul_f16_e32 v20, v17, v21
	v_mul_f16_sdwa v17, v17, v21 dst_sel:DWORD dst_unused:UNUSED_PAD src0_sel:WORD_1 src1_sel:WORD_1
	;; [unrolled: 2-line block ×4, first 2 shown]
	s_waitcnt vmcnt(1)
	v_mul_f16_e32 v2, v2, v12
	v_mul_f16_sdwa v12, v24, v12 dst_sel:WORD_1 dst_unused:UNUSED_PAD src0_sel:DWORD src1_sel:WORD_1
	v_mul_f16_e32 v23, v32, v13
	v_mul_f16_sdwa v13, v25, v13 dst_sel:WORD_1 dst_unused:UNUSED_PAD src0_sel:DWORD src1_sel:WORD_1
	;; [unrolled: 2-line block ×4, first 2 shown]
	s_waitcnt vmcnt(0)
	v_mul_f16_e32 v26, v35, v8
	v_mul_f16_sdwa v16, v16, v8 dst_sel:WORD_1 dst_unused:UNUSED_PAD src0_sel:DWORD src1_sel:WORD_1
	v_mul_f16_e32 v20, v20, v9
	v_mul_f16_sdwa v17, v17, v9 dst_sel:WORD_1 dst_unused:UNUSED_PAD src0_sel:DWORD src1_sel:WORD_1
	;; [unrolled: 2-line block ×4, first 2 shown]
	v_or_b32_e32 v9, v13, v23
	v_or_b32_e32 v8, v12, v2
	;; [unrolled: 1-line block ×8, first 2 shown]
	global_store_dwordx4 v[50:51], v[8:11], off nt
	global_store_dwordx4 v[50:51], v[12:15], off offset:1024 nt
	s_andn2_b64 exec, exec, s[26:27]
	s_cbranch_execnz .LBB12_617
; %bb.618:                              ;   in Loop: Header=BB12_492 Depth=2
	s_or_b64 exec, exec, s[26:27]
	scratch_load_dwordx2 v[20:21], off, s33 offset:156 ; 8-byte Folded Reload
	v_accvgpr_read_b32 v49, a15
	v_accvgpr_read_b32 v35, a29
	v_accvgpr_read_b32 v26, a36
	v_accvgpr_read_b32 v18, a42
	v_accvgpr_read_b32 v48, a14
	v_accvgpr_read_b32 v51, a17
	v_accvgpr_read_b32 v34, a28
	v_accvgpr_read_b32 v50, a30
	v_mov_b64_e32 v[32:33], v[0:1]
	v_mov_b64_e32 v[16:17], v[60:61]
	v_accvgpr_read_b32 v27, a37
	v_accvgpr_read_b32 v19, a43
	v_mov_b32_e32 v31, 1
	v_accvgpr_read_b32 v22, a24
	v_mov_b32_e32 v24, v38
	v_mov_b32_e32 v23, v55
	v_accvgpr_read_b32 v61, a12
.LBB12_619:                             ;   in Loop: Header=BB12_492 Depth=2
	s_or_b64 exec, exec, s[24:25]
	v_lshlrev_b32_e32 v12, 11, v54
	s_mov_b64 s[28:29], 0
	v_mov_b32_e32 v6, 0
	v_cmp_ne_u32_e32 vcc, v61, v12
                                        ; implicit-def: $vgpr1
                                        ; implicit-def: $vgpr4
	s_mov_b64 s[26:27], exec
	v_accvgpr_read_b32 v55, a33
	s_and_b64 s[24:25], s[26:27], vcc
	v_accvgpr_read_b32 v54, a32
	s_mov_b64 exec, s[24:25]
	s_cbranch_execz .LBB12_627
; %bb.620:                              ;   in Loop: Header=BB12_492 Depth=2
	v_lshlrev_b32_e32 v4, 6, v39
	v_sub_u32_e32 v4, v59, v4
	v_ashrrev_i32_e32 v5, 31, v4
	v_lshrrev_b32_e32 v5, 26, v5
	v_add_u32_e32 v5, v4, v5
	v_sub_u32_e32 v2, v61, v12
	v_ashrrev_i32_e32 v6, 6, v5
	v_and_b32_e32 v5, 0xffffffc0, v5
	v_sub_u32_e32 v13, v4, v5
	v_ashrrev_i32_e32 v5, 31, v2
	v_lshrrev_b32_e32 v5, 22, v5
	v_add_u32_e32 v5, v2, v5
	s_waitcnt vmcnt(0)
	v_and_b32_e32 v16, 0xfffffc00, v5
	v_lshlrev_b32_e32 v4, 4, v13
	v_sub_u32_e32 v18, v2, v16
	v_lshl_add_u32 v4, v6, 10, v4
	v_ashrrev_i32_e32 v7, 10, v5
	v_cmp_lt_i32_e32 vcc, 15, v18
	v_sub_u32_e32 v14, v2, v4
	s_nop 0
	v_addc_co_u32_e64 v2, s[24:25], 0, v7, vcc
	v_sub_u32_e32 v17, v2, v6
	v_cmp_lt_i32_e64 s[24:25], 15, v14
	s_and_saveexec_b64 s[28:29], s[24:25]
	s_cbranch_execz .LBB12_624
; %bb.621:                              ;   in Loop: Header=BB12_492 Depth=2
	v_mov_b64_e32 v[0:1], v[32:33]
	s_trap 2
	ds_read_b128 v[8:11], v0
	ds_read_b64 v[6:7], v0
	v_add_u32_e32 v4, v4, v12
	v_ashrrev_i32_e32 v5, 31, v4
	v_mov_b32_e32 v39, v23
	v_accvgpr_write_b32 a12, v24
	s_waitcnt lgkmcnt(1)
	v_lshl_add_u64 v[8:9], v[8:9], 0, v[4:5]
	v_lshl_add_u64 v[10:11], v[10:11], 0, v[4:5]
	s_mov_b64 s[60:61], 0
	v_accvgpr_read_b32 v38, a3
.LBB12_622:                             ;   Parent Loop BB12_47 Depth=1
                                        ;     Parent Loop BB12_492 Depth=2
                                        ; =>    This Inner Loop Header: Depth=3
	global_load_dwordx4 v[20:23], v[8:9], off nt
	global_load_dwordx4 v[24:27], v[10:11], off nt
	;; [unrolled: 1-line block ×3, first 2 shown]
	v_sub_u32_e32 v14, v14, v38
	v_cmp_gt_i32_e64 s[24:25], 16, v14
	s_waitcnt lgkmcnt(0)
	v_lshl_add_u64 v[34:35], v[6:7], 0, v[4:5]
	v_lshl_add_u64 v[8:9], v[8:9], 0, v[28:29]
	;; [unrolled: 1-line block ×4, first 2 shown]
	v_sub_u32_e32 v17, v17, v52
	s_or_b64 s[60:61], s[24:25], s[60:61]
	s_waitcnt vmcnt(1)
	v_mul_f16_e32 v2, v20, v24
	v_mul_f16_sdwa v15, v20, v24 dst_sel:DWORD dst_unused:UNUSED_PAD src0_sel:WORD_1 src1_sel:WORD_1
	v_mul_f16_e32 v19, v21, v25
	v_mul_f16_sdwa v20, v21, v25 dst_sel:DWORD dst_unused:UNUSED_PAD src0_sel:WORD_1 src1_sel:WORD_1
	v_mul_f16_e32 v21, v22, v26
	v_mul_f16_sdwa v22, v22, v26 dst_sel:DWORD dst_unused:UNUSED_PAD src0_sel:WORD_1 src1_sel:WORD_1
	v_mul_f16_e32 v24, v23, v27
	v_mul_f16_sdwa v23, v23, v27 dst_sel:DWORD dst_unused:UNUSED_PAD src0_sel:WORD_1 src1_sel:WORD_1
	s_waitcnt vmcnt(0)
	v_mul_f16_e32 v2, v2, v30
	v_mul_f16_sdwa v15, v15, v30 dst_sel:WORD_1 dst_unused:UNUSED_PAD src0_sel:DWORD src1_sel:WORD_1
	v_mul_f16_e32 v19, v19, v31
	v_mul_f16_sdwa v20, v20, v31 dst_sel:WORD_1 dst_unused:UNUSED_PAD src0_sel:DWORD src1_sel:WORD_1
	;; [unrolled: 2-line block ×4, first 2 shown]
	v_or_b32_e32 v21, v20, v19
	v_or_b32_e32 v20, v15, v2
	;; [unrolled: 1-line block ×4, first 2 shown]
	global_store_dwordx4 v[34:35], v[20:23], off nt
	s_andn2_b64 exec, exec, s[60:61]
	s_cbranch_execnz .LBB12_622
; %bb.623:                              ;   in Loop: Header=BB12_492 Depth=2
	s_or_b64 exec, exec, s[60:61]
	scratch_load_dwordx2 v[20:21], off, s33 offset:156 ; 8-byte Folded Reload
	v_accvgpr_read_b32 v35, a29
	v_accvgpr_read_b32 v26, a36
	;; [unrolled: 1-line block ×3, first 2 shown]
	v_mov_b64_e32 v[32:33], v[0:1]
	v_accvgpr_read_b32 v27, a37
	v_mov_b32_e32 v31, 1
	v_accvgpr_read_b32 v22, a24
	v_accvgpr_read_b32 v24, a12
	v_mov_b32_e32 v23, v39
.LBB12_624:                             ;   in Loop: Header=BB12_492 Depth=2
	s_or_b64 exec, exec, s[28:29]
	v_and_b32_e32 v5, 14, v61
	v_cndmask_b32_e32 v61, v18, v5, vcc
	v_cmp_ne_u32_e64 s[24:25], 0, v61
	s_mov_b64 s[28:29], 0
	v_mov_b32_e32 v6, 0
                                        ; implicit-def: $vgpr1
                                        ; implicit-def: $vgpr4
	s_and_saveexec_b64 s[60:61], s[24:25]
	s_cbranch_execz .LBB12_626
; %bb.625:                              ;   in Loop: Header=BB12_492 Depth=2
	v_sub_u32_e32 v2, v18, v5
	v_cndmask_b32_e32 v2, 0, v2, vcc
	v_cmp_lt_i32_e32 vcc, 0, v17
	v_add3_u32 v6, v16, v12, v2
	s_mov_b64 s[28:29], exec
	v_cndmask_b32_e32 v2, 0, v52, vcc
	v_sub_u32_e32 v2, v2, v17
	v_lshl_add_u32 v1, v2, 6, v13
	v_ashrrev_i32_e32 v4, 31, v1
	v_lshrrev_b32_e32 v4, 26, v4
	v_add_u32_e32 v4, v1, v4
	v_ashrrev_i32_e32 v4, 6, v4
.LBB12_626:                             ;   in Loop: Header=BB12_492 Depth=2
	s_or_b64 exec, exec, s[60:61]
	scratch_load_dwordx2 v[16:17], off, s33 offset:164 ; 8-byte Folded Reload
	v_accvgpr_read_b32 v18, a42
	s_and_b64 s[28:29], s[28:29], exec
	v_accvgpr_read_b32 v19, a43
.LBB12_627:                             ;   in Loop: Header=BB12_492 Depth=2
	s_or_b64 exec, exec, s[26:27]
	v_accvgpr_read_b32 v39, a19
	v_accvgpr_read_b32 v38, a18
	;; [unrolled: 1-line block ×3, first 2 shown]
	s_and_saveexec_b64 s[24:25], s[28:29]
	s_cbranch_execz .LBB12_610
.LBB12_628:                             ;   in Loop: Header=BB12_492 Depth=2
	v_ashrrev_i32_e32 v5, 31, v61
	v_lshrrev_b32_e32 v5, 22, v5
	v_add_u32_e32 v5, v61, v5
	v_ashrrev_i32_e32 v0, 10, v5
	s_waitcnt vmcnt(0)
	v_sub_u32_e32 v16, v0, v4
	v_accvgpr_write_b32 a34, v12
	v_cmp_lt_i32_e32 vcc, 0, v16
	s_and_saveexec_b64 s[26:27], vcc
	s_cbranch_execz .LBB12_632
; %bb.629:                              ;   in Loop: Header=BB12_492 Depth=2
	v_ashrrev_i32_e32 v5, 31, v1
	v_lshrrev_b32_e32 v5, 26, v5
	v_add_u32_e32 v5, v1, v5
	v_and_b32_e32 v5, 0x7fffffc0, v5
	s_trap 2
	ds_read_b128 v[8:11], v0
	ds_read_b64 a[54:55], v0
	v_sub_u32_e32 v5, v1, v5
	v_lshlrev_b32_e32 v5, 1, v5
	v_lshlrev_b32_e32 v4, 10, v4
	v_add3_u32 v4, v5, v6, v4
	v_accvgpr_write_b32 a12, v32
	v_ashrrev_i32_e32 v5, 31, v4
	v_accvgpr_write_b32 a53, v0
	v_accvgpr_write_b32 a31, v23
	v_mov_b32_e32 v60, v24
	v_accvgpr_write_b32 a13, v33
	v_accvgpr_write_b32 a52, v1
	;; [unrolled: 1-line block ×3, first 2 shown]
	s_waitcnt lgkmcnt(1)
	v_lshl_add_u64 v[8:9], v[8:9], 0, v[4:5]
	v_lshl_add_u64 v[10:11], v[10:11], 0, v[4:5]
	v_lshl_add_u64 v[12:13], v[4:5], 0, s[52:53]
	s_mov_b64 s[28:29], 0
.LBB12_630:                             ;   Parent Loop BB12_47 Depth=1
                                        ;     Parent Loop BB12_492 Depth=2
                                        ; =>    This Inner Loop Header: Depth=3
	v_add_co_u32_e32 v4, vcc, 0xfffffc80, v12
	flat_load_ushort v18, v[8:9] nt
	flat_load_ushort v19, v[8:9] offset:128 nt
	flat_load_ushort v20, v[8:9] offset:256 nt
	;; [unrolled: 1-line block ×7, first 2 shown]
	flat_load_ushort v26, v[12:13] nt
	flat_load_ushort v27, v[10:11] nt
	flat_load_ushort v30, v[10:11] offset:128 nt
	flat_load_ushort v31, v[10:11] offset:256 nt
	;; [unrolled: 1-line block ×7, first 2 shown]
	v_addc_co_u32_e32 v5, vcc, -1, v13, vcc
	v_add_co_u32_e32 v48, vcc, 0xfffffd00, v12
	flat_load_ushort v17, v[4:5] nt
	s_nop 0
	v_addc_co_u32_e32 v49, vcc, -1, v13, vcc
	v_add_co_u32_e32 v4, vcc, 0xfffffd80, v12
	flat_load_ushort v2, v[48:49] nt
	s_nop 0
	;; [unrolled: 4-line block ×6, first 2 shown]
	v_addc_co_u32_e32 v5, vcc, -1, v13, vcc
	flat_load_ushort v1, v[4:5] nt
	s_waitcnt lgkmcnt(0)
	v_accvgpr_read_b32 v4, a54
	v_accvgpr_read_b32 v5, a55
	v_sub_u32_e32 v16, v16, v52
	v_lshl_add_u64 v[4:5], v[4:5], 0, v[12:13]
	v_cmp_gt_i32_e32 vcc, 1, v16
	s_or_b64 s[28:29], vcc, s[28:29]
	v_add_co_u32_e32 v48, vcc, s84, v4
	v_lshl_add_u64 v[8:9], v[8:9], 0, v[28:29]
	s_nop 0
	v_addc_co_u32_e32 v49, vcc, -1, v5, vcc
	v_add_co_u32_e32 v50, vcc, s85, v4
	v_lshl_add_u64 v[10:11], v[10:11], 0, v[28:29]
	s_nop 0
	v_addc_co_u32_e32 v51, vcc, -1, v5, vcc
	;; [unrolled: 4-line block ×3, first 2 shown]
	v_add_co_u32_e32 v46, vcc, 0xfffffe00, v4
	s_waitcnt vmcnt(0)
	v_mul_f16_e32 v18, v18, v27
	v_addc_co_u32_e32 v47, vcc, -1, v5, vcc
	v_add_co_u32_e32 v44, vcc, 0xfffffe80, v4
	v_mul_f16_e32 v19, v19, v30
	s_nop 0
	v_addc_co_u32_e32 v45, vcc, -1, v5, vcc
	v_mul_f16_e32 v20, v20, v31
	v_add_co_u32_e32 v14, vcc, 0xffffff00, v4
	v_mul_f16_e32 v21, v21, v32
	v_mul_f16_e32 v17, v17, v18
	flat_store_short v[48:49], v17 nt
	v_addc_co_u32_e32 v15, vcc, -1, v5, vcc
	v_mul_f16_e32 v22, v22, v33
	v_mul_f16_e32 v2, v2, v19
	flat_store_short v[50:51], v2 nt
	v_mul_f16_e32 v23, v23, v34
	v_add_co_u32_e32 v36, vcc, 0xffffff80, v4
	v_mul_f16_e32 v2, v38, v20
	flat_store_short v[54:55], v2 nt
	v_mul_f16_e32 v24, v24, v35
	v_addc_co_u32_e32 v37, vcc, -1, v5, vcc
	v_mul_f16_e32 v2, v6, v21
	flat_store_short v[46:47], v2 nt
	v_mul_f16_e32 v25, v25, v39
	v_mul_f16_e32 v25, v26, v25
	;; [unrolled: 1-line block ×3, first 2 shown]
	flat_store_short v[44:45], v2 nt
	v_mul_f16_e32 v0, v0, v23
	flat_store_short v[14:15], v0 nt
	v_mul_f16_e32 v0, v1, v24
	flat_store_short v[36:37], v0 nt
	flat_store_short v[4:5], v25 nt
	s_andn2_b64 exec, exec, s[28:29]
	s_cbranch_execnz .LBB12_630
; %bb.631:                              ;   in Loop: Header=BB12_492 Depth=2
	s_or_b64 exec, exec, s[28:29]
	scratch_load_dwordx2 v[20:21], off, s33 offset:156 ; 8-byte Folded Reload
	v_accvgpr_read_b32 v49, a15
	v_accvgpr_read_b32 v39, a19
	;; [unrolled: 1-line block ×22, first 2 shown]
	v_mov_b32_e32 v31, 1
	v_accvgpr_read_b32 v22, a24
	v_mov_b32_e32 v24, v60
	v_accvgpr_read_b32 v23, a31
	v_accvgpr_read_b32 v6, a35
	;; [unrolled: 1-line block ×4, first 2 shown]
.LBB12_632:                             ;   in Loop: Header=BB12_492 Depth=2
	s_or_b64 exec, exec, s[26:27]
	v_lshlrev_b32_e32 v4, 10, v0
	v_cmp_ne_u32_e32 vcc, v61, v4
	s_and_saveexec_b64 s[26:27], vcc
	s_cbranch_execz .LBB12_636
; %bb.633:                              ;   in Loop: Header=BB12_492 Depth=2
	v_ashrrev_i32_e32 v0, 31, v1
	v_lshrrev_b32_e32 v0, 26, v0
	v_add_u32_e32 v0, v1, v0
	v_and_b32_e32 v0, 0xffffffc0, v0
	v_sub_u32_e32 v0, v1, v0
	v_lshlrev_b32_e32 v1, 6, v16
	v_sub_u32_e32 v0, v0, v1
	v_ashrrev_i32_e32 v1, 31, v0
	v_lshrrev_b32_e32 v1, 26, v1
	v_add_u32_e32 v1, v0, v1
	v_and_b32_e32 v2, 0x7fffffc0, v1
	v_sub_u32_e32 v0, v0, v2
	v_lshlrev_b32_e32 v1, 1, v1
	v_and_b32_e32 v1, 0xffffff80, v1
	v_lshlrev_b32_e32 v0, 1, v0
	v_add3_u32 v4, v1, v0, v4
	v_sub_u32_e32 v2, v61, v4
	v_cmp_lt_i32_e32 vcc, 1, v2
	s_and_b64 exec, exec, vcc
	s_cbranch_execz .LBB12_636
; %bb.634:                              ;   in Loop: Header=BB12_492 Depth=2
	s_trap 2
	ds_read_b128 v[8:11], v0
	v_add_u32_e32 v4, v4, v6
	ds_read_b64 v[6:7], v0
	v_ashrrev_i32_e32 v5, 31, v4
	s_mov_b64 s[28:29], 0
	s_waitcnt lgkmcnt(0)
	v_lshl_add_u64 v[8:9], v[8:9], 0, v[4:5]
	v_lshl_add_u64 v[10:11], v[10:11], 0, v[4:5]
.LBB12_635:                             ;   Parent Loop BB12_47 Depth=1
                                        ;     Parent Loop BB12_492 Depth=2
                                        ; =>    This Inner Loop Header: Depth=3
	flat_load_ushort v0, v[8:9] nt
	flat_load_ushort v1, v[10:11] nt
	;; [unrolled: 1-line block ×3, first 2 shown]
	v_sub_u32_e32 v2, v2, v45
	v_cmp_gt_i32_e32 vcc, 2, v2
	v_lshl_add_u64 v[12:13], v[6:7], 0, v[4:5]
	v_lshl_add_u64 v[8:9], v[8:9], 0, v[26:27]
	;; [unrolled: 1-line block ×4, first 2 shown]
	s_or_b64 s[28:29], vcc, s[28:29]
	s_waitcnt vmcnt(0) lgkmcnt(0)
	v_mul_f16_e32 v0, v0, v1
	v_mul_f16_e32 v0, v14, v0
	flat_store_short v[12:13], v0 nt
	s_andn2_b64 exec, exec, s[28:29]
	s_cbranch_execnz .LBB12_635
.LBB12_636:                             ;   in Loop: Header=BB12_492 Depth=2
	s_or_b64 exec, exec, s[26:27]
	scratch_load_dwordx2 v[16:17], off, s33 offset:164 ; 8-byte Folded Reload
	v_accvgpr_read_b32 v12, a34
	s_or_b64 exec, exec, s[24:25]
	s_and_saveexec_b64 s[24:25], s[4:5]
	s_cbranch_execnz .LBB12_566
	s_branch .LBB12_611
.LBB12_637:                             ;   in Loop: Header=BB12_492 Depth=2
	s_or_b64 exec, exec, s[62:63]
	s_and_saveexec_b64 vcc, s[64:65]
	s_xor_b64 vcc, exec, vcc
	s_cbranch_execz .LBB12_639
; %bb.638:                              ;   in Loop: Header=BB12_492 Depth=2
	ds_write_b32 v0, v31
	s_trap 2
.LBB12_639:                             ;   in Loop: Header=BB12_492 Depth=2
	s_or_b64 exec, exec, s[60:61]
	;;#ASMSTART
	s_wakeup
	;;#ASMEND
.LBB12_640:                             ;   in Loop: Header=BB12_492 Depth=2
	s_or_b64 exec, exec, s[28:29]
.LBB12_641:                             ;   in Loop: Header=BB12_492 Depth=2
	s_andn2_saveexec_b64 s[26:27], s[26:27]
	s_cbranch_execz .LBB12_643
; %bb.642:                              ;   in Loop: Header=BB12_492 Depth=2
	s_waitcnt lgkmcnt(0)
	s_barrier
.LBB12_643:                             ;   in Loop: Header=BB12_492 Depth=2
	s_or_b64 exec, exec, s[26:27]
	s_or_b64 exec, exec, s[24:25]
                                        ; implicit-def: $vgpr2
	s_and_saveexec_b64 s[24:25], s[20:21]
	s_xor_b64 s[26:27], exec, s[24:25]
	s_cbranch_execnz .LBB12_612
.LBB12_644:                             ;   in Loop: Header=BB12_492 Depth=2
	s_andn2_saveexec_b64 s[24:25], s[26:27]
	s_cbranch_execz .LBB12_663
.LBB12_645:                             ;   in Loop: Header=BB12_492 Depth=2
	s_and_saveexec_b64 s[26:27], s[38:39]
	s_xor_b64 s[26:27], exec, s[26:27]
	s_cbranch_execz .LBB12_660
; %bb.646:                              ;   in Loop: Header=BB12_492 Depth=2
	s_and_saveexec_b64 s[28:29], s[12:13]
	s_cbranch_execz .LBB12_659
; %bb.647:                              ;   in Loop: Header=BB12_492 Depth=2
	s_mov_b64 s[62:63], exec
	v_mbcnt_lo_u32_b32 v0, s62, 0
	v_mbcnt_hi_u32_b32 v0, s63, v0
	v_cmp_eq_u32_e32 vcc, 0, v0
	;;#ASMSTART
	s_waitcnt lgkmcnt(0) vmcnt(0)
	;;#ASMEND
	s_and_saveexec_b64 s[60:61], vcc
	s_cbranch_execz .LBB12_649
; %bb.648:                              ;   in Loop: Header=BB12_492 Depth=2
	s_bcnt1_i32_b64 vcc_lo, s[62:63]
	v_mov_b32_e32 v2, vcc_lo
	ds_add_u64 v0, v[2:3]
	s_trap 2
.LBB12_649:                             ;   in Loop: Header=BB12_492 Depth=2
	s_or_b64 exec, exec, s[60:61]
	s_trap 2
	ds_read_b64 v[4:5], v0
	v_lshl_add_u64 v[32:33], v[32:33], 0, v[52:53]
	s_waitcnt lgkmcnt(0)
	v_cmp_lt_u64_e32 vcc, v[4:5], v[32:33]
	s_and_saveexec_b64 s[60:61], vcc
	s_cbranch_execz .LBB12_658
; %bb.650:                              ;   in Loop: Header=BB12_492 Depth=2
	s_mov_b32 s88, 0
	s_mov_b64 s[62:63], 0
                                        ; implicit-def: $sgpr64_sgpr65
                                        ; implicit-def: $sgpr66_sgpr67
	s_branch .LBB12_652
.LBB12_651:                             ;   in Loop: Header=BB12_652 Depth=3
	s_or_b64 exec, exec, s[70:71]
	s_and_b64 vcc, exec, vcc
	s_or_b64 s[62:63], vcc, s[62:63]
	s_andn2_b64 vcc, s[64:65], exec
	s_and_b64 s[64:65], s[66:67], exec
	s_or_b64 s[64:65], vcc, s[64:65]
	s_andn2_b64 exec, exec, s[62:63]
	s_cbranch_execz .LBB12_656
.LBB12_652:                             ;   Parent Loop BB12_47 Depth=1
                                        ;     Parent Loop BB12_492 Depth=2
                                        ; =>    This Inner Loop Header: Depth=3
	s_add_i32 s88, s88, 1
	s_cmpk_lg_i32 s88, 0x2710
	s_cselect_b64 s[68:69], -1, 0
	s_and_b64 vcc, exec, s[68:69]
                                        ; implicit-def: $sgpr70_sgpr71
	s_cbranch_vccnz .LBB12_654
; %bb.653:                              ;   in Loop: Header=BB12_652 Depth=3
	s_trap 2
	ds_read_b64 v[4:5], v0
	s_andn2_b64 s[68:69], s[68:69], exec
	s_mov_b32 s88, 0
	s_mov_b64 s[70:71], -1
	s_waitcnt vmcnt(0) lgkmcnt(0)
	flat_load_dword v0, v[4:5] sc0 sc1
	s_waitcnt vmcnt(0) lgkmcnt(0)
	buffer_inv sc0 sc1
	v_cmp_eq_u32_e32 vcc, 0, v0
	s_and_b64 vcc, vcc, exec
	s_or_b64 s[68:69], s[68:69], vcc
.LBB12_654:                             ;   in Loop: Header=BB12_652 Depth=3
	s_andn2_b64 s[66:67], s[66:67], exec
	s_and_b64 s[70:71], s[70:71], exec
	s_mov_b64 vcc, -1
	s_or_b64 s[66:67], s[66:67], s[70:71]
	s_and_saveexec_b64 s[70:71], s[68:69]
	s_cbranch_execz .LBB12_651
; %bb.655:                              ;   in Loop: Header=BB12_652 Depth=3
	s_sleep 1
	s_trap 2
	ds_read_b64 v[4:5], v0
	s_andn2_b64 s[66:67], s[66:67], exec
	s_waitcnt lgkmcnt(0)
	v_cmp_ge_u64_e32 vcc, v[4:5], v[32:33]
	s_orn2_b64 vcc, vcc, exec
	s_branch .LBB12_651
.LBB12_656:                             ;   in Loop: Header=BB12_492 Depth=2
	s_or_b64 exec, exec, s[62:63]
	s_and_saveexec_b64 vcc, s[64:65]
	s_xor_b64 vcc, exec, vcc
	s_cbranch_execz .LBB12_658
; %bb.657:                              ;   in Loop: Header=BB12_492 Depth=2
	ds_write_b32 v0, v31
	s_trap 2
.LBB12_658:                             ;   in Loop: Header=BB12_492 Depth=2
	s_or_b64 exec, exec, s[60:61]
	;;#ASMSTART
	s_wakeup
	;;#ASMEND
.LBB12_659:                             ;   in Loop: Header=BB12_492 Depth=2
	s_or_b64 exec, exec, s[28:29]
.LBB12_660:                             ;   in Loop: Header=BB12_492 Depth=2
	s_andn2_saveexec_b64 s[26:27], s[26:27]
	s_cbranch_execz .LBB12_662
; %bb.661:                              ;   in Loop: Header=BB12_492 Depth=2
	;;#ASMSTART
	s_waitcnt lgkmcnt(0) vmcnt(0)
	;;#ASMEND
	s_barrier
.LBB12_662:                             ;   in Loop: Header=BB12_492 Depth=2
	s_or_b64 exec, exec, s[26:27]
	v_and_b32_e32 v2, 16, v62
.LBB12_663:                             ;   in Loop: Header=BB12_492 Depth=2
	s_or_b64 exec, exec, s[24:25]
	v_cmp_ne_u32_e32 vcc, 0, v2
	s_xor_b64 s[24:25], s[6:7], -1
	s_and_b64 s[26:27], vcc, s[24:25]
	s_and_saveexec_b64 s[24:25], s[26:27]
	s_cbranch_execz .LBB12_665
; %bb.664:                              ;   in Loop: Header=BB12_492 Depth=2
	flat_store_dword v[36:37], v31 sc0 sc1
.LBB12_665:                             ;   in Loop: Header=BB12_492 Depth=2
	s_or_b64 exec, exec, s[24:25]
	v_and_b32_e32 v0, 48, v62
	v_cmp_ne_u32_e32 vcc, 0, v0
	s_and_saveexec_b64 s[24:25], vcc
	s_cbranch_execz .LBB12_491
; %bb.666:                              ;   in Loop: Header=BB12_492 Depth=2
	v_lshl_add_u64 v[40:41], v[40:41], 0, 2
	flat_store_dwordx2 v[42:43], v[40:41] sc0 sc1
	s_branch .LBB12_491
.LBB12_667:                             ;   in Loop: Header=BB12_47 Depth=1
	s_or_b64 exec, exec, s[54:55]
	v_cmp_gt_i32_e32 vcc, 2, v2
	s_and_saveexec_b64 s[26:27], vcc
	s_cbranch_execz .LBB12_741
.LBB12_668:                             ;   in Loop: Header=BB12_47 Depth=1
	v_cmp_eq_u32_e64 s[24:25], 0, v2
	s_mov_b64 s[28:29], 0
	s_branch .LBB12_670
.LBB12_669:                             ;   in Loop: Header=BB12_670 Depth=2
	s_or_b64 exec, exec, s[24:25]
	v_add_u32_e32 v12, v24, v12
	s_mov_b64 s[24:25], 0
	s_andn2_b64 exec, exec, s[28:29]
	s_cbranch_execz .LBB12_742
.LBB12_670:                             ;   Parent Loop BB12_47 Depth=1
                                        ; =>  This Loop Header: Depth=2
                                        ;       Child Loop BB12_676 Depth 3
                                        ;       Child Loop BB12_706 Depth 3
	;; [unrolled: 1-line block ×3, first 2 shown]
	v_and_b32_e32 v0, 12, v62
	s_mov_b64 s[56:57], -1
	v_cmp_ne_u32_e32 vcc, 0, v0
	s_and_saveexec_b64 s[54:55], vcc
	s_cbranch_execz .LBB12_682
; %bb.671:                              ;   in Loop: Header=BB12_670 Depth=2
	v_and_b32_e32 v2, 8, v62
	s_waitcnt lgkmcnt(0)
	v_lshl_add_u64 v[6:7], v[56:57], 0, v[2:3]
	v_lshl_add_u64 v[4:5], v[40:41], 0, 2
	v_cmp_lt_u64_e32 vcc, v[6:7], v[4:5]
	v_mov_b32_e32 v6, 1
	s_and_saveexec_b64 s[56:57], vcc
	s_cbranch_execz .LBB12_681
; %bb.672:                              ;   in Loop: Header=BB12_670 Depth=2
	s_mov_b64 s[58:59], 0
	v_mov_b32_e32 v6, 0
                                        ; implicit-def: $sgpr60_sgpr61
	s_branch .LBB12_676
.LBB12_673:                             ;   in Loop: Header=BB12_676 Depth=3
	s_or_b64 exec, exec, s[68:69]
	v_mov_b32_e32 v7, 0
	s_orn2_b64 s[66:67], s[66:67], exec
.LBB12_674:                             ;   in Loop: Header=BB12_676 Depth=3
	s_or_b64 exec, exec, s[64:65]
	s_andn2_b64 vcc, s[60:61], exec
	s_and_b64 s[60:61], s[66:67], exec
	s_or_b64 s[60:61], vcc, s[60:61]
	v_mov_b32_e32 v6, v7
.LBB12_675:                             ;   in Loop: Header=BB12_676 Depth=3
	s_or_b64 exec, exec, s[62:63]
	s_waitcnt vmcnt(0) lgkmcnt(0)
	v_lshl_add_u64 v[8:9], v[56:57], 0, v[2:3]
	v_cmp_ge_u64_e32 vcc, v[8:9], v[4:5]
	s_xor_b64 s[62:63], s[60:61], -1
	s_or_b64 vcc, s[62:63], vcc
	s_and_b64 vcc, exec, vcc
	s_or_b64 s[58:59], vcc, s[58:59]
	s_andn2_b64 exec, exec, s[58:59]
	s_cbranch_execz .LBB12_680
.LBB12_676:                             ;   Parent Loop BB12_47 Depth=1
                                        ;     Parent Loop BB12_670 Depth=2
                                        ; =>    This Inner Loop Header: Depth=3
	s_sleep 1
	flat_load_dwordx2 v[56:57], v[42:43] sc0 sc1
	v_and_b32_e32 v0, 64, v62
	v_cmp_eq_u32_e32 vcc, 0, v0
	s_andn2_b64 s[60:61], s[60:61], exec
	s_and_saveexec_b64 s[62:63], vcc
	s_cbranch_execz .LBB12_675
; %bb.677:                              ;   in Loop: Header=BB12_676 Depth=3
	v_add_u32_e32 v7, 1, v6
	v_cmp_lt_i32_e32 vcc, s82, v6
	s_mov_b64 s[66:67], -1
	s_and_saveexec_b64 s[64:65], vcc
	s_cbranch_execz .LBB12_674
; %bb.678:                              ;   in Loop: Header=BB12_676 Depth=3
	s_trap 2
	ds_read_b64 v[6:7], v0
	s_waitcnt vmcnt(0) lgkmcnt(0)
	flat_load_dword v6, v[6:7] sc0 sc1
	s_waitcnt vmcnt(0) lgkmcnt(0)
	buffer_inv sc0 sc1
	v_cmp_ne_u32_e32 vcc, 0, v6
	s_and_saveexec_b64 s[68:69], vcc
	s_cbranch_execz .LBB12_673
; %bb.679:                              ;   in Loop: Header=BB12_676 Depth=3
	v_or_b32_e32 v62, 64, v62
	s_xor_b64 s[66:67], exec, -1
	ds_write_b32 v0, v6
	s_trap 2
	s_branch .LBB12_673
.LBB12_680:                             ;   in Loop: Header=BB12_670 Depth=2
	s_or_b64 exec, exec, s[58:59]
	v_and_b32_e32 v6, 12, v62
.LBB12_681:                             ;   in Loop: Header=BB12_670 Depth=2
	s_or_b64 exec, exec, s[56:57]
	v_cmp_eq_u32_e32 vcc, 0, v6
	s_orn2_b64 s[56:57], vcc, exec
	;;#ASMSTART
	s_wakeup
	;;#ASMEND
.LBB12_682:                             ;   in Loop: Header=BB12_670 Depth=2
	s_or_b64 exec, exec, s[54:55]
	s_xor_b64 s[24:25], s[24:25], -1
	s_and_b64 s[24:25], exec, s[24:25]
	s_or_b64 s[28:29], s[24:25], s[28:29]
	v_sub_u32_e32 v0, v22, v12
	s_xor_b64 s[24:25], s[56:57], -1
	v_min_i32_e32 v24, v24, v0
	s_and_saveexec_b64 s[54:55], s[24:25]
	s_cbranch_execz .LBB12_698
; %bb.683:                              ;   in Loop: Header=BB12_670 Depth=2
	v_and_b32_e32 v0, 0x108, v62
	v_cmp_ne_u32_e32 vcc, s83, v0
	v_and_b32_e32 v2, 7, v40
	s_and_saveexec_b64 s[24:25], vcc
	s_xor_b64 s[24:25], exec, s[24:25]
	s_andn2_saveexec_b64 s[24:25], s[24:25]
	s_cbranch_execz .LBB12_685
; %bb.684:                              ;   in Loop: Header=BB12_670 Depth=2
	v_ashrrev_i32_e32 v25, 31, v24
	v_mad_u64_u32 v[4:5], vcc, v2, 24, v[48:49]
	s_waitcnt lgkmcnt(0)
	v_lshlrev_b64 v[6:7], 1, v[24:25]
	flat_store_dwordx2 v[4:5], v[6:7] offset:8
.LBB12_685:                             ;   in Loop: Header=BB12_670 Depth=2
	s_or_b64 exec, exec, s[24:25]
	v_and_b32_e32 v0, 0x100, v62
	v_cmp_ne_u32_e32 vcc, 0, v0
	s_mov_b64 s[24:25], -1
                                        ; implicit-def: $vgpr4_vgpr5
	s_and_saveexec_b64 s[56:57], vcc
	s_cbranch_execz .LBB12_689
; %bb.686:                              ;   in Loop: Header=BB12_670 Depth=2
	s_waitcnt lgkmcnt(0)
	v_mad_u64_u32 v[6:7], s[24:25], v2, 24, v[48:49]
	v_mov_b32_e32 v4, v7
	v_mad_u64_u32 v[4:5], s[24:25], v3, 24, v[4:5]
	v_mov_b32_e32 v7, v4
	flat_load_dword v0, v[6:7]
                                        ; implicit-def: $vgpr4_vgpr5
	s_waitcnt vmcnt(0) lgkmcnt(0)
	v_cmp_ne_u32_e32 vcc, 1, v0
	v_cmp_eq_u32_e64 s[24:25], 1, v0
	s_and_saveexec_b64 s[58:59], s[24:25]
	s_cbranch_execz .LBB12_688
; %bb.687:                              ;   in Loop: Header=BB12_670 Depth=2
	flat_load_dword v4, v[6:7] offset:4 sc0 sc1
	s_waitcnt vmcnt(0) lgkmcnt(0)
	v_ashrrev_i32_e32 v5, 31, v4
	v_lshrrev_b64 v[4:5], 1, v[4:5]
.LBB12_688:                             ;   in Loop: Header=BB12_670 Depth=2
	s_or_b64 exec, exec, s[58:59]
	s_orn2_b64 s[24:25], vcc, exec
.LBB12_689:                             ;   in Loop: Header=BB12_670 Depth=2
	s_or_b64 exec, exec, s[56:57]
	s_and_saveexec_b64 vcc, s[24:25]
; %bb.690:                              ;   in Loop: Header=BB12_670 Depth=2
	v_mul_lo_u32 v0, v3, v44
	v_mul_lo_u32 v1, v2, v51
	v_mad_u64_u32 v[4:5], s[24:25], v2, v44, 0
	v_add3_u32 v5, v5, v1, v0
; %bb.691:                              ;   in Loop: Header=BB12_670 Depth=2
	s_or_b64 exec, exec, vcc
	v_lshl_add_u64 v[4:5], v[4:5], 1, v[38:39]
	s_trap 2
	ds_write_b64 v0, v[4:5]
	v_and_b32_e32 v0, 0x2000, v62
	v_cmp_ne_u32_e32 vcc, 0, v0
	s_and_saveexec_b64 s[24:25], vcc
	s_cbranch_execz .LBB12_693
; %bb.692:                              ;   in Loop: Header=BB12_670 Depth=2
	ds_read_b64 v[4:5], v0 offset:584
	s_waitcnt lgkmcnt(0)
	v_lshl_add_u64 v[4:5], v[4:5], 0, 1
	ds_write_b64 v0, v[4:5] offset:584
.LBB12_693:                             ;   in Loop: Header=BB12_670 Depth=2
	s_or_b64 exec, exec, s[24:25]
	v_lshl_add_u64 v[40:41], v[40:41], 0, 2
	s_or_b64 exec, exec, s[54:55]
	s_and_saveexec_b64 s[24:25], s[4:5]
	s_cbranch_execnz .LBB12_699
.LBB12_694:                             ;   in Loop: Header=BB12_670 Depth=2
	s_or_b64 exec, exec, s[24:25]
                                        ; implicit-def: $vgpr2
	s_and_saveexec_b64 s[24:25], s[20:21]
	s_xor_b64 s[24:25], exec, s[24:25]
	s_cbranch_execz .LBB12_717
.LBB12_695:                             ;   in Loop: Header=BB12_670 Depth=2
	s_trap 2
	ds_read_b32 v0, v0
	v_cmp_lt_i32_e32 vcc, 0, v24
	v_and_b32_e32 v1, 16, v62
	v_and_b32_e32 v2, 16, v62
	s_waitcnt lgkmcnt(0)
	v_readfirstlane_b32 s54, v0
	s_cmp_eq_u32 s54, 0
	s_cselect_b64 s[54:55], -1, 0
	s_and_b64 s[54:55], vcc, s[54:55]
	v_cmp_ne_u32_e32 vcc, 0, v1
	s_and_b64 s[54:55], vcc, s[54:55]
	s_and_saveexec_b64 vcc, s[54:55]
	s_cbranch_execz .LBB12_697
; %bb.696:                              ;   in Loop: Header=BB12_670 Depth=2
	v_mov_b32_e32 v2, 1
	buffer_wbl2 sc1
	s_waitcnt vmcnt(0)
	buffer_inv sc1
.LBB12_697:                             ;   in Loop: Header=BB12_670 Depth=2
	s_or_b64 exec, exec, vcc
	s_andn2_saveexec_b64 s[24:25], s[24:25]
	s_cbranch_execz .LBB12_736
	s_branch .LBB12_718
.LBB12_698:                             ;   in Loop: Header=BB12_670 Depth=2
	s_or_b64 exec, exec, s[54:55]
	s_and_saveexec_b64 s[24:25], s[4:5]
	s_cbranch_execz .LBB12_694
.LBB12_699:                             ;   in Loop: Header=BB12_670 Depth=2
	s_and_saveexec_b64 vcc, s[38:39]
	s_xor_b64 s[54:55], exec, vcc
	s_cbranch_execz .LBB12_714
; %bb.700:                              ;   in Loop: Header=BB12_670 Depth=2
	s_and_saveexec_b64 s[56:57], s[12:13]
	s_cbranch_execz .LBB12_713
; %bb.701:                              ;   in Loop: Header=BB12_670 Depth=2
	s_mov_b64 s[60:61], exec
	v_mbcnt_lo_u32_b32 v0, s60, 0
	v_mbcnt_hi_u32_b32 v0, s61, v0
	v_cmp_eq_u32_e32 vcc, 0, v0
	s_waitcnt lgkmcnt(0)
	s_and_saveexec_b64 s[58:59], vcc
	s_cbranch_execz .LBB12_703
; %bb.702:                              ;   in Loop: Header=BB12_670 Depth=2
	s_bcnt1_i32_b64 vcc_lo, s[60:61]
	v_mov_b32_e32 v2, vcc_lo
	ds_add_u64 v0, v[2:3]
	s_trap 2
.LBB12_703:                             ;   in Loop: Header=BB12_670 Depth=2
	s_or_b64 exec, exec, s[58:59]
	s_trap 2
	ds_read_b64 v[4:5], v0
	v_lshl_add_u64 v[32:33], v[32:33], 0, v[52:53]
	s_waitcnt lgkmcnt(0)
	v_cmp_lt_u64_e32 vcc, v[4:5], v[32:33]
	s_and_saveexec_b64 s[58:59], vcc
	s_cbranch_execz .LBB12_712
; %bb.704:                              ;   in Loop: Header=BB12_670 Depth=2
	s_mov_b32 s70, 0
	s_mov_b64 s[60:61], 0
                                        ; implicit-def: $sgpr62_sgpr63
                                        ; implicit-def: $sgpr64_sgpr65
	s_branch .LBB12_706
.LBB12_705:                             ;   in Loop: Header=BB12_706 Depth=3
	s_or_b64 exec, exec, s[68:69]
	s_and_b64 vcc, exec, vcc
	s_or_b64 s[60:61], vcc, s[60:61]
	s_andn2_b64 vcc, s[62:63], exec
	s_and_b64 s[62:63], s[64:65], exec
	s_or_b64 s[62:63], vcc, s[62:63]
	s_andn2_b64 exec, exec, s[60:61]
	s_cbranch_execz .LBB12_710
.LBB12_706:                             ;   Parent Loop BB12_47 Depth=1
                                        ;     Parent Loop BB12_670 Depth=2
                                        ; =>    This Inner Loop Header: Depth=3
	s_add_i32 s70, s70, 1
	s_cmpk_lg_i32 s70, 0x2710
	s_cselect_b64 s[66:67], -1, 0
	s_and_b64 vcc, exec, s[66:67]
                                        ; implicit-def: $sgpr68_sgpr69
	s_cbranch_vccnz .LBB12_708
; %bb.707:                              ;   in Loop: Header=BB12_706 Depth=3
	s_trap 2
	ds_read_b64 v[4:5], v0
	s_andn2_b64 s[66:67], s[66:67], exec
	s_mov_b32 s70, 0
	s_mov_b64 s[68:69], -1
	s_waitcnt vmcnt(0) lgkmcnt(0)
	flat_load_dword v0, v[4:5] sc0 sc1
	s_waitcnt vmcnt(0) lgkmcnt(0)
	buffer_inv sc0 sc1
	v_cmp_eq_u32_e32 vcc, 0, v0
	s_and_b64 vcc, vcc, exec
	s_or_b64 s[66:67], s[66:67], vcc
.LBB12_708:                             ;   in Loop: Header=BB12_706 Depth=3
	s_andn2_b64 s[64:65], s[64:65], exec
	s_and_b64 s[68:69], s[68:69], exec
	s_mov_b64 vcc, -1
	s_or_b64 s[64:65], s[64:65], s[68:69]
	s_and_saveexec_b64 s[68:69], s[66:67]
	s_cbranch_execz .LBB12_705
; %bb.709:                              ;   in Loop: Header=BB12_706 Depth=3
	s_sleep 1
	s_trap 2
	ds_read_b64 v[4:5], v0
	s_andn2_b64 s[64:65], s[64:65], exec
	s_waitcnt lgkmcnt(0)
	v_cmp_ge_u64_e32 vcc, v[4:5], v[32:33]
	s_orn2_b64 vcc, vcc, exec
	s_branch .LBB12_705
.LBB12_710:                             ;   in Loop: Header=BB12_670 Depth=2
	s_or_b64 exec, exec, s[60:61]
	s_and_saveexec_b64 vcc, s[62:63]
	s_xor_b64 vcc, exec, vcc
	s_cbranch_execz .LBB12_712
; %bb.711:                              ;   in Loop: Header=BB12_670 Depth=2
	ds_write_b32 v0, v31
	s_trap 2
.LBB12_712:                             ;   in Loop: Header=BB12_670 Depth=2
	s_or_b64 exec, exec, s[58:59]
	;;#ASMSTART
	s_wakeup
	;;#ASMEND
.LBB12_713:                             ;   in Loop: Header=BB12_670 Depth=2
	s_or_b64 exec, exec, s[56:57]
.LBB12_714:                             ;   in Loop: Header=BB12_670 Depth=2
	s_andn2_saveexec_b64 vcc, s[54:55]
	s_cbranch_execz .LBB12_716
; %bb.715:                              ;   in Loop: Header=BB12_670 Depth=2
	s_waitcnt lgkmcnt(0)
	s_barrier
.LBB12_716:                             ;   in Loop: Header=BB12_670 Depth=2
	s_or_b64 exec, exec, vcc
	s_or_b64 exec, exec, s[24:25]
                                        ; implicit-def: $vgpr2
	s_and_saveexec_b64 s[24:25], s[20:21]
	s_xor_b64 s[24:25], exec, s[24:25]
	s_cbranch_execnz .LBB12_695
.LBB12_717:                             ;   in Loop: Header=BB12_670 Depth=2
	s_andn2_saveexec_b64 s[24:25], s[24:25]
	s_cbranch_execz .LBB12_736
.LBB12_718:                             ;   in Loop: Header=BB12_670 Depth=2
	s_and_saveexec_b64 vcc, s[38:39]
	s_xor_b64 s[54:55], exec, vcc
	s_cbranch_execz .LBB12_733
; %bb.719:                              ;   in Loop: Header=BB12_670 Depth=2
	s_and_saveexec_b64 s[56:57], s[12:13]
	s_cbranch_execz .LBB12_732
; %bb.720:                              ;   in Loop: Header=BB12_670 Depth=2
	s_mov_b64 s[60:61], exec
	v_mbcnt_lo_u32_b32 v0, s60, 0
	v_mbcnt_hi_u32_b32 v0, s61, v0
	v_cmp_eq_u32_e32 vcc, 0, v0
	;;#ASMSTART
	s_waitcnt lgkmcnt(0) vmcnt(0)
	;;#ASMEND
	s_and_saveexec_b64 s[58:59], vcc
	s_cbranch_execz .LBB12_722
; %bb.721:                              ;   in Loop: Header=BB12_670 Depth=2
	s_bcnt1_i32_b64 vcc_lo, s[60:61]
	v_mov_b32_e32 v2, vcc_lo
	ds_add_u64 v0, v[2:3]
	s_trap 2
.LBB12_722:                             ;   in Loop: Header=BB12_670 Depth=2
	s_or_b64 exec, exec, s[58:59]
	s_trap 2
	ds_read_b64 v[4:5], v0
	v_lshl_add_u64 v[32:33], v[32:33], 0, v[52:53]
	s_waitcnt lgkmcnt(0)
	v_cmp_lt_u64_e32 vcc, v[4:5], v[32:33]
	s_and_saveexec_b64 s[58:59], vcc
	s_cbranch_execz .LBB12_731
; %bb.723:                              ;   in Loop: Header=BB12_670 Depth=2
	s_mov_b32 s70, 0
	s_mov_b64 s[60:61], 0
                                        ; implicit-def: $sgpr62_sgpr63
                                        ; implicit-def: $sgpr64_sgpr65
	s_branch .LBB12_725
.LBB12_724:                             ;   in Loop: Header=BB12_725 Depth=3
	s_or_b64 exec, exec, s[68:69]
	s_and_b64 vcc, exec, vcc
	s_or_b64 s[60:61], vcc, s[60:61]
	s_andn2_b64 vcc, s[62:63], exec
	s_and_b64 s[62:63], s[64:65], exec
	s_or_b64 s[62:63], vcc, s[62:63]
	s_andn2_b64 exec, exec, s[60:61]
	s_cbranch_execz .LBB12_729
.LBB12_725:                             ;   Parent Loop BB12_47 Depth=1
                                        ;     Parent Loop BB12_670 Depth=2
                                        ; =>    This Inner Loop Header: Depth=3
	s_add_i32 s70, s70, 1
	s_cmpk_lg_i32 s70, 0x2710
	s_cselect_b64 s[66:67], -1, 0
	s_and_b64 vcc, exec, s[66:67]
                                        ; implicit-def: $sgpr68_sgpr69
	s_cbranch_vccnz .LBB12_727
; %bb.726:                              ;   in Loop: Header=BB12_725 Depth=3
	s_trap 2
	ds_read_b64 v[4:5], v0
	s_andn2_b64 s[66:67], s[66:67], exec
	s_mov_b32 s70, 0
	s_mov_b64 s[68:69], -1
	s_waitcnt vmcnt(0) lgkmcnt(0)
	flat_load_dword v0, v[4:5] sc0 sc1
	s_waitcnt vmcnt(0) lgkmcnt(0)
	buffer_inv sc0 sc1
	v_cmp_eq_u32_e32 vcc, 0, v0
	s_and_b64 vcc, vcc, exec
	s_or_b64 s[66:67], s[66:67], vcc
.LBB12_727:                             ;   in Loop: Header=BB12_725 Depth=3
	s_andn2_b64 s[64:65], s[64:65], exec
	s_and_b64 s[68:69], s[68:69], exec
	s_mov_b64 vcc, -1
	s_or_b64 s[64:65], s[64:65], s[68:69]
	s_and_saveexec_b64 s[68:69], s[66:67]
	s_cbranch_execz .LBB12_724
; %bb.728:                              ;   in Loop: Header=BB12_725 Depth=3
	s_sleep 1
	s_trap 2
	ds_read_b64 v[4:5], v0
	s_andn2_b64 s[64:65], s[64:65], exec
	s_waitcnt lgkmcnt(0)
	v_cmp_ge_u64_e32 vcc, v[4:5], v[32:33]
	s_orn2_b64 vcc, vcc, exec
	s_branch .LBB12_724
.LBB12_729:                             ;   in Loop: Header=BB12_670 Depth=2
	s_or_b64 exec, exec, s[60:61]
	s_and_saveexec_b64 vcc, s[62:63]
	s_xor_b64 vcc, exec, vcc
	s_cbranch_execz .LBB12_731
; %bb.730:                              ;   in Loop: Header=BB12_670 Depth=2
	ds_write_b32 v0, v31
	s_trap 2
.LBB12_731:                             ;   in Loop: Header=BB12_670 Depth=2
	s_or_b64 exec, exec, s[58:59]
	;;#ASMSTART
	s_wakeup
	;;#ASMEND
.LBB12_732:                             ;   in Loop: Header=BB12_670 Depth=2
	s_or_b64 exec, exec, s[56:57]
.LBB12_733:                             ;   in Loop: Header=BB12_670 Depth=2
	s_andn2_saveexec_b64 vcc, s[54:55]
	s_cbranch_execz .LBB12_735
; %bb.734:                              ;   in Loop: Header=BB12_670 Depth=2
	;;#ASMSTART
	s_waitcnt lgkmcnt(0) vmcnt(0)
	;;#ASMEND
	s_barrier
.LBB12_735:                             ;   in Loop: Header=BB12_670 Depth=2
	s_or_b64 exec, exec, vcc
	v_and_b32_e32 v2, 16, v62
.LBB12_736:                             ;   in Loop: Header=BB12_670 Depth=2
	s_or_b64 exec, exec, s[24:25]
	v_cmp_ne_u32_e32 vcc, 0, v2
	s_xor_b64 s[24:25], s[6:7], -1
	s_and_b64 vcc, vcc, s[24:25]
	s_and_saveexec_b64 s[24:25], vcc
	s_cbranch_execz .LBB12_738
; %bb.737:                              ;   in Loop: Header=BB12_670 Depth=2
	flat_store_dword v[36:37], v31 sc0 sc1
.LBB12_738:                             ;   in Loop: Header=BB12_670 Depth=2
	s_or_b64 exec, exec, s[24:25]
	v_and_b32_e32 v0, 48, v62
	v_cmp_ne_u32_e32 vcc, 0, v0
	s_and_saveexec_b64 s[24:25], vcc
	s_cbranch_execz .LBB12_669
; %bb.739:                              ;   in Loop: Header=BB12_670 Depth=2
	v_lshl_add_u64 v[40:41], v[40:41], 0, 2
	flat_store_dwordx2 v[42:43], v[40:41] sc0 sc1
	s_branch .LBB12_669
.LBB12_740:                             ;   in Loop: Header=BB12_47 Depth=1
	s_or_b64 exec, exec, s[56:57]
	s_or_b64 exec, exec, s[54:55]
	v_cmp_gt_i32_e32 vcc, 2, v2
	s_and_saveexec_b64 s[26:27], vcc
	s_cbranch_execnz .LBB12_668
.LBB12_741:                             ;   in Loop: Header=BB12_47 Depth=1
	s_or_b64 exec, exec, s[26:27]
	s_and_b64 vcc, exec, s[22:23]
	s_cbranch_vccz .LBB12_743
	s_branch .LBB12_1000
.LBB12_742:                             ;   in Loop: Header=BB12_47 Depth=1
	s_or_b64 exec, exec, s[28:29]
	s_or_b64 exec, exec, s[26:27]
	s_and_b64 vcc, exec, s[22:23]
	s_cbranch_vccnz .LBB12_1000
.LBB12_743:                             ;   in Loop: Header=BB12_47 Depth=1
	s_mov_b32 s70, 1
.LBB12_744:                             ;   Parent Loop BB12_47 Depth=1
                                        ; =>  This Loop Header: Depth=2
                                        ;       Child Loop BB12_747 Depth 3
                                        ;         Child Loop BB12_755 Depth 4
                                        ;         Child Loop BB12_781 Depth 4
	;; [unrolled: 1-line block ×9, first 2 shown]
                                        ;           Child Loop BB12_828 Depth 5
                                        ;         Child Loop BB12_837 Depth 4
                                        ;         Child Loop BB12_842 Depth 4
                                        ;           Child Loop BB12_843 Depth 5
                                        ;         Child Loop BB12_884 Depth 4
                                        ;         Child Loop BB12_907 Depth 4
                                        ;       Child Loop BB12_926 Depth 3
                                        ;         Child Loop BB12_932 Depth 4
                                        ;         Child Loop BB12_962 Depth 4
	;; [unrolled: 1-line block ×3, first 2 shown]
	s_sub_i32 s22, s75, s70
	s_cmp_le_i32 s72, s22
	s_cselect_b32 s23, s72, 0
	s_sub_i32 s22, s22, s23
	v_accvgpr_read_b32 v8, a44
	s_ashr_i32 s23, s22, 31
	v_accvgpr_read_b32 v9, a45
	v_mul_lo_u32 v0, v8, s23
	v_mul_lo_u32 v1, v9, s22
	v_mad_u64_u32 v[4:5], s[22:23], v8, s22, 0
	v_add3_u32 v5, v5, v0, v1
	v_accvgpr_read_b32 v0, a46
	v_accvgpr_read_b32 v1, a47
	s_waitcnt lgkmcnt(0)
	v_sub_co_u32_e32 v6, vcc, v0, v4
	v_mov_b32_e32 v46, 0
	s_nop 0
	v_subb_co_u32_e32 v7, vcc, v1, v5, vcc
	v_cmp_lt_i64_e32 vcc, v[8:9], v[6:7]
	s_nop 1
	v_cndmask_b32_e32 v0, v6, v8, vcc
	v_max_i32_e32 v60, 0, v0
	v_add_u32_e32 v1, 31, v60
	v_ashrrev_i32_e32 v2, 31, v1
	v_lshrrev_b32_e32 v2, 27, v2
	v_add_u32_e32 v1, v1, v2
	v_ashrrev_i32_e32 v1, 5, v1
	v_lshlrev_b32_e32 v1, 4, v1
	v_max_i32_e32 v54, s78, v1
	v_cmp_lt_i32_e32 vcc, 0, v0
	v_mov_b32_e32 v2, 0
	s_and_b64 s[22:23], s[50:51], vcc
	s_mov_b64 s[28:29], exec
	s_and_b64 s[22:23], s[28:29], s[22:23]
	v_accvgpr_read_b32 v47, a3
	s_mov_b64 exec, s[22:23]
	s_cbranch_execz .LBB12_923
; %bb.745:                              ;   in Loop: Header=BB12_744 Depth=2
	v_accvgpr_read_b32 v0, a48
	v_accvgpr_read_b32 v1, a49
	v_lshl_add_u64 v[4:5], v[4:5], 0, v[0:1]
	v_lshlrev_b64 v[0:1], 1, v[4:5]
	v_accvgpr_write_b32 a53, v1
	s_mov_b32 s71, 1
	s_mov_b64 s[56:57], -1
	s_mov_b64 s[54:55], 0
	v_mov_b32_e32 v46, 0
	v_accvgpr_write_b32 a52, v0
	v_accvgpr_write_b32 a50, v60
	s_branch .LBB12_747
.LBB12_746:                             ;   in Loop: Header=BB12_747 Depth=3
	s_or_b64 exec, exec, s[22:23]
	v_add_u32_e32 v46, v54, v46
	v_cmp_ge_i32_e32 vcc, v46, v60
	s_xor_b64 s[22:23], s[56:57], -1
	s_or_b64 s[22:23], s[22:23], vcc
	s_and_b64 s[22:23], exec, s[22:23]
	s_or_b64 s[54:55], s[22:23], s[54:55]
	s_mov_b64 s[56:57], 0
	v_mov_b32_e32 v2, s71
	s_mov_b32 s71, 2
	s_andn2_b64 exec, exec, s[54:55]
	s_cbranch_execz .LBB12_922
.LBB12_747:                             ;   Parent Loop BB12_47 Depth=1
                                        ;     Parent Loop BB12_744 Depth=2
                                        ; =>    This Loop Header: Depth=3
                                        ;         Child Loop BB12_755 Depth 4
                                        ;         Child Loop BB12_781 Depth 4
	;; [unrolled: 1-line block ×9, first 2 shown]
                                        ;           Child Loop BB12_828 Depth 5
                                        ;         Child Loop BB12_837 Depth 4
                                        ;         Child Loop BB12_842 Depth 4
                                        ;           Child Loop BB12_843 Depth 5
                                        ;         Child Loop BB12_884 Depth 4
                                        ;         Child Loop BB12_907 Depth 4
	s_and_saveexec_b64 s[22:23], s[0:1]
	s_cbranch_execz .LBB12_749
; %bb.748:                              ;   in Loop: Header=BB12_747 Depth=3
	s_trap 2
	ds_read_b128 v[4:7], v0
	v_mov_b32_e32 v0, v47
	v_ashrrev_i32_e32 v47, 31, v46
	v_lshlrev_b64 v[8:9], 1, v[46:47]
	v_mov_b32_e32 v47, v0
	v_accvgpr_read_b32 v0, a52
	v_accvgpr_read_b32 v1, a53
	s_waitcnt lgkmcnt(0)
	v_lshl_add_u64 v[4:5], v[4:5], 0, v[0:1]
	v_lshl_add_u64 v[10:11], v[6:7], 0, v[0:1]
	;; [unrolled: 1-line block ×3, first 2 shown]
	ds_write_b64 v0, v[4:5]
	v_lshl_add_u64 v[4:5], v[10:11], 0, v[8:9]
	v_cmp_ne_u64_e32 vcc, 0, v[6:7]
	s_nop 1
	v_cndmask_b32_e32 v5, 0, v5, vcc
	v_cndmask_b32_e32 v4, 0, v4, vcc
	ds_write_b64 v0, v[4:5]
.LBB12_749:                             ;   in Loop: Header=BB12_747 Depth=3
	s_or_b64 exec, exec, s[22:23]
	v_and_b32_e32 v0, 12, v62
	v_cmp_ne_u32_e32 vcc, 0, v0
	s_mov_b64 s[24:25], -1
	s_and_saveexec_b64 s[22:23], vcc
	s_cbranch_execz .LBB12_761
; %bb.750:                              ;   in Loop: Header=BB12_747 Depth=3
	v_and_b32_e32 v2, 8, v62
	v_lshl_add_u64 v[6:7], v[56:57], 0, v[2:3]
	v_lshl_add_u64 v[4:5], v[40:41], 0, 2
	v_cmp_lt_u64_e32 vcc, v[6:7], v[4:5]
	v_mov_b32_e32 v6, 1
	s_and_saveexec_b64 s[24:25], vcc
	s_cbranch_execz .LBB12_760
; %bb.751:                              ;   in Loop: Header=BB12_747 Depth=3
	s_mov_b64 s[26:27], 0
	v_mov_b32_e32 v6, 0
                                        ; implicit-def: $sgpr58_sgpr59
	s_branch .LBB12_755
.LBB12_752:                             ;   in Loop: Header=BB12_755 Depth=4
	s_or_b64 exec, exec, s[66:67]
	v_mov_b32_e32 v7, 0
	s_orn2_b64 s[64:65], s[64:65], exec
.LBB12_753:                             ;   in Loop: Header=BB12_755 Depth=4
	s_or_b64 exec, exec, s[62:63]
	s_andn2_b64 vcc, s[58:59], exec
	s_and_b64 s[58:59], s[64:65], exec
	s_or_b64 s[58:59], vcc, s[58:59]
	v_mov_b32_e32 v6, v7
.LBB12_754:                             ;   in Loop: Header=BB12_755 Depth=4
	s_or_b64 exec, exec, s[60:61]
	s_waitcnt vmcnt(0) lgkmcnt(0)
	v_lshl_add_u64 v[8:9], v[56:57], 0, v[2:3]
	v_cmp_ge_u64_e32 vcc, v[8:9], v[4:5]
	s_xor_b64 s[60:61], s[58:59], -1
	s_or_b64 vcc, s[60:61], vcc
	s_and_b64 vcc, exec, vcc
	s_or_b64 s[26:27], vcc, s[26:27]
	s_andn2_b64 exec, exec, s[26:27]
	s_cbranch_execz .LBB12_759
.LBB12_755:                             ;   Parent Loop BB12_47 Depth=1
                                        ;     Parent Loop BB12_744 Depth=2
                                        ;       Parent Loop BB12_747 Depth=3
                                        ; =>      This Inner Loop Header: Depth=4
	s_sleep 1
	flat_load_dwordx2 v[56:57], v[42:43] sc0 sc1
	v_and_b32_e32 v0, 64, v62
	v_cmp_eq_u32_e32 vcc, 0, v0
	s_andn2_b64 s[58:59], s[58:59], exec
	s_and_saveexec_b64 s[60:61], vcc
	s_cbranch_execz .LBB12_754
; %bb.756:                              ;   in Loop: Header=BB12_755 Depth=4
	v_add_u32_e32 v7, 1, v6
	v_cmp_lt_i32_e32 vcc, s82, v6
	s_mov_b64 s[64:65], -1
	s_and_saveexec_b64 s[62:63], vcc
	s_cbranch_execz .LBB12_753
; %bb.757:                              ;   in Loop: Header=BB12_755 Depth=4
	s_trap 2
	ds_read_b64 v[6:7], v0
	s_waitcnt vmcnt(0) lgkmcnt(0)
	flat_load_dword v6, v[6:7] sc0 sc1
	s_waitcnt vmcnt(0) lgkmcnt(0)
	buffer_inv sc0 sc1
	v_cmp_ne_u32_e32 vcc, 0, v6
	s_and_saveexec_b64 s[66:67], vcc
	s_cbranch_execz .LBB12_752
; %bb.758:                              ;   in Loop: Header=BB12_755 Depth=4
	v_or_b32_e32 v62, 64, v62
	s_xor_b64 s[64:65], exec, -1
	ds_write_b32 v0, v6
	s_trap 2
	s_branch .LBB12_752
.LBB12_759:                             ;   in Loop: Header=BB12_747 Depth=3
	s_or_b64 exec, exec, s[26:27]
	v_and_b32_e32 v6, 12, v62
.LBB12_760:                             ;   in Loop: Header=BB12_747 Depth=3
	s_or_b64 exec, exec, s[24:25]
	v_cmp_eq_u32_e32 vcc, 0, v6
	s_orn2_b64 s[24:25], vcc, exec
	;;#ASMSTART
	s_wakeup
	;;#ASMEND
.LBB12_761:                             ;   in Loop: Header=BB12_747 Depth=3
	s_or_b64 exec, exec, s[22:23]
	v_sub_u32_e32 v0, v60, v46
	s_xor_b64 s[22:23], s[24:25], -1
	v_min_i32_e32 v54, v54, v0
	s_and_saveexec_b64 s[24:25], s[22:23]
	s_cbranch_execz .LBB12_773
; %bb.762:                              ;   in Loop: Header=BB12_747 Depth=3
	v_and_b32_e32 v0, 0x108, v62
	v_cmp_ne_u32_e32 vcc, s83, v0
	v_and_b32_e32 v2, 7, v40
	s_and_saveexec_b64 s[22:23], vcc
	s_xor_b64 s[22:23], exec, s[22:23]
	s_andn2_saveexec_b64 s[22:23], s[22:23]
	s_cbranch_execz .LBB12_764
; %bb.763:                              ;   in Loop: Header=BB12_747 Depth=3
	v_ashrrev_i32_e32 v55, 31, v54
	v_mad_u64_u32 v[4:5], s[26:27], v2, 24, v[48:49]
	v_lshlrev_b64 v[6:7], 1, v[54:55]
	flat_store_dwordx2 v[4:5], v[6:7] offset:8
.LBB12_764:                             ;   in Loop: Header=BB12_747 Depth=3
	s_or_b64 exec, exec, s[22:23]
	v_and_b32_e32 v0, 0x100, v62
	v_cmp_ne_u32_e32 vcc, 0, v0
	s_mov_b64 s[22:23], -1
                                        ; implicit-def: $vgpr4_vgpr5
	s_and_saveexec_b64 s[26:27], vcc
	s_cbranch_execz .LBB12_768
; %bb.765:                              ;   in Loop: Header=BB12_747 Depth=3
	v_mad_u64_u32 v[8:9], s[22:23], v2, 24, v[48:49]
	v_mov_b32_e32 v4, v9
	v_mad_u64_u32 v[4:5], s[22:23], v3, 24, v[4:5]
	v_mov_b32_e32 v9, v4
	flat_load_dword v0, v[8:9]
                                        ; implicit-def: $vgpr4_vgpr5
	s_waitcnt vmcnt(0) lgkmcnt(0)
	v_cmp_ne_u32_e32 vcc, 1, v0
	v_cmp_eq_u32_e64 s[22:23], 1, v0
	s_and_saveexec_b64 s[58:59], s[22:23]
	s_cbranch_execz .LBB12_767
; %bb.766:                              ;   in Loop: Header=BB12_747 Depth=3
	flat_load_dword v4, v[8:9] offset:4 sc0 sc1
	s_waitcnt vmcnt(0) lgkmcnt(0)
	v_ashrrev_i32_e32 v5, 31, v4
	v_lshrrev_b64 v[4:5], 1, v[4:5]
.LBB12_767:                             ;   in Loop: Header=BB12_747 Depth=3
	s_or_b64 exec, exec, s[58:59]
	s_orn2_b64 s[22:23], vcc, exec
.LBB12_768:                             ;   in Loop: Header=BB12_747 Depth=3
	s_or_b64 exec, exec, s[26:27]
	s_and_saveexec_b64 s[26:27], s[22:23]
; %bb.769:                              ;   in Loop: Header=BB12_747 Depth=3
	v_mul_lo_u32 v0, v3, v44
	v_mul_lo_u32 v1, v2, v51
	v_mad_u64_u32 v[4:5], s[22:23], v2, v44, 0
	v_add3_u32 v5, v5, v1, v0
; %bb.770:                              ;   in Loop: Header=BB12_747 Depth=3
	s_or_b64 exec, exec, s[26:27]
	v_lshl_add_u64 v[4:5], v[4:5], 1, v[38:39]
	s_trap 2
	ds_write_b64 v0, v[4:5]
	v_and_b32_e32 v0, 0x2000, v62
	v_cmp_ne_u32_e32 vcc, 0, v0
	s_and_saveexec_b64 s[22:23], vcc
	s_cbranch_execz .LBB12_772
; %bb.771:                              ;   in Loop: Header=BB12_747 Depth=3
	ds_read_b64 v[4:5], v0 offset:584
	s_waitcnt lgkmcnt(0)
	v_lshl_add_u64 v[4:5], v[4:5], 0, 1
	ds_write_b64 v0, v[4:5] offset:584
.LBB12_772:                             ;   in Loop: Header=BB12_747 Depth=3
	s_or_b64 exec, exec, s[22:23]
	v_lshl_add_u64 v[40:41], v[40:41], 0, 2
.LBB12_773:                             ;   in Loop: Header=BB12_747 Depth=3
	s_or_b64 exec, exec, s[24:25]
	s_and_saveexec_b64 s[22:23], s[4:5]
	s_cbranch_execz .LBB12_792
; %bb.774:                              ;   in Loop: Header=BB12_747 Depth=3
	s_and_saveexec_b64 s[24:25], s[38:39]
	s_xor_b64 s[24:25], exec, s[24:25]
	s_cbranch_execz .LBB12_789
; %bb.775:                              ;   in Loop: Header=BB12_747 Depth=3
	s_and_saveexec_b64 s[26:27], s[12:13]
	s_cbranch_execz .LBB12_788
; %bb.776:                              ;   in Loop: Header=BB12_747 Depth=3
	s_mov_b64 s[60:61], exec
	v_mbcnt_lo_u32_b32 v0, s60, 0
	v_mbcnt_hi_u32_b32 v0, s61, v0
	v_cmp_eq_u32_e32 vcc, 0, v0
	s_waitcnt lgkmcnt(0)
	s_and_saveexec_b64 s[58:59], vcc
	s_cbranch_execz .LBB12_778
; %bb.777:                              ;   in Loop: Header=BB12_747 Depth=3
	s_bcnt1_i32_b64 vcc_lo, s[60:61]
	v_mov_b32_e32 v2, vcc_lo
	ds_add_u64 v0, v[2:3]
	s_trap 2
.LBB12_778:                             ;   in Loop: Header=BB12_747 Depth=3
	s_or_b64 exec, exec, s[58:59]
	s_trap 2
	ds_read_b64 v[4:5], v0
	v_lshl_add_u64 v[32:33], v[32:33], 0, v[52:53]
	s_waitcnt lgkmcnt(0)
	v_cmp_lt_u64_e32 vcc, v[4:5], v[32:33]
	s_and_saveexec_b64 s[58:59], vcc
	s_cbranch_execz .LBB12_787
; %bb.779:                              ;   in Loop: Header=BB12_747 Depth=3
	s_mov_b32 s87, 0
	s_mov_b64 s[60:61], 0
                                        ; implicit-def: $sgpr62_sgpr63
                                        ; implicit-def: $sgpr64_sgpr65
	s_branch .LBB12_781
.LBB12_780:                             ;   in Loop: Header=BB12_781 Depth=4
	s_or_b64 exec, exec, s[68:69]
	s_and_b64 vcc, exec, vcc
	s_or_b64 s[60:61], vcc, s[60:61]
	s_andn2_b64 vcc, s[62:63], exec
	s_and_b64 s[62:63], s[64:65], exec
	s_or_b64 s[62:63], vcc, s[62:63]
	s_andn2_b64 exec, exec, s[60:61]
	s_cbranch_execz .LBB12_785
.LBB12_781:                             ;   Parent Loop BB12_47 Depth=1
                                        ;     Parent Loop BB12_744 Depth=2
                                        ;       Parent Loop BB12_747 Depth=3
                                        ; =>      This Inner Loop Header: Depth=4
	s_add_i32 s87, s87, 1
	s_cmpk_lg_i32 s87, 0x2710
	s_cselect_b64 s[66:67], -1, 0
	s_and_b64 vcc, exec, s[66:67]
                                        ; implicit-def: $sgpr68_sgpr69
	s_cbranch_vccnz .LBB12_783
; %bb.782:                              ;   in Loop: Header=BB12_781 Depth=4
	s_trap 2
	ds_read_b64 v[4:5], v0
	s_andn2_b64 s[66:67], s[66:67], exec
	s_mov_b32 s87, 0
	s_mov_b64 s[68:69], -1
	s_waitcnt vmcnt(0) lgkmcnt(0)
	flat_load_dword v0, v[4:5] sc0 sc1
	s_waitcnt vmcnt(0) lgkmcnt(0)
	buffer_inv sc0 sc1
	v_cmp_eq_u32_e32 vcc, 0, v0
	s_and_b64 vcc, vcc, exec
	s_or_b64 s[66:67], s[66:67], vcc
.LBB12_783:                             ;   in Loop: Header=BB12_781 Depth=4
	s_andn2_b64 s[64:65], s[64:65], exec
	s_and_b64 s[68:69], s[68:69], exec
	s_mov_b64 vcc, -1
	s_or_b64 s[64:65], s[64:65], s[68:69]
	s_and_saveexec_b64 s[68:69], s[66:67]
	s_cbranch_execz .LBB12_780
; %bb.784:                              ;   in Loop: Header=BB12_781 Depth=4
	s_sleep 1
	s_trap 2
	ds_read_b64 v[4:5], v0
	s_andn2_b64 s[64:65], s[64:65], exec
	s_waitcnt lgkmcnt(0)
	v_cmp_ge_u64_e32 vcc, v[4:5], v[32:33]
	s_orn2_b64 vcc, vcc, exec
	s_branch .LBB12_780
.LBB12_785:                             ;   in Loop: Header=BB12_747 Depth=3
	s_or_b64 exec, exec, s[60:61]
	s_and_saveexec_b64 vcc, s[62:63]
	s_xor_b64 vcc, exec, vcc
	s_cbranch_execz .LBB12_787
; %bb.786:                              ;   in Loop: Header=BB12_747 Depth=3
	ds_write_b32 v0, v31
	s_trap 2
.LBB12_787:                             ;   in Loop: Header=BB12_747 Depth=3
	s_or_b64 exec, exec, s[58:59]
	;;#ASMSTART
	s_wakeup
	;;#ASMEND
.LBB12_788:                             ;   in Loop: Header=BB12_747 Depth=3
	s_or_b64 exec, exec, s[26:27]
.LBB12_789:                             ;   in Loop: Header=BB12_747 Depth=3
	s_andn2_saveexec_b64 s[24:25], s[24:25]
	s_cbranch_execz .LBB12_791
; %bb.790:                              ;   in Loop: Header=BB12_747 Depth=3
	s_waitcnt lgkmcnt(0)
	s_barrier
.LBB12_791:                             ;   in Loop: Header=BB12_747 Depth=3
	s_or_b64 exec, exec, s[24:25]
.LBB12_792:                             ;   in Loop: Header=BB12_747 Depth=3
	s_or_b64 exec, exec, s[22:23]
	s_trap 2
	ds_read_b32 v4, v0
	v_and_b32_e32 v0, 0x4000, v62
	v_cmp_ne_u32_e32 vcc, 0, v0
	s_xor_b64 s[22:23], s[2:3], -1
	s_and_b64 s[24:25], s[22:23], vcc
	s_and_saveexec_b64 s[22:23], s[24:25]
	s_cbranch_execz .LBB12_811
; %bb.793:                              ;   in Loop: Header=BB12_747 Depth=3
	s_and_saveexec_b64 s[24:25], s[38:39]
	s_xor_b64 s[24:25], exec, s[24:25]
	s_cbranch_execz .LBB12_808
; %bb.794:                              ;   in Loop: Header=BB12_747 Depth=3
	s_and_saveexec_b64 s[26:27], s[12:13]
	s_cbranch_execz .LBB12_807
; %bb.795:                              ;   in Loop: Header=BB12_747 Depth=3
	s_mov_b64 s[60:61], exec
	v_mbcnt_lo_u32_b32 v0, s60, 0
	v_mbcnt_hi_u32_b32 v0, s61, v0
	v_cmp_eq_u32_e32 vcc, 0, v0
	s_waitcnt lgkmcnt(0)
	s_and_saveexec_b64 s[58:59], vcc
	s_cbranch_execz .LBB12_797
; %bb.796:                              ;   in Loop: Header=BB12_747 Depth=3
	s_bcnt1_i32_b64 vcc_lo, s[60:61]
	v_mov_b32_e32 v2, vcc_lo
	ds_add_u64 v0, v[2:3]
	s_trap 2
.LBB12_797:                             ;   in Loop: Header=BB12_747 Depth=3
	s_or_b64 exec, exec, s[58:59]
	s_trap 2
	ds_read_b64 v[6:7], v0
	v_lshl_add_u64 v[32:33], v[32:33], 0, v[52:53]
	s_waitcnt lgkmcnt(0)
	v_cmp_lt_u64_e32 vcc, v[6:7], v[32:33]
	s_and_saveexec_b64 s[58:59], vcc
	s_cbranch_execz .LBB12_806
; %bb.798:                              ;   in Loop: Header=BB12_747 Depth=3
	s_mov_b32 s87, 0
	s_mov_b64 s[60:61], 0
                                        ; implicit-def: $sgpr62_sgpr63
                                        ; implicit-def: $sgpr64_sgpr65
	s_branch .LBB12_800
.LBB12_799:                             ;   in Loop: Header=BB12_800 Depth=4
	s_or_b64 exec, exec, s[68:69]
	s_and_b64 vcc, exec, vcc
	s_or_b64 s[60:61], vcc, s[60:61]
	s_andn2_b64 vcc, s[62:63], exec
	s_and_b64 s[62:63], s[64:65], exec
	s_or_b64 s[62:63], vcc, s[62:63]
	s_andn2_b64 exec, exec, s[60:61]
	s_cbranch_execz .LBB12_804
.LBB12_800:                             ;   Parent Loop BB12_47 Depth=1
                                        ;     Parent Loop BB12_744 Depth=2
                                        ;       Parent Loop BB12_747 Depth=3
                                        ; =>      This Inner Loop Header: Depth=4
	s_add_i32 s87, s87, 1
	s_cmpk_lg_i32 s87, 0x2710
	s_cselect_b64 s[66:67], -1, 0
	s_and_b64 vcc, exec, s[66:67]
                                        ; implicit-def: $sgpr68_sgpr69
	s_cbranch_vccnz .LBB12_802
; %bb.801:                              ;   in Loop: Header=BB12_800 Depth=4
	s_trap 2
	ds_read_b64 v[6:7], v0
	s_andn2_b64 s[66:67], s[66:67], exec
	s_mov_b32 s87, 0
	s_mov_b64 s[68:69], -1
	s_waitcnt vmcnt(0) lgkmcnt(0)
	flat_load_dword v0, v[6:7] sc0 sc1
	s_waitcnt vmcnt(0) lgkmcnt(0)
	buffer_inv sc0 sc1
	v_cmp_eq_u32_e32 vcc, 0, v0
	s_and_b64 vcc, vcc, exec
	s_or_b64 s[66:67], s[66:67], vcc
.LBB12_802:                             ;   in Loop: Header=BB12_800 Depth=4
	s_andn2_b64 s[64:65], s[64:65], exec
	s_and_b64 s[68:69], s[68:69], exec
	s_mov_b64 vcc, -1
	s_or_b64 s[64:65], s[64:65], s[68:69]
	s_and_saveexec_b64 s[68:69], s[66:67]
	s_cbranch_execz .LBB12_799
; %bb.803:                              ;   in Loop: Header=BB12_800 Depth=4
	s_sleep 1
	s_trap 2
	ds_read_b64 v[6:7], v0
	s_andn2_b64 s[64:65], s[64:65], exec
	s_waitcnt lgkmcnt(0)
	v_cmp_ge_u64_e32 vcc, v[6:7], v[32:33]
	s_orn2_b64 vcc, vcc, exec
	s_branch .LBB12_799
.LBB12_804:                             ;   in Loop: Header=BB12_747 Depth=3
	s_or_b64 exec, exec, s[60:61]
	s_and_saveexec_b64 vcc, s[62:63]
	s_xor_b64 vcc, exec, vcc
	s_cbranch_execz .LBB12_806
; %bb.805:                              ;   in Loop: Header=BB12_747 Depth=3
	ds_write_b32 v0, v31
	s_trap 2
.LBB12_806:                             ;   in Loop: Header=BB12_747 Depth=3
	s_or_b64 exec, exec, s[58:59]
	;;#ASMSTART
	s_wakeup
	;;#ASMEND
.LBB12_807:                             ;   in Loop: Header=BB12_747 Depth=3
	s_or_b64 exec, exec, s[26:27]
.LBB12_808:                             ;   in Loop: Header=BB12_747 Depth=3
	s_andn2_saveexec_b64 s[24:25], s[24:25]
	s_cbranch_execz .LBB12_810
; %bb.809:                              ;   in Loop: Header=BB12_747 Depth=3
	s_waitcnt lgkmcnt(0)
	s_barrier
.LBB12_810:                             ;   in Loop: Header=BB12_747 Depth=3
	s_or_b64 exec, exec, s[24:25]
.LBB12_811:                             ;   in Loop: Header=BB12_747 Depth=3
	s_or_b64 exec, exec, s[22:23]
	s_trap 2
	ds_read_b64 v[6:7], v0
	v_mov_b32_e32 v55, 0
	s_waitcnt lgkmcnt(0)
	v_readfirstlane_b32 s22, v6
	v_readfirstlane_b32 s23, v7
	s_cmp_eq_u64 s[22:23], 0
	s_cselect_b64 s[22:23], -1, 0
	s_or_b64 s[22:23], s[22:23], s[22:23]
	s_and_b64 vcc, exec, s[22:23]
	s_cbranch_vccnz .LBB12_876
; %bb.812:                              ;   in Loop: Header=BB12_747 Depth=3
	s_trap 2
	ds_read_b64 v[6:7], v0
	v_cmp_eq_u32_e64 s[22:23], 0, v4
	s_waitcnt lgkmcnt(0)
	v_cmp_ne_u64_e32 vcc, 0, v[6:7]
	v_cndmask_b32_e64 v55, 0, v54, s[22:23]
	s_cbranch_vccz .LBB12_819
; %bb.813:                              ;   in Loop: Header=BB12_747 Depth=3
	s_trap 2
	s_waitcnt vmcnt(0)
	ds_read_b64 v[16:17], v0
	s_mov_b64 s[24:25], -1
	s_and_saveexec_b64 s[22:23], s[16:17]
	s_cbranch_execz .LBB12_815
; %bb.814:                              ;   in Loop: Header=BB12_747 Depth=3
	ds_read_b32 v0, v0 offset:720
	s_waitcnt lgkmcnt(0)
	v_and_b32_e32 v0, 15, v0
	v_cmp_eq_u32_e32 vcc, 0, v0
	s_orn2_b64 s[24:25], vcc, exec
.LBB12_815:                             ;   in Loop: Header=BB12_747 Depth=3
	s_or_b64 exec, exec, s[22:23]
	s_and_saveexec_b64 s[22:23], s[18:19]
	s_cbranch_execz .LBB12_817
; %bb.816:                              ;   in Loop: Header=BB12_747 Depth=3
	ds_read_b32 v0, v0 offset:784
	s_waitcnt lgkmcnt(0)
	v_and_b32_e32 v0, 15, v0
	v_cmp_eq_u32_e32 vcc, 0, v0
	s_and_b64 s[26:27], s[24:25], vcc
	s_andn2_b64 s[24:25], s[24:25], exec
	s_and_b64 s[26:27], s[26:27], exec
	s_or_b64 s[24:25], s[24:25], s[26:27]
.LBB12_817:                             ;   in Loop: Header=BB12_747 Depth=3
	s_or_b64 exec, exec, s[22:23]
	s_xor_b64 s[24:25], s[24:25], -1
	v_cndmask_b32_e64 v0, 0, 1, s[24:25]
	v_lshlrev_b32_e32 v24, 1, v55
	s_mov_b64 s[22:23], -1
	;;#ASMSTART
	;;#ASMEND
	v_mov_b32_e32 v2, 0
	v_cmp_ne_u32_e32 vcc, 0, v0
	s_cbranch_vccz .LBB12_820
; %bb.818:                              ;   in Loop: Header=BB12_747 Depth=3
	v_mov_b32_e32 v18, v58
	v_mov_b32_e32 v8, v50
	s_and_saveexec_b64 s[26:27], s[22:23]
	s_cbranch_execnz .LBB12_835
	s_branch .LBB12_846
.LBB12_819:                             ;   in Loop: Header=BB12_747 Depth=3
	s_cbranch_execnz .LBB12_847
	s_branch .LBB12_876
.LBB12_820:                             ;   in Loop: Header=BB12_747 Depth=3
	v_ashrrev_i32_e32 v0, 31, v24
	v_lshrrev_b32_e32 v0, 21, v0
	v_add_u32_e32 v0, v24, v0
	v_ashrrev_i32_e32 v2, 11, v0
	v_sub_u32_e32 v6, v2, v50
	v_cmp_lt_i32_e32 vcc, 0, v6
	s_and_saveexec_b64 s[22:23], vcc
	s_cbranch_execz .LBB12_824
; %bb.821:                              ;   in Loop: Header=BB12_747 Depth=3
	s_trap 2
	ds_read_b128 v[8:11], v0
	ds_read_b64 v[4:5], v0
	scratch_load_dwordx2 v[60:61], off, s33 offset:164 ; 8-byte Folded Reload
	v_accvgpr_read_b32 v22, a38
	v_accvgpr_write_b32 a12, v32
	v_accvgpr_read_b32 v23, a39
	v_accvgpr_write_b32 a13, v33
	s_mov_b64 s[24:25], 0
	s_waitcnt lgkmcnt(1)
	v_lshl_add_u64 v[18:19], v[8:9], 0, v[22:23]
	v_lshl_add_u64 v[20:21], v[10:11], 0, v[22:23]
.LBB12_822:                             ;   Parent Loop BB12_47 Depth=1
                                        ;     Parent Loop BB12_744 Depth=2
                                        ;       Parent Loop BB12_747 Depth=3
                                        ; =>      This Inner Loop Header: Depth=4
	v_lshl_add_u64 v[12:13], v[16:17], 0, v[22:23]
	s_waitcnt lgkmcnt(0)
	v_lshl_add_u64 v[14:15], v[4:5], 0, v[22:23]
	global_load_dwordx4 v[30:33], v[12:13], off nt
	global_load_dwordx4 v[8:11], v[14:15], off nt
	global_load_dwordx4 v[34:37], v[12:13], off offset:1024 nt
	s_nop 0
	global_load_dwordx4 v[12:15], v[14:15], off offset:1024 nt
	v_sub_u32_e32 v6, v6, v52
	v_cmp_gt_i32_e32 vcc, 1, v6
	s_waitcnt vmcnt(4)
	v_lshl_add_u64 v[22:23], v[22:23], 0, v[60:61]
	s_or_b64 s[24:25], vcc, s[24:25]
	s_waitcnt vmcnt(2)
	v_mul_f16_e32 v0, v8, v30
	v_mul_f16_sdwa v1, v8, v30 dst_sel:WORD_1 dst_unused:UNUSED_PAD src0_sel:WORD_1 src1_sel:WORD_1
	v_mul_f16_e32 v7, v9, v31
	v_mul_f16_sdwa v25, v9, v31 dst_sel:WORD_1 dst_unused:UNUSED_PAD src0_sel:WORD_1 src1_sel:WORD_1
	;; [unrolled: 2-line block ×4, first 2 shown]
	s_waitcnt vmcnt(0)
	v_mul_f16_e32 v38, v12, v34
	v_mul_f16_sdwa v34, v12, v34 dst_sel:WORD_1 dst_unused:UNUSED_PAD src0_sel:WORD_1 src1_sel:WORD_1
	v_mul_f16_e32 v39, v13, v35
	v_mul_f16_sdwa v35, v13, v35 dst_sel:WORD_1 dst_unused:UNUSED_PAD src0_sel:WORD_1 src1_sel:WORD_1
	;; [unrolled: 2-line block ×4, first 2 shown]
	v_or_b32_e32 v31, v25, v7
	v_or_b32_e32 v30, v1, v0
	;; [unrolled: 1-line block ×8, first 2 shown]
	global_store_dwordx4 v[18:19], v[30:33], off nt
	global_store_dwordx4 v[18:19], v[34:37], off offset:1024 nt
	global_store_dwordx4 v[20:21], v[8:11], off nt
	global_store_dwordx4 v[20:21], v[12:15], off offset:1024 nt
	v_lshl_add_u64 v[18:19], v[18:19], 0, v[60:61]
	v_lshl_add_u64 v[20:21], v[20:21], 0, v[60:61]
	s_andn2_b64 exec, exec, s[24:25]
	s_cbranch_execnz .LBB12_822
; %bb.823:                              ;   in Loop: Header=BB12_747 Depth=3
	s_or_b64 exec, exec, s[24:25]
	scratch_load_dwordx2 v[20:21], off, s33 offset:156 ; 8-byte Folded Reload
	v_accvgpr_read_b32 v49, a15
	v_accvgpr_read_b32 v39, a19
	;; [unrolled: 1-line block ×12, first 2 shown]
	v_mov_b32_e32 v31, 1
	v_accvgpr_read_b32 v60, a50
.LBB12_824:                             ;   in Loop: Header=BB12_747 Depth=3
	s_or_b64 exec, exec, s[22:23]
	v_lshlrev_b32_e32 v22, 11, v2
	v_cmp_ne_u32_e32 vcc, v24, v22
	s_mov_b64 s[22:23], 0
	v_mov_b32_e32 v2, 0
                                        ; implicit-def: $vgpr18
                                        ; implicit-def: $vgpr8
	s_and_saveexec_b64 s[58:59], vcc
	s_cbranch_execz .LBB12_834
; %bb.825:                              ;   in Loop: Header=BB12_747 Depth=3
	v_lshlrev_b32_e32 v1, 6, v6
	v_sub_u32_e32 v1, v59, v1
	v_ashrrev_i32_e32 v2, 31, v1
	v_lshrrev_b32_e32 v2, 26, v2
	v_add_u32_e32 v2, v1, v2
	v_ashrrev_i32_e32 v4, 6, v2
	v_and_b32_e32 v2, 0xffffffc0, v2
	v_sub_u32_e32 v25, v1, v2
	v_sub_u32_e32 v0, v24, v22
	v_lshlrev_b32_e32 v1, 4, v25
	v_lshl_add_u32 v2, v4, 10, v1
	v_ashrrev_i32_e32 v1, 31, v0
	v_lshrrev_b32_e32 v1, 22, v1
	v_add_u32_e32 v1, v0, v1
	v_and_b32_e32 v26, 0xfffffc00, v1
	v_sub_u32_e32 v30, v0, v26
	v_ashrrev_i32_e32 v5, 10, v1
	v_cmp_lt_i32_e64 s[22:23], 15, v30
	v_sub_u32_e32 v31, v0, v2
	s_nop 0
	v_addc_co_u32_e64 v0, vcc, 0, v5, s[22:23]
	v_sub_u32_e32 v27, v0, v4
	v_cmp_lt_i32_e32 vcc, 15, v31
	s_and_saveexec_b64 s[60:61], vcc
	s_cbranch_execz .LBB12_831
; %bb.826:                              ;   in Loop: Header=BB12_747 Depth=3
	s_trap 2
	ds_read_b64 v[8:9], v0
	ds_read_b128 v[4:7], v0
	v_add_u32_e32 v10, v2, v22
	v_accvgpr_write_b32 a12, v32
	v_ashrrev_i32_e32 v11, 31, v10
	v_accvgpr_write_b32 a13, v33
	s_waitcnt lgkmcnt(1)
	v_lshl_add_u64 v[12:13], v[8:9], 0, v[10:11]
	v_lshl_add_u64 v[14:15], v[10:11], 0, v[16:17]
	s_waitcnt lgkmcnt(0)
	v_lshl_add_u64 v[18:19], v[4:5], 0, v[10:11]
	s_waitcnt vmcnt(0)
	v_lshl_add_u64 v[20:21], v[6:7], 0, v[10:11]
	s_mov_b64 s[62:63], 0
.LBB12_827:                             ;   Parent Loop BB12_47 Depth=1
                                        ;     Parent Loop BB12_744 Depth=2
                                        ;       Parent Loop BB12_747 Depth=3
                                        ; =>      This Loop Header: Depth=4
                                        ;           Child Loop BB12_828 Depth 5
	global_load_dwordx4 v[8:11], v[12:13], off nt
	global_load_dwordx4 v[4:7], v[14:15], off nt
	s_mov_b64 s[66:67], -1
	s_mov_b64 s[64:65], 0
	s_waitcnt vmcnt(0)
	v_mul_f16_e32 v0, v8, v4
	v_mul_f16_sdwa v1, v8, v4 dst_sel:WORD_1 dst_unused:UNUSED_PAD src0_sel:WORD_1 src1_sel:WORD_1
	v_mul_f16_e32 v2, v9, v5
	v_mul_f16_sdwa v4, v9, v5 dst_sel:WORD_1 dst_unused:UNUSED_PAD src0_sel:WORD_1 src1_sel:WORD_1
	;; [unrolled: 2-line block ×4, first 2 shown]
	v_or_b32_e32 v5, v4, v2
	v_or_b32_e32 v2, v1, v0
	;; [unrolled: 1-line block ×4, first 2 shown]
.LBB12_828:                             ;   Parent Loop BB12_47 Depth=1
                                        ;     Parent Loop BB12_744 Depth=2
                                        ;       Parent Loop BB12_747 Depth=3
                                        ;         Parent Loop BB12_827 Depth=4
                                        ; =>        This Inner Loop Header: Depth=5
	v_cndmask_b32_e64 v0, 0, 1, s[66:67]
	v_cndmask_b32_e64 v33, v9, v5, s[66:67]
	v_readfirstlane_b32 s24, v0
	s_cmp_lg_u32 s24, 1
	s_cselect_b64 vcc, -1, 0
	s_cmp_eq_u32 s64, 1
	s_cselect_b64 s[24:25], -1, 0
	v_cndmask_b32_e64 v32, v8, v2, s[66:67]
	v_cndmask_b32_e64 v35, v11, v23, s[66:67]
	v_cndmask_b32_e64 v34, v10, v4, s[66:67]
	v_cndmask_b32_e32 v7, v19, v21, vcc
	v_cndmask_b32_e32 v6, v18, v20, vcc
	v_cndmask_b32_e64 v37, v19, v21, s[24:25]
	s_cmp_eq_u32 s64, 0
	v_cndmask_b32_e64 v36, v18, v20, s[24:25]
	global_store_dwordx4 v[6:7], v[32:35], off nt
	v_lshl_add_u64 v[6:7], v[36:37], 0, s[40:41]
	s_cselect_b64 s[26:27], -1, 0
	s_mov_b64 s[66:67], 0
	s_mov_b64 s[64:65], 1
	s_and_b64 vcc, exec, vcc
	v_cndmask_b32_e64 v21, v21, v7, s[24:25]
	v_cndmask_b32_e64 v20, v20, v6, s[24:25]
	;; [unrolled: 1-line block ×4, first 2 shown]
	s_cbranch_vccz .LBB12_828
; %bb.829:                              ;   in Loop: Header=BB12_827 Depth=4
	v_accvgpr_read_b32 v0, a26
	v_sub_u32_e32 v31, v31, v47
	v_accvgpr_read_b32 v1, a27
	v_cmp_gt_i32_e32 vcc, 16, v31
	v_lshl_add_u64 v[18:19], v[18:19], 0, v[0:1]
	v_lshl_add_u64 v[20:21], v[20:21], 0, v[0:1]
	v_lshl_add_u64 v[12:13], v[12:13], 0, v[28:29]
	v_lshl_add_u64 v[14:15], v[14:15], 0, v[28:29]
	s_or_b64 s[62:63], vcc, s[62:63]
	v_sub_u32_e32 v27, v27, v52
	s_andn2_b64 exec, exec, s[62:63]
	s_cbranch_execnz .LBB12_827
; %bb.830:                              ;   in Loop: Header=BB12_747 Depth=3
	s_or_b64 exec, exec, s[62:63]
	scratch_load_dwordx2 v[20:21], off, s33 offset:156 ; 8-byte Folded Reload
	v_accvgpr_read_b32 v37, a21
	v_accvgpr_read_b32 v35, a29
	;; [unrolled: 1-line block ×6, first 2 shown]
.LBB12_831:                             ;   in Loop: Header=BB12_747 Depth=3
	s_or_b64 exec, exec, s[60:61]
	v_and_b32_e32 v4, 14, v24
	v_cndmask_b32_e64 v24, v30, v4, s[22:23]
	s_mov_b64 s[24:25], 0
	v_mov_b32_e32 v2, 0
	v_cmp_ne_u32_e32 vcc, 0, v24
                                        ; implicit-def: $vgpr18
                                        ; implicit-def: $vgpr8
	s_mov_b64 s[26:27], exec
	s_and_b64 vcc, s[26:27], vcc
	v_mov_b32_e32 v31, 1
	s_mov_b64 exec, vcc
	s_cbranch_execz .LBB12_833
; %bb.832:                              ;   in Loop: Header=BB12_747 Depth=3
	v_sub_u32_e32 v0, v30, v4
	v_cndmask_b32_e64 v0, 0, v0, s[22:23]
	v_cmp_lt_i32_e32 vcc, 0, v27
	v_add3_u32 v2, v26, v22, v0
	s_mov_b64 s[24:25], exec
	v_cndmask_b32_e32 v0, 0, v52, vcc
	v_sub_u32_e32 v0, v0, v27
	v_lshl_add_u32 v18, v0, 6, v25
	v_ashrrev_i32_e32 v0, 31, v18
	v_lshrrev_b32_e32 v0, 26, v0
	v_add_u32_e32 v0, v18, v0
	v_ashrrev_i32_e32 v8, 6, v0
.LBB12_833:                             ;   in Loop: Header=BB12_747 Depth=3
	s_or_b64 exec, exec, s[26:27]
	v_accvgpr_read_b32 v26, a36
	s_and_b64 s[22:23], s[24:25], exec
	v_accvgpr_read_b32 v27, a37
.LBB12_834:                             ;   in Loop: Header=BB12_747 Depth=3
	s_or_b64 exec, exec, s[58:59]
	s_and_saveexec_b64 s[26:27], s[22:23]
	s_cbranch_execz .LBB12_846
.LBB12_835:                             ;   in Loop: Header=BB12_747 Depth=3
	v_ashrrev_i32_e32 v0, 31, v24
	v_lshrrev_b32_e32 v0, 22, v0
	v_add_u32_e32 v0, v24, v0
	v_ashrrev_i32_e32 v19, 10, v0
	v_sub_u32_e32 v6, v19, v8
	v_ashrrev_i32_e32 v0, 31, v18
	v_cmp_lt_i32_e32 vcc, 0, v6
	v_lshrrev_b32_e32 v7, 26, v0
	s_and_saveexec_b64 s[22:23], vcc
	s_cbranch_execz .LBB12_839
; %bb.836:                              ;   in Loop: Header=BB12_747 Depth=3
	v_add_u32_e32 v0, v18, v7
	v_and_b32_e32 v0, 0x7fffffc0, v0
	v_sub_u32_e32 v0, v18, v0
	s_trap 2
	ds_read_b64 v[4:5], v0
	ds_read_b128 v[10:13], v0
	v_lshlrev_b32_e32 v0, 1, v0
	v_lshlrev_b32_e32 v1, 10, v8
	v_add3_u32 v8, v0, v2, v1
	v_accvgpr_write_b32 a12, v32
	v_ashrrev_i32_e32 v9, 31, v8
	v_accvgpr_write_b32 a13, v33
	s_waitcnt lgkmcnt(0)
	v_lshl_add_u64 v[10:11], v[10:11], 0, v[8:9]
	v_lshl_add_u64 v[12:13], v[12:13], 0, v[8:9]
	s_mov_b64 s[24:25], 0
	v_mov_b64_e32 v[14:15], v[16:17]
.LBB12_837:                             ;   Parent Loop BB12_47 Depth=1
                                        ;     Parent Loop BB12_744 Depth=2
                                        ;       Parent Loop BB12_747 Depth=3
                                        ; =>      This Inner Loop Header: Depth=4
	s_waitcnt vmcnt(0)
	v_lshl_add_u64 v[20:21], v[8:9], 0, v[14:15]
	v_lshl_add_u64 v[22:23], v[8:9], 0, v[4:5]
	flat_load_ushort v0, v[20:21] offset:256 nt
	flat_load_ushort v1, v[20:21] offset:384 nt
	;; [unrolled: 1-line block ×7, first 2 shown]
	s_nop 0
	flat_load_ushort v20, v[20:21] nt
	s_nop 0
	flat_load_ushort v21, v[22:23] nt
	flat_load_ushort v32, v[22:23] offset:128 nt
	flat_load_ushort v33, v[22:23] offset:256 nt
	;; [unrolled: 1-line block ×6, first 2 shown]
	s_nop 0
	flat_load_ushort v22, v[22:23] offset:896 nt
	v_sub_u32_e32 v6, v6, v52
	v_cmp_gt_i32_e32 vcc, 1, v6
	v_lshl_add_u64 v[14:15], v[14:15], 0, v[28:29]
	v_lshl_add_u64 v[4:5], v[4:5], 0, v[28:29]
	s_or_b64 s[24:25], vcc, s[24:25]
	s_waitcnt vmcnt(0) lgkmcnt(0)
	v_mul_f16_e32 v20, v20, v21
	v_mul_f16_e32 v23, v31, v32
	;; [unrolled: 1-line block ×8, first 2 shown]
	flat_store_short v[10:11], v20 nt
	flat_store_short v[10:11], v23 offset:128 nt
	flat_store_short v[10:11], v0 offset:256 nt
	;; [unrolled: 1-line block ×7, first 2 shown]
	flat_store_short v[12:13], v21 nt
	flat_store_short v[12:13], v32 offset:128 nt
	flat_store_short v[12:13], v33 offset:256 nt
	;; [unrolled: 1-line block ×7, first 2 shown]
	v_lshl_add_u64 v[10:11], v[10:11], 0, v[28:29]
	v_lshl_add_u64 v[12:13], v[12:13], 0, v[28:29]
	s_andn2_b64 exec, exec, s[24:25]
	s_cbranch_execnz .LBB12_837
; %bb.838:                              ;   in Loop: Header=BB12_747 Depth=3
	s_or_b64 exec, exec, s[24:25]
	scratch_load_dwordx2 v[20:21], off, s33 offset:156 ; 8-byte Folded Reload
	v_accvgpr_read_b32 v37, a21
	v_accvgpr_read_b32 v35, a29
	;; [unrolled: 1-line block ×8, first 2 shown]
	v_mov_b32_e32 v31, 1
.LBB12_839:                             ;   in Loop: Header=BB12_747 Depth=3
	s_or_b64 exec, exec, s[22:23]
	v_lshlrev_b32_e32 v4, 10, v19
	v_cmp_ne_u32_e32 vcc, v24, v4
	s_and_saveexec_b64 s[58:59], vcc
	s_cbranch_execz .LBB12_845
; %bb.840:                              ;   in Loop: Header=BB12_747 Depth=3
	v_add_u32_e32 v0, v18, v7
	v_and_b32_e32 v0, 0xffffffc0, v0
	v_sub_u32_e32 v0, v18, v0
	v_lshlrev_b32_e32 v1, 6, v6
	v_sub_u32_e32 v0, v0, v1
	v_ashrrev_i32_e32 v1, 31, v0
	v_lshrrev_b32_e32 v1, 26, v1
	v_add_u32_e32 v1, v0, v1
	v_and_b32_e32 v5, 0x7fffffc0, v1
	v_sub_u32_e32 v0, v0, v5
	v_lshlrev_b32_e32 v1, 1, v1
	v_and_b32_e32 v1, 0xffffff80, v1
	v_lshlrev_b32_e32 v0, 1, v0
	v_add3_u32 v4, v1, v0, v4
	v_sub_u32_e32 v6, v24, v4
	v_cmp_lt_i32_e32 vcc, 1, v6
	s_and_b64 exec, exec, vcc
	s_cbranch_execz .LBB12_845
; %bb.841:                              ;   in Loop: Header=BB12_747 Depth=3
	s_trap 2
	ds_read_b64 v[8:9], v0
	ds_read_b128 v[10:13], v0
	v_add_u32_e32 v14, v4, v2
	v_ashrrev_i32_e32 v15, 31, v14
	s_mov_b64 s[60:61], 0
	s_waitcnt lgkmcnt(0)
	v_lshl_add_u64 v[4:5], v[8:9], 0, v[14:15]
	v_lshl_add_u64 v[8:9], v[14:15], 0, v[16:17]
	;; [unrolled: 1-line block ×4, first 2 shown]
.LBB12_842:                             ;   Parent Loop BB12_47 Depth=1
                                        ;     Parent Loop BB12_744 Depth=2
                                        ;       Parent Loop BB12_747 Depth=3
                                        ; =>      This Loop Header: Depth=4
                                        ;           Child Loop BB12_843 Depth 5
	flat_load_ushort v2, v[4:5] nt
	flat_load_ushort v0, v[8:9] nt
	s_mov_b64 s[64:65], -1
	s_mov_b64 s[62:63], 0
	s_waitcnt vmcnt(0) lgkmcnt(0)
	v_mul_f16_e32 v7, v2, v0
.LBB12_843:                             ;   Parent Loop BB12_47 Depth=1
                                        ;     Parent Loop BB12_744 Depth=2
                                        ;       Parent Loop BB12_747 Depth=3
                                        ;         Parent Loop BB12_842 Depth=4
                                        ; =>        This Inner Loop Header: Depth=5
	v_cndmask_b32_e64 v1, 0, 1, s[64:65]
	v_cndmask_b32_e64 v0, v2, v7, s[64:65]
	v_readfirstlane_b32 s22, v1
	s_cmp_lg_u32 s22, 1
	s_cselect_b64 vcc, -1, 0
	s_cmp_eq_u32 s62, 1
	s_cselect_b64 s[22:23], -1, 0
	v_cndmask_b32_e32 v15, v11, v13, vcc
	v_cndmask_b32_e32 v14, v10, v12, vcc
	v_cndmask_b32_e64 v17, v11, v13, s[22:23]
	s_cmp_eq_u32 s62, 0
	v_cndmask_b32_e64 v16, v10, v12, s[22:23]
	flat_store_short v[14:15], v0 nt
	v_lshl_add_u64 v[14:15], v[16:17], 0, s[42:43]
	s_cselect_b64 s[24:25], -1, 0
	s_mov_b64 s[64:65], 0
	s_mov_b64 s[62:63], 1
	s_and_b64 vcc, exec, vcc
	v_cndmask_b32_e64 v13, v13, v15, s[22:23]
	v_cndmask_b32_e64 v12, v12, v14, s[22:23]
	;; [unrolled: 1-line block ×4, first 2 shown]
	s_cbranch_vccz .LBB12_843
; %bb.844:                              ;   in Loop: Header=BB12_842 Depth=4
	v_sub_u32_e32 v6, v6, v45
	v_cmp_gt_i32_e32 vcc, 2, v6
	v_lshl_add_u64 v[10:11], v[10:11], 0, v[34:35]
	v_lshl_add_u64 v[12:13], v[12:13], 0, v[34:35]
	v_lshl_add_u64 v[4:5], v[4:5], 0, v[26:27]
	s_or_b64 s[60:61], vcc, s[60:61]
	v_lshl_add_u64 v[8:9], v[8:9], 0, v[26:27]
	s_andn2_b64 exec, exec, s[60:61]
	s_cbranch_execnz .LBB12_842
.LBB12_845:                             ;   in Loop: Header=BB12_747 Depth=3
	s_or_b64 exec, exec, s[58:59]
.LBB12_846:                             ;   in Loop: Header=BB12_747 Depth=3
	s_or_b64 exec, exec, s[26:27]
	s_waitcnt lgkmcnt(0)
	scratch_load_dwordx2 v[16:17], off, s33 offset:164 ; 8-byte Folded Reload
	v_accvgpr_read_b32 v18, a42
	v_accvgpr_read_b32 v19, a43
	s_branch .LBB12_876
.LBB12_847:                             ;   in Loop: Header=BB12_747 Depth=3
	s_mov_b64 s[22:23], -1
	s_and_saveexec_b64 s[24:25], s[16:17]
	s_cbranch_execz .LBB12_849
; %bb.848:                              ;   in Loop: Header=BB12_747 Depth=3
	ds_read_b32 v0, v0 offset:720
	s_waitcnt lgkmcnt(0)
	v_and_b32_e32 v0, 15, v0
	v_cmp_eq_u32_e32 vcc, 0, v0
	s_orn2_b64 s[22:23], vcc, exec
.LBB12_849:                             ;   in Loop: Header=BB12_747 Depth=3
	s_or_b64 exec, exec, s[24:25]
	s_and_saveexec_b64 s[24:25], s[14:15]
	s_cbranch_execz .LBB12_851
; %bb.850:                              ;   in Loop: Header=BB12_747 Depth=3
	ds_read_b32 v0, v0 offset:784
	s_waitcnt lgkmcnt(0)
	v_and_b32_e32 v0, 15, v0
	v_cmp_eq_u32_e32 vcc, 0, v0
	s_and_b64 s[26:27], s[22:23], vcc
	s_andn2_b64 s[22:23], s[22:23], exec
	s_and_b64 s[26:27], s[26:27], exec
	s_or_b64 s[22:23], s[22:23], s[26:27]
.LBB12_851:                             ;   in Loop: Header=BB12_747 Depth=3
	s_or_b64 exec, exec, s[24:25]
	s_xor_b64 s[22:23], s[22:23], -1
	v_cndmask_b32_e64 v0, 0, 1, s[22:23]
	v_lshlrev_b32_e32 v2, 1, v55
	s_mov_b64 s[26:27], -1
	;;#ASMSTART
	;;#ASMEND
	v_mov_b32_e32 v14, 0
	v_cmp_ne_u32_e32 vcc, 0, v0
	s_cbranch_vccz .LBB12_853
; %bb.852:                              ;   in Loop: Header=BB12_747 Depth=3
	v_mov_b32_e32 v4, v58
	v_mov_b32_e32 v13, v50
	s_and_saveexec_b64 s[22:23], s[26:27]
	s_cbranch_execnz .LBB12_866
	s_branch .LBB12_875
.LBB12_853:                             ;   in Loop: Header=BB12_747 Depth=3
	v_ashrrev_i32_e32 v0, 31, v2
	v_lshrrev_b32_e32 v0, 20, v0
	v_add_u32_e32 v0, v2, v0
	v_ashrrev_i32_e32 v0, 12, v0
	v_accvgpr_write_b32 a24, v47
	v_sub_u32_e32 v47, v0, v50
	v_cmp_lt_i32_e32 vcc, 0, v47
	s_and_saveexec_b64 s[22:23], vcc
	s_cbranch_execz .LBB12_857
; %bb.854:                              ;   in Loop: Header=BB12_747 Depth=3
	s_trap 2
	ds_read_b64 v[30:31], v0
	v_accvgpr_write_b32 a31, v59
	v_accvgpr_write_b32 a35, v33
	;; [unrolled: 1-line block ×4, first 2 shown]
	v_accvgpr_read_b32 v45, a41
	v_accvgpr_read_b32 v59, a33
	v_accvgpr_write_b32 a51, v0
	v_accvgpr_write_b32 a34, v32
	;; [unrolled: 1-line block ×3, first 2 shown]
	s_mov_b64 s[24:25], 0
	v_accvgpr_read_b32 v44, a40
	v_accvgpr_read_b32 v58, a32
.LBB12_855:                             ;   Parent Loop BB12_47 Depth=1
                                        ;     Parent Loop BB12_744 Depth=2
                                        ;       Parent Loop BB12_747 Depth=3
                                        ; =>      This Inner Loop Header: Depth=4
	s_waitcnt lgkmcnt(0)
	v_lshl_add_u64 v[4:5], v[30:31], 0, v[44:45]
	global_load_dwordx4 v[32:35], v[44:45], off offset:-3072 nt
	global_load_dwordx4 v[24:27], v[44:45], off offset:-2048 nt
	global_load_dwordx4 v[16:19], v[44:45], off offset:-1024 nt
	global_load_dwordx4 v[8:11], v[44:45], off nt
	global_load_dwordx4 v[48:51], v[4:5], off offset:-3072 nt
	global_load_dwordx4 v[36:39], v[4:5], off offset:-2048 nt
	;; [unrolled: 1-line block ×3, first 2 shown]
	global_load_dwordx4 v[12:15], v[4:5], off nt
	v_sub_u32_e32 v47, v47, v52
	v_cmp_gt_i32_e32 vcc, 1, v47
	v_lshl_add_u64 v[44:45], v[44:45], 0, v[58:59]
	s_or_b64 s[24:25], vcc, s[24:25]
	s_waitcnt vmcnt(0)
	v_mul_f16_e32 v0, v48, v32
	v_mul_f16_sdwa v1, v48, v32 dst_sel:WORD_1 dst_unused:UNUSED_PAD src0_sel:WORD_1 src1_sel:WORD_1
	v_mul_f16_e32 v7, v49, v33
	v_mul_f16_sdwa v32, v49, v33 dst_sel:WORD_1 dst_unused:UNUSED_PAD src0_sel:WORD_1 src1_sel:WORD_1
	;; [unrolled: 2-line block ×16, first 2 shown]
	v_or_b32_e32 v9, v32, v7
	v_or_b32_e32 v8, v1, v0
	;; [unrolled: 1-line block ×16, first 2 shown]
	global_store_dwordx4 v[4:5], v[8:11], off offset:-3072 nt
	global_store_dwordx4 v[4:5], v[12:15], off offset:-2048 nt
	;; [unrolled: 1-line block ×3, first 2 shown]
	global_store_dwordx4 v[4:5], v[20:23], off nt
	s_andn2_b64 exec, exec, s[24:25]
	s_cbranch_execnz .LBB12_855
; %bb.856:                              ;   in Loop: Header=BB12_747 Depth=3
	s_or_b64 exec, exec, s[24:25]
	scratch_load_dwordx2 v[16:17], off, s33 offset:164 ; 8-byte Folded Reload
	scratch_load_dwordx2 v[20:21], off, s33 offset:156 ; 8-byte Folded Reload
	v_accvgpr_read_b32 v41, a13
	v_accvgpr_read_b32 v49, a15
	;; [unrolled: 1-line block ×22, first 2 shown]
	v_mov_b32_e32 v31, 1
	v_accvgpr_read_b32 v60, a50
	v_accvgpr_read_b32 v0, a51
.LBB12_857:                             ;   in Loop: Header=BB12_747 Depth=3
	s_or_b64 exec, exec, s[22:23]
	v_lshlrev_b32_e32 v6, 12, v0
	v_cmp_ne_u32_e32 vcc, v2, v6
	s_mov_b64 s[26:27], 0
	v_mov_b32_e32 v14, 0
                                        ; implicit-def: $vgpr4
                                        ; implicit-def: $vgpr13
	s_and_saveexec_b64 s[24:25], vcc
	s_cbranch_execz .LBB12_865
; %bb.858:                              ;   in Loop: Header=BB12_747 Depth=3
	v_lshlrev_b32_e32 v1, 6, v47
	v_sub_u32_e32 v1, v59, v1
	v_ashrrev_i32_e32 v4, 31, v1
	v_lshrrev_b32_e32 v4, 26, v4
	v_add_u32_e32 v4, v1, v4
	v_ashrrev_i32_e32 v5, 6, v4
	v_and_b32_e32 v4, 0xffffffc0, v4
	v_sub_u32_e32 v7, v1, v4
	v_sub_u32_e32 v0, v2, v6
	v_lshlrev_b32_e32 v1, 4, v7
	v_lshl_add_u32 v8, v5, 10, v1
	v_ashrrev_i32_e32 v1, 31, v0
	v_lshrrev_b32_e32 v1, 22, v1
	v_add_u32_e32 v1, v0, v1
	v_and_b32_e32 v10, 0xfffffc00, v1
	v_sub_u32_e32 v12, v0, v10
	v_ashrrev_i32_e32 v4, 10, v1
	v_cmp_lt_i32_e32 vcc, 15, v12
	v_sub_u32_e32 v13, v0, v8
	s_nop 0
	v_addc_co_u32_e64 v0, s[22:23], 0, v4, vcc
	v_sub_u32_e32 v11, v0, v5
	v_cmp_lt_i32_e64 s[22:23], 15, v13
	s_mov_b64 s[26:27], exec
	s_and_b64 s[22:23], s[26:27], s[22:23]
	v_accvgpr_read_b32 v24, a24
	s_mov_b64 exec, s[22:23]
	s_cbranch_execz .LBB12_862
; %bb.859:                              ;   in Loop: Header=BB12_747 Depth=3
	s_trap 2
	ds_read_b64 v[4:5], v0
	v_add_u32_e32 v8, v8, v6
	v_ashrrev_i32_e32 v9, 31, v8
	s_mov_b64 s[58:59], 0
.LBB12_860:                             ;   Parent Loop BB12_47 Depth=1
                                        ;     Parent Loop BB12_744 Depth=2
                                        ;       Parent Loop BB12_747 Depth=3
                                        ; =>      This Inner Loop Header: Depth=4
	s_waitcnt lgkmcnt(0)
	v_lshl_add_u64 v[22:23], v[4:5], 0, v[8:9]
	global_load_dwordx4 v[14:17], v[8:9], off nt
	global_load_dwordx4 v[18:21], v[22:23], off nt
	v_sub_u32_e32 v13, v13, v24
	v_cmp_gt_i32_e64 s[22:23], 16, v13
	v_lshl_add_u64 v[8:9], v[8:9], 0, v[28:29]
	v_sub_u32_e32 v11, v11, v52
	s_or_b64 s[58:59], s[22:23], s[58:59]
	s_waitcnt vmcnt(0)
	v_mul_f16_e32 v0, v18, v14
	v_mul_f16_sdwa v1, v18, v14 dst_sel:WORD_1 dst_unused:UNUSED_PAD src0_sel:WORD_1 src1_sel:WORD_1
	v_mul_f16_e32 v14, v19, v15
	v_mul_f16_sdwa v15, v19, v15 dst_sel:WORD_1 dst_unused:UNUSED_PAD src0_sel:WORD_1 src1_sel:WORD_1
	;; [unrolled: 2-line block ×4, first 2 shown]
	v_or_b32_e32 v15, v15, v14
	v_or_b32_e32 v14, v1, v0
	;; [unrolled: 1-line block ×4, first 2 shown]
	global_store_dwordx4 v[22:23], v[14:17], off nt
	s_andn2_b64 exec, exec, s[58:59]
	s_cbranch_execnz .LBB12_860
; %bb.861:                              ;   in Loop: Header=BB12_747 Depth=3
	s_or_b64 exec, exec, s[58:59]
	scratch_load_dwordx2 v[16:17], off, s33 offset:164 ; 8-byte Folded Reload
	scratch_load_dwordx2 v[20:21], off, s33 offset:156 ; 8-byte Folded Reload
	v_accvgpr_read_b32 v18, a42
	v_accvgpr_read_b32 v19, a43
.LBB12_862:                             ;   in Loop: Header=BB12_747 Depth=3
	s_or_b64 exec, exec, s[26:27]
	v_and_b32_e32 v5, 14, v2
	v_cndmask_b32_e32 v2, v12, v5, vcc
	v_cmp_ne_u32_e64 s[22:23], 0, v2
	s_mov_b64 s[26:27], 0
	v_mov_b32_e32 v14, 0
                                        ; implicit-def: $vgpr4
                                        ; implicit-def: $vgpr13
	s_and_saveexec_b64 s[58:59], s[22:23]
	s_cbranch_execz .LBB12_864
; %bb.863:                              ;   in Loop: Header=BB12_747 Depth=3
	v_sub_u32_e32 v0, v12, v5
	v_cndmask_b32_e32 v0, 0, v0, vcc
	v_cmp_lt_i32_e32 vcc, 0, v11
	v_add3_u32 v14, v10, v6, v0
	s_mov_b64 s[26:27], exec
	v_cndmask_b32_e32 v0, 0, v52, vcc
	v_sub_u32_e32 v0, v0, v11
	v_lshl_add_u32 v4, v0, 6, v7
	v_ashrrev_i32_e32 v0, 31, v4
	v_lshrrev_b32_e32 v0, 26, v0
	v_add_u32_e32 v0, v4, v0
	v_ashrrev_i32_e32 v13, 6, v0
.LBB12_864:                             ;   in Loop: Header=BB12_747 Depth=3
	s_or_b64 exec, exec, s[58:59]
	s_and_b64 s[26:27], s[26:27], exec
.LBB12_865:                             ;   in Loop: Header=BB12_747 Depth=3
	s_or_b64 exec, exec, s[24:25]
	v_accvgpr_read_b32 v47, a24
	s_and_saveexec_b64 s[22:23], s[26:27]
	s_cbranch_execz .LBB12_875
.LBB12_866:                             ;   in Loop: Header=BB12_747 Depth=3
	v_ashrrev_i32_e32 v0, 31, v2
	v_lshrrev_b32_e32 v0, 22, v0
	v_add_u32_e32 v0, v2, v0
	v_ashrrev_i32_e32 v15, 10, v0
	v_sub_u32_e32 v5, v15, v13
	v_cmp_lt_i32_e32 vcc, 0, v5
	s_and_saveexec_b64 s[24:25], vcc
	s_cbranch_execz .LBB12_870
; %bb.867:                              ;   in Loop: Header=BB12_747 Depth=3
	s_trap 2
	ds_read_b64 v[8:9], v0
	v_ashrrev_i32_e32 v0, 31, v4
	v_lshrrev_b32_e32 v0, 26, v0
	v_add_u32_e32 v0, v4, v0
	v_and_b32_e32 v0, 0x7fffffc0, v0
	v_sub_u32_e32 v0, v4, v0
	v_lshlrev_b32_e32 v0, 1, v0
	v_lshlrev_b32_e32 v1, 10, v13
	v_add3_u32 v6, v0, v14, v1
	v_accvgpr_write_b32 a12, v32
	v_ashrrev_i32_e32 v7, 31, v6
	v_accvgpr_write_b32 a13, v33
	v_lshl_add_u64 v[10:11], v[6:7], 0, s[52:53]
	s_mov_b64 s[26:27], 0
.LBB12_868:                             ;   Parent Loop BB12_47 Depth=1
                                        ;     Parent Loop BB12_744 Depth=2
                                        ;       Parent Loop BB12_747 Depth=3
                                        ; =>      This Inner Loop Header: Depth=4
	s_waitcnt lgkmcnt(0)
	v_lshl_add_u64 v[12:13], v[8:9], 0, v[10:11]
	s_waitcnt vmcnt(0)
	v_add_co_u32_e32 v16, vcc, 0xfffffc80, v12
	flat_load_ushort v6, v[10:11] nt
	s_nop 0
	v_addc_co_u32_e32 v17, vcc, -1, v13, vcc
	v_add_co_u32_e32 v18, vcc, 0xfffffc80, v10
	flat_load_ushort v16, v[16:17] nt
	s_nop 0
	v_addc_co_u32_e32 v19, vcc, -1, v11, vcc
	;; [unrolled: 4-line block ×12, first 2 shown]
	flat_load_ushort v48, v[20:21] nt
	v_add_co_u32_e32 v20, vcc, s74, v12
	flat_load_ushort v49, v[22:23] nt
	s_nop 0
	v_addc_co_u32_e32 v21, vcc, -1, v13, vcc
	v_add_co_u32_e32 v22, vcc, s74, v10
	flat_load_ushort v50, v[20:21] nt
	s_nop 0
	v_addc_co_u32_e32 v23, vcc, -1, v11, vcc
	flat_load_ushort v51, v[22:23] nt
	v_sub_u32_e32 v5, v5, v52
	v_cmp_gt_i32_e32 vcc, 1, v5
	s_or_b64 s[26:27], vcc, s[26:27]
	v_add_co_u32_e32 v20, vcc, s84, v12
	v_lshl_add_u64 v[10:11], v[10:11], 0, v[28:29]
	s_nop 0
	v_addc_co_u32_e32 v21, vcc, -1, v13, vcc
	v_add_co_u32_e32 v22, vcc, s85, v12
	s_waitcnt vmcnt(0) lgkmcnt(0)
	v_mul_f16_e32 v0, v18, v0
	v_addc_co_u32_e32 v23, vcc, -1, v13, vcc
	v_add_co_u32_e32 v24, vcc, s86, v12
	v_mul_f16_e32 v6, v7, v6
	s_nop 0
	v_addc_co_u32_e32 v25, vcc, -1, v13, vcc
	v_add_co_u32_e32 v26, vcc, 0xfffffe00, v12
	v_mul_f16_e32 v7, v16, v17
	s_nop 0
	v_addc_co_u32_e32 v27, vcc, -1, v13, vcc
	v_add_co_u32_e32 v30, vcc, 0xfffffe80, v12
	flat_store_short v[20:21], v7 nt
	s_nop 0
	v_addc_co_u32_e32 v31, vcc, -1, v13, vcc
	flat_store_short v[22:23], v0 nt
	v_mul_f16_e32 v0, v1, v19
	v_add_co_u32_e32 v32, vcc, 0xffffff00, v12
	flat_store_short v[24:25], v0 nt
	v_mul_f16_e32 v0, v36, v37
	v_addc_co_u32_e32 v33, vcc, -1, v13, vcc
	flat_store_short v[26:27], v0 nt
	v_mul_f16_e32 v0, v38, v39
	v_add_co_u32_e32 v34, vcc, 0xffffff80, v12
	flat_store_short v[30:31], v0 nt
	v_mul_f16_e32 v0, v48, v49
	v_addc_co_u32_e32 v35, vcc, -1, v13, vcc
	flat_store_short v[32:33], v0 nt
	v_mul_f16_e32 v0, v50, v51
	flat_store_short v[34:35], v0 nt
	flat_store_short v[12:13], v6 nt
	s_andn2_b64 exec, exec, s[26:27]
	s_cbranch_execnz .LBB12_868
; %bb.869:                              ;   in Loop: Header=BB12_747 Depth=3
	s_or_b64 exec, exec, s[26:27]
	scratch_load_dwordx2 v[16:17], off, s33 offset:164 ; 8-byte Folded Reload
	scratch_load_dwordx2 v[20:21], off, s33 offset:156 ; 8-byte Folded Reload
	v_accvgpr_read_b32 v49, a15
	v_accvgpr_read_b32 v39, a19
	;; [unrolled: 1-line block ×16, first 2 shown]
	v_mov_b32_e32 v31, 1
.LBB12_870:                             ;   in Loop: Header=BB12_747 Depth=3
	s_or_b64 exec, exec, s[24:25]
	v_lshlrev_b32_e32 v6, 10, v15
	v_cmp_ne_u32_e32 vcc, v2, v6
	s_and_saveexec_b64 s[24:25], vcc
	s_cbranch_execz .LBB12_874
; %bb.871:                              ;   in Loop: Header=BB12_747 Depth=3
	v_ashrrev_i32_e32 v0, 31, v4
	v_lshrrev_b32_e32 v0, 26, v0
	v_add_u32_e32 v0, v4, v0
	v_and_b32_e32 v0, 0xffffffc0, v0
	v_sub_u32_e32 v0, v4, v0
	v_lshlrev_b32_e32 v1, 6, v5
	v_sub_u32_e32 v0, v0, v1
	v_ashrrev_i32_e32 v1, 31, v0
	v_lshrrev_b32_e32 v1, 26, v1
	v_add_u32_e32 v1, v0, v1
	v_and_b32_e32 v4, 0x7fffffc0, v1
	v_sub_u32_e32 v0, v0, v4
	v_lshlrev_b32_e32 v1, 1, v1
	v_and_b32_e32 v1, 0xffffff80, v1
	v_lshlrev_b32_e32 v0, 1, v0
	v_add3_u32 v6, v1, v0, v6
	v_sub_u32_e32 v2, v2, v6
	v_cmp_lt_i32_e32 vcc, 1, v2
	s_and_b64 exec, exec, vcc
	s_cbranch_execz .LBB12_874
; %bb.872:                              ;   in Loop: Header=BB12_747 Depth=3
	s_trap 2
	ds_read_b64 v[4:5], v0
	v_add_u32_e32 v8, v6, v14
	v_ashrrev_i32_e32 v9, 31, v8
	s_mov_b64 s[26:27], 0
.LBB12_873:                             ;   Parent Loop BB12_47 Depth=1
                                        ;     Parent Loop BB12_744 Depth=2
                                        ;       Parent Loop BB12_747 Depth=3
                                        ; =>      This Inner Loop Header: Depth=4
	s_waitcnt lgkmcnt(0)
	v_lshl_add_u64 v[6:7], v[4:5], 0, v[8:9]
	flat_load_ushort v0, v[8:9] nt
	flat_load_ushort v1, v[6:7] nt
	v_sub_u32_e32 v2, v2, v45
	v_cmp_gt_i32_e32 vcc, 2, v2
	v_lshl_add_u64 v[8:9], v[8:9], 0, v[26:27]
	s_or_b64 s[26:27], vcc, s[26:27]
	s_waitcnt vmcnt(0) lgkmcnt(0)
	v_mul_f16_e32 v0, v1, v0
	flat_store_short v[6:7], v0 nt
	s_andn2_b64 exec, exec, s[26:27]
	s_cbranch_execnz .LBB12_873
.LBB12_874:                             ;   in Loop: Header=BB12_747 Depth=3
	s_or_b64 exec, exec, s[24:25]
.LBB12_875:                             ;   in Loop: Header=BB12_747 Depth=3
	s_or_b64 exec, exec, s[22:23]
.LBB12_876:                             ;   in Loop: Header=BB12_747 Depth=3
	s_and_saveexec_b64 s[22:23], s[4:5]
	s_cbranch_execz .LBB12_895
; %bb.877:                              ;   in Loop: Header=BB12_747 Depth=3
	s_and_saveexec_b64 s[24:25], s[38:39]
	s_xor_b64 s[24:25], exec, s[24:25]
	s_cbranch_execz .LBB12_892
; %bb.878:                              ;   in Loop: Header=BB12_747 Depth=3
	s_and_saveexec_b64 s[26:27], s[12:13]
	s_cbranch_execz .LBB12_891
; %bb.879:                              ;   in Loop: Header=BB12_747 Depth=3
	s_mov_b64 s[60:61], exec
	v_mbcnt_lo_u32_b32 v0, s60, 0
	v_mbcnt_hi_u32_b32 v0, s61, v0
	v_cmp_eq_u32_e32 vcc, 0, v0
	s_waitcnt lgkmcnt(0)
	s_and_saveexec_b64 s[58:59], vcc
	s_cbranch_execz .LBB12_881
; %bb.880:                              ;   in Loop: Header=BB12_747 Depth=3
	s_bcnt1_i32_b64 vcc_lo, s[60:61]
	v_mov_b32_e32 v2, vcc_lo
	ds_add_u64 v0, v[2:3]
	s_trap 2
.LBB12_881:                             ;   in Loop: Header=BB12_747 Depth=3
	s_or_b64 exec, exec, s[58:59]
	s_trap 2
	ds_read_b64 v[4:5], v0
	v_lshl_add_u64 v[32:33], v[32:33], 0, v[52:53]
	s_waitcnt lgkmcnt(0)
	v_cmp_lt_u64_e32 vcc, v[4:5], v[32:33]
	s_and_saveexec_b64 s[58:59], vcc
	s_cbranch_execz .LBB12_890
; %bb.882:                              ;   in Loop: Header=BB12_747 Depth=3
	s_mov_b32 s87, 0
	s_mov_b64 s[60:61], 0
                                        ; implicit-def: $sgpr62_sgpr63
                                        ; implicit-def: $sgpr64_sgpr65
	s_branch .LBB12_884
.LBB12_883:                             ;   in Loop: Header=BB12_884 Depth=4
	s_or_b64 exec, exec, s[68:69]
	s_and_b64 vcc, exec, vcc
	s_or_b64 s[60:61], vcc, s[60:61]
	s_andn2_b64 vcc, s[62:63], exec
	s_and_b64 s[62:63], s[64:65], exec
	s_or_b64 s[62:63], vcc, s[62:63]
	s_andn2_b64 exec, exec, s[60:61]
	s_cbranch_execz .LBB12_888
.LBB12_884:                             ;   Parent Loop BB12_47 Depth=1
                                        ;     Parent Loop BB12_744 Depth=2
                                        ;       Parent Loop BB12_747 Depth=3
                                        ; =>      This Inner Loop Header: Depth=4
	s_add_i32 s87, s87, 1
	s_cmpk_lg_i32 s87, 0x2710
	s_cselect_b64 s[66:67], -1, 0
	s_and_b64 vcc, exec, s[66:67]
                                        ; implicit-def: $sgpr68_sgpr69
	s_cbranch_vccnz .LBB12_886
; %bb.885:                              ;   in Loop: Header=BB12_884 Depth=4
	s_trap 2
	ds_read_b64 v[4:5], v0
	s_andn2_b64 s[66:67], s[66:67], exec
	s_mov_b32 s87, 0
	s_mov_b64 s[68:69], -1
	s_waitcnt vmcnt(0) lgkmcnt(0)
	flat_load_dword v0, v[4:5] sc0 sc1
	s_waitcnt vmcnt(0) lgkmcnt(0)
	buffer_inv sc0 sc1
	v_cmp_eq_u32_e32 vcc, 0, v0
	s_and_b64 vcc, vcc, exec
	s_or_b64 s[66:67], s[66:67], vcc
.LBB12_886:                             ;   in Loop: Header=BB12_884 Depth=4
	s_andn2_b64 s[64:65], s[64:65], exec
	s_and_b64 s[68:69], s[68:69], exec
	s_mov_b64 vcc, -1
	s_or_b64 s[64:65], s[64:65], s[68:69]
	s_and_saveexec_b64 s[68:69], s[66:67]
	s_cbranch_execz .LBB12_883
; %bb.887:                              ;   in Loop: Header=BB12_884 Depth=4
	s_sleep 1
	s_trap 2
	ds_read_b64 v[4:5], v0
	s_andn2_b64 s[64:65], s[64:65], exec
	s_waitcnt lgkmcnt(0)
	v_cmp_ge_u64_e32 vcc, v[4:5], v[32:33]
	s_orn2_b64 vcc, vcc, exec
	s_branch .LBB12_883
.LBB12_888:                             ;   in Loop: Header=BB12_747 Depth=3
	s_or_b64 exec, exec, s[60:61]
	s_and_saveexec_b64 vcc, s[62:63]
	s_xor_b64 vcc, exec, vcc
	s_cbranch_execz .LBB12_890
; %bb.889:                              ;   in Loop: Header=BB12_747 Depth=3
	ds_write_b32 v0, v31
	s_trap 2
.LBB12_890:                             ;   in Loop: Header=BB12_747 Depth=3
	s_or_b64 exec, exec, s[58:59]
	;;#ASMSTART
	s_wakeup
	;;#ASMEND
.LBB12_891:                             ;   in Loop: Header=BB12_747 Depth=3
	s_or_b64 exec, exec, s[26:27]
.LBB12_892:                             ;   in Loop: Header=BB12_747 Depth=3
	s_andn2_saveexec_b64 s[24:25], s[24:25]
	s_cbranch_execz .LBB12_894
; %bb.893:                              ;   in Loop: Header=BB12_747 Depth=3
	s_waitcnt lgkmcnt(0)
	s_barrier
.LBB12_894:                             ;   in Loop: Header=BB12_747 Depth=3
	s_or_b64 exec, exec, s[24:25]
.LBB12_895:                             ;   in Loop: Header=BB12_747 Depth=3
	s_or_b64 exec, exec, s[22:23]
                                        ; implicit-def: $vgpr2
	s_and_saveexec_b64 s[22:23], s[20:21]
	s_xor_b64 s[24:25], exec, s[22:23]
	s_cbranch_execz .LBB12_899
; %bb.896:                              ;   in Loop: Header=BB12_747 Depth=3
	v_and_b32_e32 v0, 16, v62
	v_cmp_lt_i32_e32 vcc, 0, v55
	v_cmp_ne_u32_e64 s[22:23], 0, v0
	v_and_b32_e32 v2, 16, v62
	s_and_b64 s[26:27], s[22:23], vcc
	s_and_saveexec_b64 s[22:23], s[26:27]
	s_cbranch_execz .LBB12_898
; %bb.897:                              ;   in Loop: Header=BB12_747 Depth=3
	v_mov_b32_e32 v2, 1
	buffer_wbl2 sc1
	s_waitcnt vmcnt(0) lgkmcnt(0)
	buffer_inv sc1
.LBB12_898:                             ;   in Loop: Header=BB12_747 Depth=3
	s_or_b64 exec, exec, s[22:23]
	s_andn2_saveexec_b64 s[22:23], s[24:25]
	s_cbranch_execz .LBB12_918
	s_branch .LBB12_900
.LBB12_899:                             ;   in Loop: Header=BB12_747 Depth=3
	s_andn2_saveexec_b64 s[22:23], s[24:25]
	s_cbranch_execz .LBB12_918
.LBB12_900:                             ;   in Loop: Header=BB12_747 Depth=3
	s_and_saveexec_b64 s[24:25], s[38:39]
	s_xor_b64 s[24:25], exec, s[24:25]
	s_cbranch_execz .LBB12_915
; %bb.901:                              ;   in Loop: Header=BB12_747 Depth=3
	s_and_saveexec_b64 s[26:27], s[12:13]
	s_cbranch_execz .LBB12_914
; %bb.902:                              ;   in Loop: Header=BB12_747 Depth=3
	s_mov_b64 s[60:61], exec
	v_mbcnt_lo_u32_b32 v0, s60, 0
	v_mbcnt_hi_u32_b32 v0, s61, v0
	v_cmp_eq_u32_e32 vcc, 0, v0
	;;#ASMSTART
	s_waitcnt lgkmcnt(0) vmcnt(0)
	;;#ASMEND
	s_and_saveexec_b64 s[58:59], vcc
	s_cbranch_execz .LBB12_904
; %bb.903:                              ;   in Loop: Header=BB12_747 Depth=3
	s_bcnt1_i32_b64 vcc_lo, s[60:61]
	v_mov_b32_e32 v2, vcc_lo
	ds_add_u64 v0, v[2:3]
	s_trap 2
.LBB12_904:                             ;   in Loop: Header=BB12_747 Depth=3
	s_or_b64 exec, exec, s[58:59]
	s_trap 2
	ds_read_b64 v[4:5], v0
	v_lshl_add_u64 v[32:33], v[32:33], 0, v[52:53]
	s_waitcnt lgkmcnt(0)
	v_cmp_lt_u64_e32 vcc, v[4:5], v[32:33]
	s_and_saveexec_b64 s[58:59], vcc
	s_cbranch_execz .LBB12_913
; %bb.905:                              ;   in Loop: Header=BB12_747 Depth=3
	s_mov_b32 s87, 0
	s_mov_b64 s[60:61], 0
                                        ; implicit-def: $sgpr62_sgpr63
                                        ; implicit-def: $sgpr64_sgpr65
	s_branch .LBB12_907
.LBB12_906:                             ;   in Loop: Header=BB12_907 Depth=4
	s_or_b64 exec, exec, s[68:69]
	s_and_b64 vcc, exec, vcc
	s_or_b64 s[60:61], vcc, s[60:61]
	s_andn2_b64 vcc, s[62:63], exec
	s_and_b64 s[62:63], s[64:65], exec
	s_or_b64 s[62:63], vcc, s[62:63]
	s_andn2_b64 exec, exec, s[60:61]
	s_cbranch_execz .LBB12_911
.LBB12_907:                             ;   Parent Loop BB12_47 Depth=1
                                        ;     Parent Loop BB12_744 Depth=2
                                        ;       Parent Loop BB12_747 Depth=3
                                        ; =>      This Inner Loop Header: Depth=4
	s_add_i32 s87, s87, 1
	s_cmpk_lg_i32 s87, 0x2710
	s_cselect_b64 s[66:67], -1, 0
	s_and_b64 vcc, exec, s[66:67]
                                        ; implicit-def: $sgpr68_sgpr69
	s_cbranch_vccnz .LBB12_909
; %bb.908:                              ;   in Loop: Header=BB12_907 Depth=4
	s_trap 2
	ds_read_b64 v[4:5], v0
	s_andn2_b64 s[66:67], s[66:67], exec
	s_mov_b32 s87, 0
	s_mov_b64 s[68:69], -1
	s_waitcnt vmcnt(0) lgkmcnt(0)
	flat_load_dword v0, v[4:5] sc0 sc1
	s_waitcnt vmcnt(0) lgkmcnt(0)
	buffer_inv sc0 sc1
	v_cmp_eq_u32_e32 vcc, 0, v0
	s_and_b64 vcc, vcc, exec
	s_or_b64 s[66:67], s[66:67], vcc
.LBB12_909:                             ;   in Loop: Header=BB12_907 Depth=4
	s_andn2_b64 s[64:65], s[64:65], exec
	s_and_b64 s[68:69], s[68:69], exec
	s_mov_b64 vcc, -1
	s_or_b64 s[64:65], s[64:65], s[68:69]
	s_and_saveexec_b64 s[68:69], s[66:67]
	s_cbranch_execz .LBB12_906
; %bb.910:                              ;   in Loop: Header=BB12_907 Depth=4
	s_sleep 1
	s_trap 2
	ds_read_b64 v[4:5], v0
	s_andn2_b64 s[64:65], s[64:65], exec
	s_waitcnt lgkmcnt(0)
	v_cmp_ge_u64_e32 vcc, v[4:5], v[32:33]
	s_orn2_b64 vcc, vcc, exec
	s_branch .LBB12_906
.LBB12_911:                             ;   in Loop: Header=BB12_747 Depth=3
	s_or_b64 exec, exec, s[60:61]
	s_and_saveexec_b64 vcc, s[62:63]
	s_xor_b64 vcc, exec, vcc
	s_cbranch_execz .LBB12_913
; %bb.912:                              ;   in Loop: Header=BB12_747 Depth=3
	ds_write_b32 v0, v31
	s_trap 2
.LBB12_913:                             ;   in Loop: Header=BB12_747 Depth=3
	s_or_b64 exec, exec, s[58:59]
	;;#ASMSTART
	s_wakeup
	;;#ASMEND
.LBB12_914:                             ;   in Loop: Header=BB12_747 Depth=3
	s_or_b64 exec, exec, s[26:27]
.LBB12_915:                             ;   in Loop: Header=BB12_747 Depth=3
	s_andn2_saveexec_b64 s[24:25], s[24:25]
	s_cbranch_execz .LBB12_917
; %bb.916:                              ;   in Loop: Header=BB12_747 Depth=3
	;;#ASMSTART
	s_waitcnt lgkmcnt(0) vmcnt(0)
	;;#ASMEND
	s_barrier
.LBB12_917:                             ;   in Loop: Header=BB12_747 Depth=3
	s_or_b64 exec, exec, s[24:25]
	v_and_b32_e32 v2, 16, v62
.LBB12_918:                             ;   in Loop: Header=BB12_747 Depth=3
	s_or_b64 exec, exec, s[22:23]
	v_cmp_ne_u32_e32 vcc, 0, v2
	s_xor_b64 s[22:23], s[6:7], -1
	s_and_b64 s[24:25], vcc, s[22:23]
	s_and_saveexec_b64 s[22:23], s[24:25]
	s_cbranch_execz .LBB12_920
; %bb.919:                              ;   in Loop: Header=BB12_747 Depth=3
	flat_store_dword v[36:37], v31 sc0 sc1
.LBB12_920:                             ;   in Loop: Header=BB12_747 Depth=3
	s_or_b64 exec, exec, s[22:23]
	v_and_b32_e32 v0, 48, v62
	v_cmp_ne_u32_e32 vcc, 0, v0
	s_and_saveexec_b64 s[22:23], vcc
	s_cbranch_execz .LBB12_746
; %bb.921:                              ;   in Loop: Header=BB12_747 Depth=3
	v_lshl_add_u64 v[40:41], v[40:41], 0, 2
	flat_store_dwordx2 v[42:43], v[40:41] sc0 sc1
	s_branch .LBB12_746
.LBB12_922:                             ;   in Loop: Header=BB12_744 Depth=2
	s_or_b64 exec, exec, s[54:55]
.LBB12_923:                             ;   in Loop: Header=BB12_744 Depth=2
	s_or_b64 exec, exec, s[28:29]
	v_cmp_gt_i32_e32 vcc, 2, v2
	s_and_saveexec_b64 s[24:25], vcc
	s_cbranch_execz .LBB12_997
; %bb.924:                              ;   in Loop: Header=BB12_744 Depth=2
	v_cmp_eq_u32_e64 s[22:23], 0, v2
	s_mov_b64 s[26:27], 0
	s_branch .LBB12_926
.LBB12_925:                             ;   in Loop: Header=BB12_926 Depth=3
	s_or_b64 exec, exec, s[22:23]
	v_add_u32_e32 v46, v54, v46
	s_mov_b64 s[22:23], 0
	s_andn2_b64 exec, exec, s[26:27]
	s_cbranch_execz .LBB12_996
.LBB12_926:                             ;   Parent Loop BB12_47 Depth=1
                                        ;     Parent Loop BB12_744 Depth=2
                                        ; =>    This Loop Header: Depth=3
                                        ;         Child Loop BB12_932 Depth 4
                                        ;         Child Loop BB12_962 Depth 4
	;; [unrolled: 1-line block ×3, first 2 shown]
	v_and_b32_e32 v0, 12, v62
	s_mov_b64 s[54:55], -1
	v_cmp_ne_u32_e32 vcc, 0, v0
	s_and_saveexec_b64 s[28:29], vcc
	s_cbranch_execz .LBB12_938
; %bb.927:                              ;   in Loop: Header=BB12_926 Depth=3
	v_and_b32_e32 v2, 8, v62
	v_lshl_add_u64 v[6:7], v[56:57], 0, v[2:3]
	v_lshl_add_u64 v[4:5], v[40:41], 0, 2
	v_cmp_lt_u64_e32 vcc, v[6:7], v[4:5]
	v_mov_b32_e32 v6, 1
	s_and_saveexec_b64 s[54:55], vcc
	s_cbranch_execz .LBB12_937
; %bb.928:                              ;   in Loop: Header=BB12_926 Depth=3
	s_mov_b64 s[56:57], 0
	v_mov_b32_e32 v6, 0
                                        ; implicit-def: $sgpr58_sgpr59
	s_branch .LBB12_932
.LBB12_929:                             ;   in Loop: Header=BB12_932 Depth=4
	s_or_b64 exec, exec, s[66:67]
	v_mov_b32_e32 v7, 0
	s_orn2_b64 s[64:65], s[64:65], exec
.LBB12_930:                             ;   in Loop: Header=BB12_932 Depth=4
	s_or_b64 exec, exec, s[62:63]
	s_andn2_b64 vcc, s[58:59], exec
	s_and_b64 s[58:59], s[64:65], exec
	s_or_b64 s[58:59], vcc, s[58:59]
	v_mov_b32_e32 v6, v7
.LBB12_931:                             ;   in Loop: Header=BB12_932 Depth=4
	s_or_b64 exec, exec, s[60:61]
	s_waitcnt vmcnt(0) lgkmcnt(0)
	v_lshl_add_u64 v[8:9], v[56:57], 0, v[2:3]
	v_cmp_ge_u64_e32 vcc, v[8:9], v[4:5]
	s_xor_b64 s[60:61], s[58:59], -1
	s_or_b64 vcc, s[60:61], vcc
	s_and_b64 vcc, exec, vcc
	s_or_b64 s[56:57], vcc, s[56:57]
	s_andn2_b64 exec, exec, s[56:57]
	s_cbranch_execz .LBB12_936
.LBB12_932:                             ;   Parent Loop BB12_47 Depth=1
                                        ;     Parent Loop BB12_744 Depth=2
                                        ;       Parent Loop BB12_926 Depth=3
                                        ; =>      This Inner Loop Header: Depth=4
	s_sleep 1
	flat_load_dwordx2 v[56:57], v[42:43] sc0 sc1
	v_and_b32_e32 v0, 64, v62
	v_cmp_eq_u32_e32 vcc, 0, v0
	s_andn2_b64 s[58:59], s[58:59], exec
	s_and_saveexec_b64 s[60:61], vcc
	s_cbranch_execz .LBB12_931
; %bb.933:                              ;   in Loop: Header=BB12_932 Depth=4
	v_add_u32_e32 v7, 1, v6
	v_cmp_lt_i32_e32 vcc, s82, v6
	s_mov_b64 s[64:65], -1
	s_and_saveexec_b64 s[62:63], vcc
	s_cbranch_execz .LBB12_930
; %bb.934:                              ;   in Loop: Header=BB12_932 Depth=4
	s_trap 2
	ds_read_b64 v[6:7], v0
	s_waitcnt vmcnt(0) lgkmcnt(0)
	flat_load_dword v6, v[6:7] sc0 sc1
	s_waitcnt vmcnt(0) lgkmcnt(0)
	buffer_inv sc0 sc1
	v_cmp_ne_u32_e32 vcc, 0, v6
	s_and_saveexec_b64 s[66:67], vcc
	s_cbranch_execz .LBB12_929
; %bb.935:                              ;   in Loop: Header=BB12_932 Depth=4
	v_or_b32_e32 v62, 64, v62
	s_xor_b64 s[64:65], exec, -1
	ds_write_b32 v0, v6
	s_trap 2
	s_branch .LBB12_929
.LBB12_936:                             ;   in Loop: Header=BB12_926 Depth=3
	s_or_b64 exec, exec, s[56:57]
	v_and_b32_e32 v6, 12, v62
.LBB12_937:                             ;   in Loop: Header=BB12_926 Depth=3
	s_or_b64 exec, exec, s[54:55]
	v_cmp_eq_u32_e32 vcc, 0, v6
	s_orn2_b64 s[54:55], vcc, exec
	;;#ASMSTART
	s_wakeup
	;;#ASMEND
.LBB12_938:                             ;   in Loop: Header=BB12_926 Depth=3
	s_or_b64 exec, exec, s[28:29]
	s_xor_b64 s[22:23], s[22:23], -1
	s_and_b64 s[22:23], exec, s[22:23]
	s_or_b64 s[26:27], s[22:23], s[26:27]
	v_sub_u32_e32 v0, v60, v46
	s_xor_b64 s[22:23], s[54:55], -1
	v_min_i32_e32 v54, v54, v0
	s_and_saveexec_b64 s[28:29], s[22:23]
	s_cbranch_execz .LBB12_954
; %bb.939:                              ;   in Loop: Header=BB12_926 Depth=3
	v_and_b32_e32 v0, 0x108, v62
	v_cmp_ne_u32_e32 vcc, s83, v0
	v_and_b32_e32 v2, 7, v40
	s_and_saveexec_b64 s[22:23], vcc
	s_xor_b64 s[22:23], exec, s[22:23]
	s_andn2_saveexec_b64 s[22:23], s[22:23]
	s_cbranch_execz .LBB12_941
; %bb.940:                              ;   in Loop: Header=BB12_926 Depth=3
	v_ashrrev_i32_e32 v55, 31, v54
	v_mad_u64_u32 v[4:5], vcc, v2, 24, v[48:49]
	v_lshlrev_b64 v[6:7], 1, v[54:55]
	flat_store_dwordx2 v[4:5], v[6:7] offset:8
.LBB12_941:                             ;   in Loop: Header=BB12_926 Depth=3
	s_or_b64 exec, exec, s[22:23]
	v_and_b32_e32 v0, 0x100, v62
	v_cmp_ne_u32_e32 vcc, 0, v0
	s_mov_b64 s[22:23], -1
                                        ; implicit-def: $vgpr4_vgpr5
	s_and_saveexec_b64 s[54:55], vcc
	s_cbranch_execz .LBB12_945
; %bb.942:                              ;   in Loop: Header=BB12_926 Depth=3
	v_mad_u64_u32 v[6:7], s[22:23], v2, 24, v[48:49]
	v_mov_b32_e32 v4, v7
	v_mad_u64_u32 v[4:5], s[22:23], v3, 24, v[4:5]
	v_mov_b32_e32 v7, v4
	flat_load_dword v0, v[6:7]
                                        ; implicit-def: $vgpr4_vgpr5
	s_waitcnt vmcnt(0) lgkmcnt(0)
	v_cmp_ne_u32_e32 vcc, 1, v0
	v_cmp_eq_u32_e64 s[22:23], 1, v0
	s_and_saveexec_b64 s[56:57], s[22:23]
	s_cbranch_execz .LBB12_944
; %bb.943:                              ;   in Loop: Header=BB12_926 Depth=3
	flat_load_dword v4, v[6:7] offset:4 sc0 sc1
	s_waitcnt vmcnt(0) lgkmcnt(0)
	v_ashrrev_i32_e32 v5, 31, v4
	v_lshrrev_b64 v[4:5], 1, v[4:5]
.LBB12_944:                             ;   in Loop: Header=BB12_926 Depth=3
	s_or_b64 exec, exec, s[56:57]
	s_orn2_b64 s[22:23], vcc, exec
.LBB12_945:                             ;   in Loop: Header=BB12_926 Depth=3
	s_or_b64 exec, exec, s[54:55]
	s_and_saveexec_b64 vcc, s[22:23]
; %bb.946:                              ;   in Loop: Header=BB12_926 Depth=3
	v_mul_lo_u32 v0, v3, v44
	v_mul_lo_u32 v1, v2, v51
	v_mad_u64_u32 v[4:5], s[22:23], v2, v44, 0
	v_add3_u32 v5, v5, v1, v0
; %bb.947:                              ;   in Loop: Header=BB12_926 Depth=3
	s_or_b64 exec, exec, vcc
	v_lshl_add_u64 v[4:5], v[4:5], 1, v[38:39]
	s_trap 2
	ds_write_b64 v0, v[4:5]
	v_and_b32_e32 v0, 0x2000, v62
	v_cmp_ne_u32_e32 vcc, 0, v0
	s_and_saveexec_b64 s[22:23], vcc
	s_cbranch_execz .LBB12_949
; %bb.948:                              ;   in Loop: Header=BB12_926 Depth=3
	ds_read_b64 v[4:5], v0 offset:584
	s_waitcnt lgkmcnt(0)
	v_lshl_add_u64 v[4:5], v[4:5], 0, 1
	ds_write_b64 v0, v[4:5] offset:584
.LBB12_949:                             ;   in Loop: Header=BB12_926 Depth=3
	s_or_b64 exec, exec, s[22:23]
	v_lshl_add_u64 v[40:41], v[40:41], 0, 2
	s_or_b64 exec, exec, s[28:29]
	s_and_saveexec_b64 s[22:23], s[4:5]
	s_cbranch_execnz .LBB12_955
.LBB12_950:                             ;   in Loop: Header=BB12_926 Depth=3
	s_or_b64 exec, exec, s[22:23]
                                        ; implicit-def: $vgpr2
	s_and_saveexec_b64 s[22:23], s[20:21]
	s_xor_b64 s[22:23], exec, s[22:23]
	s_cbranch_execz .LBB12_973
.LBB12_951:                             ;   in Loop: Header=BB12_926 Depth=3
	s_trap 2
	ds_read_b32 v0, v0
	v_cmp_lt_i32_e32 vcc, 0, v54
	v_and_b32_e32 v1, 16, v62
	v_and_b32_e32 v2, 16, v62
	s_waitcnt lgkmcnt(0)
	v_readfirstlane_b32 s28, v0
	s_cmp_eq_u32 s28, 0
	s_cselect_b64 s[28:29], -1, 0
	s_and_b64 s[28:29], vcc, s[28:29]
	v_cmp_ne_u32_e32 vcc, 0, v1
	s_and_b64 vcc, vcc, s[28:29]
	s_and_saveexec_b64 s[28:29], vcc
	s_cbranch_execz .LBB12_953
; %bb.952:                              ;   in Loop: Header=BB12_926 Depth=3
	v_mov_b32_e32 v2, 1
	buffer_wbl2 sc1
	s_waitcnt vmcnt(0)
	buffer_inv sc1
.LBB12_953:                             ;   in Loop: Header=BB12_926 Depth=3
	s_or_b64 exec, exec, s[28:29]
	s_andn2_saveexec_b64 s[22:23], s[22:23]
	s_cbranch_execz .LBB12_992
	s_branch .LBB12_974
.LBB12_954:                             ;   in Loop: Header=BB12_926 Depth=3
	s_or_b64 exec, exec, s[28:29]
	s_and_saveexec_b64 s[22:23], s[4:5]
	s_cbranch_execz .LBB12_950
.LBB12_955:                             ;   in Loop: Header=BB12_926 Depth=3
	s_and_saveexec_b64 s[28:29], s[38:39]
	s_xor_b64 s[28:29], exec, s[28:29]
	s_cbranch_execz .LBB12_970
; %bb.956:                              ;   in Loop: Header=BB12_926 Depth=3
	s_and_saveexec_b64 s[54:55], s[12:13]
	s_cbranch_execz .LBB12_969
; %bb.957:                              ;   in Loop: Header=BB12_926 Depth=3
	s_mov_b64 s[58:59], exec
	v_mbcnt_lo_u32_b32 v0, s58, 0
	v_mbcnt_hi_u32_b32 v0, s59, v0
	v_cmp_eq_u32_e32 vcc, 0, v0
	s_waitcnt lgkmcnt(0)
	s_and_saveexec_b64 s[56:57], vcc
	s_cbranch_execz .LBB12_959
; %bb.958:                              ;   in Loop: Header=BB12_926 Depth=3
	s_bcnt1_i32_b64 vcc_lo, s[58:59]
	v_mov_b32_e32 v2, vcc_lo
	ds_add_u64 v0, v[2:3]
	s_trap 2
.LBB12_959:                             ;   in Loop: Header=BB12_926 Depth=3
	s_or_b64 exec, exec, s[56:57]
	s_trap 2
	ds_read_b64 v[4:5], v0
	v_lshl_add_u64 v[32:33], v[32:33], 0, v[52:53]
	s_waitcnt lgkmcnt(0)
	v_cmp_lt_u64_e32 vcc, v[4:5], v[32:33]
	s_and_saveexec_b64 s[56:57], vcc
	s_cbranch_execz .LBB12_968
; %bb.960:                              ;   in Loop: Header=BB12_926 Depth=3
	s_mov_b32 s68, 0
	s_mov_b64 s[58:59], 0
                                        ; implicit-def: $sgpr60_sgpr61
                                        ; implicit-def: $sgpr62_sgpr63
	s_branch .LBB12_962
.LBB12_961:                             ;   in Loop: Header=BB12_962 Depth=4
	s_or_b64 exec, exec, s[66:67]
	s_and_b64 vcc, exec, vcc
	s_or_b64 s[58:59], vcc, s[58:59]
	s_andn2_b64 vcc, s[60:61], exec
	s_and_b64 s[60:61], s[62:63], exec
	s_or_b64 s[60:61], vcc, s[60:61]
	s_andn2_b64 exec, exec, s[58:59]
	s_cbranch_execz .LBB12_966
.LBB12_962:                             ;   Parent Loop BB12_47 Depth=1
                                        ;     Parent Loop BB12_744 Depth=2
                                        ;       Parent Loop BB12_926 Depth=3
                                        ; =>      This Inner Loop Header: Depth=4
	s_add_i32 s68, s68, 1
	s_cmpk_lg_i32 s68, 0x2710
	s_cselect_b64 s[64:65], -1, 0
	s_and_b64 vcc, exec, s[64:65]
                                        ; implicit-def: $sgpr66_sgpr67
	s_cbranch_vccnz .LBB12_964
; %bb.963:                              ;   in Loop: Header=BB12_962 Depth=4
	s_trap 2
	ds_read_b64 v[4:5], v0
	s_andn2_b64 s[64:65], s[64:65], exec
	s_mov_b32 s68, 0
	s_mov_b64 s[66:67], -1
	s_waitcnt vmcnt(0) lgkmcnt(0)
	flat_load_dword v0, v[4:5] sc0 sc1
	s_waitcnt vmcnt(0) lgkmcnt(0)
	buffer_inv sc0 sc1
	v_cmp_eq_u32_e32 vcc, 0, v0
	s_and_b64 vcc, vcc, exec
	s_or_b64 s[64:65], s[64:65], vcc
.LBB12_964:                             ;   in Loop: Header=BB12_962 Depth=4
	s_andn2_b64 s[62:63], s[62:63], exec
	s_and_b64 s[66:67], s[66:67], exec
	s_mov_b64 vcc, -1
	s_or_b64 s[62:63], s[62:63], s[66:67]
	s_and_saveexec_b64 s[66:67], s[64:65]
	s_cbranch_execz .LBB12_961
; %bb.965:                              ;   in Loop: Header=BB12_962 Depth=4
	s_sleep 1
	s_trap 2
	ds_read_b64 v[4:5], v0
	s_andn2_b64 s[62:63], s[62:63], exec
	s_waitcnt lgkmcnt(0)
	v_cmp_ge_u64_e32 vcc, v[4:5], v[32:33]
	s_orn2_b64 vcc, vcc, exec
	s_branch .LBB12_961
.LBB12_966:                             ;   in Loop: Header=BB12_926 Depth=3
	s_or_b64 exec, exec, s[58:59]
	s_and_saveexec_b64 vcc, s[60:61]
	s_xor_b64 vcc, exec, vcc
	s_cbranch_execz .LBB12_968
; %bb.967:                              ;   in Loop: Header=BB12_926 Depth=3
	ds_write_b32 v0, v31
	s_trap 2
.LBB12_968:                             ;   in Loop: Header=BB12_926 Depth=3
	s_or_b64 exec, exec, s[56:57]
	;;#ASMSTART
	s_wakeup
	;;#ASMEND
.LBB12_969:                             ;   in Loop: Header=BB12_926 Depth=3
	s_or_b64 exec, exec, s[54:55]
.LBB12_970:                             ;   in Loop: Header=BB12_926 Depth=3
	s_andn2_saveexec_b64 s[28:29], s[28:29]
	s_cbranch_execz .LBB12_972
; %bb.971:                              ;   in Loop: Header=BB12_926 Depth=3
	s_waitcnt lgkmcnt(0)
	s_barrier
.LBB12_972:                             ;   in Loop: Header=BB12_926 Depth=3
	s_or_b64 exec, exec, s[28:29]
	s_or_b64 exec, exec, s[22:23]
                                        ; implicit-def: $vgpr2
	s_and_saveexec_b64 s[22:23], s[20:21]
	s_xor_b64 s[22:23], exec, s[22:23]
	s_cbranch_execnz .LBB12_951
.LBB12_973:                             ;   in Loop: Header=BB12_926 Depth=3
	s_andn2_saveexec_b64 s[22:23], s[22:23]
	s_cbranch_execz .LBB12_992
.LBB12_974:                             ;   in Loop: Header=BB12_926 Depth=3
	s_and_saveexec_b64 s[28:29], s[38:39]
	s_xor_b64 s[28:29], exec, s[28:29]
	s_cbranch_execz .LBB12_989
; %bb.975:                              ;   in Loop: Header=BB12_926 Depth=3
	s_and_saveexec_b64 s[54:55], s[12:13]
	s_cbranch_execz .LBB12_988
; %bb.976:                              ;   in Loop: Header=BB12_926 Depth=3
	s_mov_b64 s[58:59], exec
	v_mbcnt_lo_u32_b32 v0, s58, 0
	v_mbcnt_hi_u32_b32 v0, s59, v0
	v_cmp_eq_u32_e32 vcc, 0, v0
	;;#ASMSTART
	s_waitcnt lgkmcnt(0) vmcnt(0)
	;;#ASMEND
	s_and_saveexec_b64 s[56:57], vcc
	s_cbranch_execz .LBB12_978
; %bb.977:                              ;   in Loop: Header=BB12_926 Depth=3
	s_bcnt1_i32_b64 vcc_lo, s[58:59]
	v_mov_b32_e32 v2, vcc_lo
	ds_add_u64 v0, v[2:3]
	s_trap 2
.LBB12_978:                             ;   in Loop: Header=BB12_926 Depth=3
	s_or_b64 exec, exec, s[56:57]
	s_trap 2
	ds_read_b64 v[4:5], v0
	v_lshl_add_u64 v[32:33], v[32:33], 0, v[52:53]
	s_waitcnt lgkmcnt(0)
	v_cmp_lt_u64_e32 vcc, v[4:5], v[32:33]
	s_and_saveexec_b64 s[56:57], vcc
	s_cbranch_execz .LBB12_987
; %bb.979:                              ;   in Loop: Header=BB12_926 Depth=3
	s_mov_b32 s68, 0
	s_mov_b64 s[58:59], 0
                                        ; implicit-def: $sgpr60_sgpr61
                                        ; implicit-def: $sgpr62_sgpr63
	s_branch .LBB12_981
.LBB12_980:                             ;   in Loop: Header=BB12_981 Depth=4
	s_or_b64 exec, exec, s[66:67]
	s_and_b64 vcc, exec, vcc
	s_or_b64 s[58:59], vcc, s[58:59]
	s_andn2_b64 vcc, s[60:61], exec
	s_and_b64 s[60:61], s[62:63], exec
	s_or_b64 s[60:61], vcc, s[60:61]
	s_andn2_b64 exec, exec, s[58:59]
	s_cbranch_execz .LBB12_985
.LBB12_981:                             ;   Parent Loop BB12_47 Depth=1
                                        ;     Parent Loop BB12_744 Depth=2
                                        ;       Parent Loop BB12_926 Depth=3
                                        ; =>      This Inner Loop Header: Depth=4
	s_add_i32 s68, s68, 1
	s_cmpk_lg_i32 s68, 0x2710
	s_cselect_b64 s[64:65], -1, 0
	s_and_b64 vcc, exec, s[64:65]
                                        ; implicit-def: $sgpr66_sgpr67
	s_cbranch_vccnz .LBB12_983
; %bb.982:                              ;   in Loop: Header=BB12_981 Depth=4
	s_trap 2
	ds_read_b64 v[4:5], v0
	s_andn2_b64 s[64:65], s[64:65], exec
	s_mov_b32 s68, 0
	s_mov_b64 s[66:67], -1
	s_waitcnt vmcnt(0) lgkmcnt(0)
	flat_load_dword v0, v[4:5] sc0 sc1
	s_waitcnt vmcnt(0) lgkmcnt(0)
	buffer_inv sc0 sc1
	v_cmp_eq_u32_e32 vcc, 0, v0
	s_and_b64 vcc, vcc, exec
	s_or_b64 s[64:65], s[64:65], vcc
.LBB12_983:                             ;   in Loop: Header=BB12_981 Depth=4
	s_andn2_b64 s[62:63], s[62:63], exec
	s_and_b64 s[66:67], s[66:67], exec
	s_mov_b64 vcc, -1
	s_or_b64 s[62:63], s[62:63], s[66:67]
	s_and_saveexec_b64 s[66:67], s[64:65]
	s_cbranch_execz .LBB12_980
; %bb.984:                              ;   in Loop: Header=BB12_981 Depth=4
	s_sleep 1
	s_trap 2
	ds_read_b64 v[4:5], v0
	s_andn2_b64 s[62:63], s[62:63], exec
	s_waitcnt lgkmcnt(0)
	v_cmp_ge_u64_e32 vcc, v[4:5], v[32:33]
	s_orn2_b64 vcc, vcc, exec
	s_branch .LBB12_980
.LBB12_985:                             ;   in Loop: Header=BB12_926 Depth=3
	s_or_b64 exec, exec, s[58:59]
	s_and_saveexec_b64 vcc, s[60:61]
	s_xor_b64 vcc, exec, vcc
	s_cbranch_execz .LBB12_987
; %bb.986:                              ;   in Loop: Header=BB12_926 Depth=3
	ds_write_b32 v0, v31
	s_trap 2
.LBB12_987:                             ;   in Loop: Header=BB12_926 Depth=3
	s_or_b64 exec, exec, s[56:57]
	;;#ASMSTART
	s_wakeup
	;;#ASMEND
.LBB12_988:                             ;   in Loop: Header=BB12_926 Depth=3
	s_or_b64 exec, exec, s[54:55]
.LBB12_989:                             ;   in Loop: Header=BB12_926 Depth=3
	s_andn2_saveexec_b64 s[28:29], s[28:29]
	s_cbranch_execz .LBB12_991
; %bb.990:                              ;   in Loop: Header=BB12_926 Depth=3
	;;#ASMSTART
	s_waitcnt lgkmcnt(0) vmcnt(0)
	;;#ASMEND
	s_barrier
.LBB12_991:                             ;   in Loop: Header=BB12_926 Depth=3
	s_or_b64 exec, exec, s[28:29]
	v_and_b32_e32 v2, 16, v62
.LBB12_992:                             ;   in Loop: Header=BB12_926 Depth=3
	s_or_b64 exec, exec, s[22:23]
	v_cmp_ne_u32_e32 vcc, 0, v2
	s_xor_b64 s[22:23], s[6:7], -1
	s_and_b64 s[28:29], vcc, s[22:23]
	s_and_saveexec_b64 s[22:23], s[28:29]
	s_cbranch_execz .LBB12_994
; %bb.993:                              ;   in Loop: Header=BB12_926 Depth=3
	flat_store_dword v[36:37], v31 sc0 sc1
.LBB12_994:                             ;   in Loop: Header=BB12_926 Depth=3
	s_or_b64 exec, exec, s[22:23]
	v_and_b32_e32 v0, 48, v62
	v_cmp_ne_u32_e32 vcc, 0, v0
	s_and_saveexec_b64 s[22:23], vcc
	s_cbranch_execz .LBB12_925
; %bb.995:                              ;   in Loop: Header=BB12_926 Depth=3
	v_lshl_add_u64 v[40:41], v[40:41], 0, 2
	flat_store_dwordx2 v[42:43], v[40:41] sc0 sc1
	s_branch .LBB12_925
.LBB12_996:                             ;   in Loop: Header=BB12_744 Depth=2
	s_or_b64 exec, exec, s[26:27]
.LBB12_997:                             ;   in Loop: Header=BB12_744 Depth=2
	s_or_b64 exec, exec, s[24:25]
	v_accvgpr_write_b32 a3, v47
	s_add_i32 s22, s70, 1
	v_accvgpr_read_b32 v47, a23
	s_cmp_eq_u32 s70, s79
	v_accvgpr_read_b32 v46, a22
	s_cbranch_scc1 .LBB12_999
; %bb.998:                              ;   in Loop: Header=BB12_744 Depth=2
	s_mov_b32 s70, s22
	s_branch .LBB12_744
.LBB12_999:                             ;   in Loop: Header=BB12_47 Depth=1
	v_accvgpr_read_b32 v55, a33
	v_accvgpr_read_b32 v54, a32
.LBB12_1000:                            ;   in Loop: Header=BB12_47 Depth=1
	v_accvgpr_read_b32 v8, a44
	v_accvgpr_read_b32 v9, a45
	v_mul_lo_u32 v0, v9, s80
	v_mul_lo_u32 v1, v8, s81
	v_mad_u64_u32 v[4:5], s[22:23], v8, s80, 0
	v_add3_u32 v5, v5, v1, v0
	v_accvgpr_read_b32 v0, a46
	v_accvgpr_read_b32 v1, a47
	s_waitcnt lgkmcnt(0)
	v_sub_co_u32_e32 v6, vcc, v0, v4
	v_mov_b32_e32 v24, 0
	s_nop 0
	v_subb_co_u32_e32 v7, vcc, v1, v5, vcc
	v_cmp_lt_i64_e32 vcc, v[8:9], v[6:7]
	s_nop 1
	v_cndmask_b32_e32 v0, v6, v8, vcc
	v_max_i32_e32 v6, 0, v0
	v_add_u32_e32 v1, 31, v6
	v_ashrrev_i32_e32 v2, 31, v1
	v_lshrrev_b32_e32 v2, 27, v2
	v_add_u32_e32 v1, v1, v2
	v_ashrrev_i32_e32 v1, 5, v1
	v_lshlrev_b32_e32 v1, 4, v1
	v_cmp_lt_i32_e32 vcc, 0, v0
	v_max_i32_e32 v22, s78, v1
	s_and_b64 s[22:23], s[50:51], vcc
	v_mov_b32_e32 v2, 0
	s_and_saveexec_b64 s[24:25], s[22:23]
	s_cbranch_execz .LBB12_1140
; %bb.1001:                             ;   in Loop: Header=BB12_47 Depth=1
	v_accvgpr_read_b32 v0, a48
	v_accvgpr_read_b32 v1, a49
	v_lshl_add_u64 v[4:5], v[4:5], 0, v[0:1]
	v_lshlrev_b64 v[0:1], 1, v[4:5]
	v_accvgpr_write_b32 a49, v1
	s_mov_b32 s70, 1
	s_mov_b64 s[28:29], -1
	s_mov_b64 s[26:27], 0
	v_mov_b32_e32 v24, 0
	v_accvgpr_write_b32 a48, v0
	v_accvgpr_write_b32 a24, v6
	s_branch .LBB12_1003
.LBB12_1002:                            ;   in Loop: Header=BB12_1003 Depth=2
	s_or_b64 exec, exec, s[22:23]
	v_add_u32_e32 v24, v22, v24
	v_cmp_ge_i32_e32 vcc, v24, v6
	s_xor_b64 s[22:23], s[28:29], -1
	s_or_b64 s[22:23], s[22:23], vcc
	s_and_b64 s[22:23], exec, s[22:23]
	s_or_b64 s[26:27], s[22:23], s[26:27]
	s_mov_b64 s[28:29], 0
	v_mov_b32_e32 v2, s70
	s_mov_b32 s70, 2
	s_andn2_b64 exec, exec, s[26:27]
	s_cbranch_execz .LBB12_1139
.LBB12_1003:                            ;   Parent Loop BB12_47 Depth=1
                                        ; =>  This Loop Header: Depth=2
                                        ;       Child Loop BB12_1011 Depth 3
                                        ;       Child Loop BB12_1035 Depth 3
	;; [unrolled: 1-line block ×9, first 2 shown]
	s_and_saveexec_b64 s[22:23], s[0:1]
	s_cbranch_execz .LBB12_1005
; %bb.1004:                             ;   in Loop: Header=BB12_1003 Depth=2
	s_trap 2
	ds_read_b128 v[8:11], v0
	v_accvgpr_read_b32 v0, a48
	v_ashrrev_i32_e32 v25, 31, v24
	v_accvgpr_read_b32 v1, a49
	v_lshlrev_b64 v[4:5], 1, v[24:25]
	s_waitcnt lgkmcnt(0)
	v_lshl_add_u64 v[8:9], v[8:9], 0, v[0:1]
	v_lshl_add_u64 v[12:13], v[10:11], 0, v[0:1]
	;; [unrolled: 1-line block ×4, first 2 shown]
	v_cmp_ne_u64_e32 vcc, 0, v[10:11]
	ds_write_b64 v0, v[8:9]
	s_nop 0
	v_cndmask_b32_e32 v5, 0, v5, vcc
	v_cndmask_b32_e32 v4, 0, v4, vcc
	ds_write_b64 v0, v[4:5]
.LBB12_1005:                            ;   in Loop: Header=BB12_1003 Depth=2
	s_or_b64 exec, exec, s[22:23]
	v_and_b32_e32 v0, 4, v62
	v_cmp_ne_u32_e32 vcc, 0, v0
	s_mov_b64 s[54:55], -1
	s_and_saveexec_b64 s[22:23], vcc
	s_cbranch_execz .LBB12_1015
; %bb.1006:                             ;   in Loop: Header=BB12_1003 Depth=2
	v_lshl_add_u64 v[4:5], v[40:41], 0, 2
	v_cmp_lt_u64_e32 vcc, v[56:57], v[4:5]
	v_mov_b32_e32 v2, 1
	s_and_saveexec_b64 s[54:55], vcc
	s_cbranch_execz .LBB12_1026
; %bb.1007:                             ;   in Loop: Header=BB12_1003 Depth=2
	s_mov_b64 s[56:57], 0
	v_mov_b32_e32 v2, 0
                                        ; implicit-def: $sgpr58_sgpr59
	s_branch .LBB12_1011
.LBB12_1008:                            ;   in Loop: Header=BB12_1011 Depth=3
	s_or_b64 exec, exec, s[66:67]
	v_mov_b32_e32 v7, 0
	s_orn2_b64 s[64:65], s[64:65], exec
.LBB12_1009:                            ;   in Loop: Header=BB12_1011 Depth=3
	s_or_b64 exec, exec, s[62:63]
	s_andn2_b64 vcc, s[58:59], exec
	s_and_b64 s[58:59], s[64:65], exec
	s_or_b64 s[58:59], vcc, s[58:59]
	v_mov_b32_e32 v2, v7
.LBB12_1010:                            ;   in Loop: Header=BB12_1011 Depth=3
	s_or_b64 exec, exec, s[60:61]
	s_waitcnt vmcnt(0) lgkmcnt(0)
	v_cmp_ge_u64_e32 vcc, v[56:57], v[4:5]
	s_xor_b64 s[60:61], s[58:59], -1
	s_or_b64 vcc, s[60:61], vcc
	s_and_b64 vcc, exec, vcc
	s_or_b64 s[56:57], vcc, s[56:57]
	s_andn2_b64 exec, exec, s[56:57]
	s_cbranch_execz .LBB12_1025
.LBB12_1011:                            ;   Parent Loop BB12_47 Depth=1
                                        ;     Parent Loop BB12_1003 Depth=2
                                        ; =>    This Inner Loop Header: Depth=3
	s_sleep 1
	flat_load_dwordx2 v[56:57], v[42:43] sc0 sc1
	v_and_b32_e32 v0, 64, v62
	v_cmp_eq_u32_e32 vcc, 0, v0
	s_andn2_b64 s[58:59], s[58:59], exec
	s_and_saveexec_b64 s[60:61], vcc
	s_cbranch_execz .LBB12_1010
; %bb.1012:                             ;   in Loop: Header=BB12_1011 Depth=3
	v_add_u32_e32 v7, 1, v2
	v_cmp_lt_i32_e32 vcc, s82, v2
	s_mov_b64 s[64:65], -1
	s_and_saveexec_b64 s[62:63], vcc
	s_cbranch_execz .LBB12_1009
; %bb.1013:                             ;   in Loop: Header=BB12_1011 Depth=3
	s_trap 2
	ds_read_b64 v[8:9], v0
	s_waitcnt vmcnt(0) lgkmcnt(0)
	flat_load_dword v2, v[8:9] sc0 sc1
	s_waitcnt vmcnt(0) lgkmcnt(0)
	buffer_inv sc0 sc1
	v_cmp_ne_u32_e32 vcc, 0, v2
	s_and_saveexec_b64 s[66:67], vcc
	s_cbranch_execz .LBB12_1008
; %bb.1014:                             ;   in Loop: Header=BB12_1011 Depth=3
	v_or_b32_e32 v62, 64, v62
	s_xor_b64 s[64:65], exec, -1
	ds_write_b32 v0, v2
	s_trap 2
	s_branch .LBB12_1008
.LBB12_1015:                            ;   in Loop: Header=BB12_1003 Depth=2
	s_or_b64 exec, exec, s[22:23]
	s_xor_b64 s[22:23], s[54:55], -1
	s_and_saveexec_b64 s[54:55], s[22:23]
	s_cbranch_execz .LBB12_1027
.LBB12_1016:                            ;   in Loop: Header=BB12_1003 Depth=2
	v_and_b32_e32 v0, 0x100, v62
	v_cmp_ne_u32_e32 vcc, 0, v0
	v_and_b32_e32 v2, 7, v40
	s_mov_b64 s[22:23], -1
                                        ; implicit-def: $vgpr4_vgpr5
	s_and_saveexec_b64 s[56:57], vcc
	s_cbranch_execz .LBB12_1020
; %bb.1017:                             ;   in Loop: Header=BB12_1003 Depth=2
	v_mad_u64_u32 v[8:9], s[22:23], v2, 24, v[48:49]
	flat_load_dword v0, v[8:9]
                                        ; implicit-def: $vgpr4_vgpr5
	s_waitcnt vmcnt(0) lgkmcnt(0)
	v_cmp_ne_u32_e32 vcc, 1, v0
	v_cmp_eq_u32_e64 s[22:23], 1, v0
	s_and_saveexec_b64 s[58:59], s[22:23]
	s_cbranch_execz .LBB12_1019
; %bb.1018:                             ;   in Loop: Header=BB12_1003 Depth=2
	flat_load_dword v4, v[8:9] offset:4 sc0 sc1
	s_waitcnt vmcnt(0) lgkmcnt(0)
	v_ashrrev_i32_e32 v5, 31, v4
	v_lshrrev_b64 v[4:5], 1, v[4:5]
.LBB12_1019:                            ;   in Loop: Header=BB12_1003 Depth=2
	s_or_b64 exec, exec, s[58:59]
	s_orn2_b64 s[22:23], vcc, exec
.LBB12_1020:                            ;   in Loop: Header=BB12_1003 Depth=2
	s_or_b64 exec, exec, s[56:57]
	s_and_saveexec_b64 vcc, s[22:23]
; %bb.1021:                             ;   in Loop: Header=BB12_1003 Depth=2
	v_mad_i64_i32 v[4:5], s[22:23], v2, v44, 0
; %bb.1022:                             ;   in Loop: Header=BB12_1003 Depth=2
	s_or_b64 exec, exec, vcc
	v_lshl_add_u64 v[4:5], v[4:5], 1, v[38:39]
	ds_write_b64 v0, v[4:5] offset:720
	v_and_b32_e32 v0, 0x2000, v62
	v_cmp_ne_u32_e32 vcc, 0, v0
	s_and_saveexec_b64 s[22:23], vcc
	s_cbranch_execz .LBB12_1024
; %bb.1023:                             ;   in Loop: Header=BB12_1003 Depth=2
	ds_read_b64 v[4:5], v0 offset:584
	s_waitcnt lgkmcnt(0)
	v_lshl_add_u64 v[4:5], v[4:5], 0, 1
	ds_write_b64 v0, v[4:5] offset:584
.LBB12_1024:                            ;   in Loop: Header=BB12_1003 Depth=2
	s_or_b64 exec, exec, s[22:23]
	v_lshl_add_u64 v[40:41], v[40:41], 0, 2
	s_or_b64 exec, exec, s[54:55]
	s_and_saveexec_b64 s[22:23], s[4:5]
	s_cbranch_execz .LBB12_1046
	s_branch .LBB12_1028
.LBB12_1025:                            ;   in Loop: Header=BB12_1003 Depth=2
	s_or_b64 exec, exec, s[56:57]
	v_and_b32_e32 v2, 4, v62
.LBB12_1026:                            ;   in Loop: Header=BB12_1003 Depth=2
	s_or_b64 exec, exec, s[54:55]
	v_cmp_eq_u32_e32 vcc, 0, v2
	s_orn2_b64 s[54:55], vcc, exec
	;;#ASMSTART
	s_wakeup
	;;#ASMEND
	s_or_b64 exec, exec, s[22:23]
	s_xor_b64 s[22:23], s[54:55], -1
	s_and_saveexec_b64 s[54:55], s[22:23]
	s_cbranch_execnz .LBB12_1016
.LBB12_1027:                            ;   in Loop: Header=BB12_1003 Depth=2
	s_or_b64 exec, exec, s[54:55]
	s_and_saveexec_b64 s[22:23], s[4:5]
	s_cbranch_execz .LBB12_1046
.LBB12_1028:                            ;   in Loop: Header=BB12_1003 Depth=2
	s_and_saveexec_b64 vcc, s[38:39]
	s_xor_b64 s[54:55], exec, vcc
	s_cbranch_execz .LBB12_1043
; %bb.1029:                             ;   in Loop: Header=BB12_1003 Depth=2
	s_and_saveexec_b64 s[56:57], s[12:13]
	s_cbranch_execz .LBB12_1042
; %bb.1030:                             ;   in Loop: Header=BB12_1003 Depth=2
	s_mov_b64 s[60:61], exec
	v_mbcnt_lo_u32_b32 v0, s60, 0
	v_mbcnt_hi_u32_b32 v0, s61, v0
	v_cmp_eq_u32_e32 vcc, 0, v0
	s_waitcnt lgkmcnt(0)
	s_and_saveexec_b64 s[58:59], vcc
	s_cbranch_execz .LBB12_1032
; %bb.1031:                             ;   in Loop: Header=BB12_1003 Depth=2
	s_bcnt1_i32_b64 vcc_lo, s[60:61]
	v_mov_b32_e32 v2, vcc_lo
	ds_add_u64 v0, v[2:3]
	s_trap 2
.LBB12_1032:                            ;   in Loop: Header=BB12_1003 Depth=2
	s_or_b64 exec, exec, s[58:59]
	s_trap 2
	ds_read_b64 v[4:5], v0
	v_lshl_add_u64 v[32:33], v[32:33], 0, v[52:53]
	s_waitcnt lgkmcnt(0)
	v_cmp_lt_u64_e32 vcc, v[4:5], v[32:33]
	s_and_saveexec_b64 s[58:59], vcc
	s_cbranch_execz .LBB12_1041
; %bb.1033:                             ;   in Loop: Header=BB12_1003 Depth=2
	s_mov_b32 s71, 0
	s_mov_b64 s[60:61], 0
                                        ; implicit-def: $sgpr62_sgpr63
                                        ; implicit-def: $sgpr64_sgpr65
	s_branch .LBB12_1035
.LBB12_1034:                            ;   in Loop: Header=BB12_1035 Depth=3
	s_or_b64 exec, exec, s[68:69]
	s_and_b64 vcc, exec, vcc
	s_or_b64 s[60:61], vcc, s[60:61]
	s_andn2_b64 vcc, s[62:63], exec
	s_and_b64 s[62:63], s[64:65], exec
	s_or_b64 s[62:63], vcc, s[62:63]
	s_andn2_b64 exec, exec, s[60:61]
	s_cbranch_execz .LBB12_1039
.LBB12_1035:                            ;   Parent Loop BB12_47 Depth=1
                                        ;     Parent Loop BB12_1003 Depth=2
                                        ; =>    This Inner Loop Header: Depth=3
	s_add_i32 s71, s71, 1
	s_cmpk_lg_i32 s71, 0x2710
	s_cselect_b64 s[66:67], -1, 0
	s_and_b64 vcc, exec, s[66:67]
                                        ; implicit-def: $sgpr68_sgpr69
	s_cbranch_vccnz .LBB12_1037
; %bb.1036:                             ;   in Loop: Header=BB12_1035 Depth=3
	s_trap 2
	ds_read_b64 v[4:5], v0
	s_andn2_b64 s[66:67], s[66:67], exec
	s_mov_b32 s71, 0
	s_mov_b64 s[68:69], -1
	s_waitcnt vmcnt(0) lgkmcnt(0)
	flat_load_dword v0, v[4:5] sc0 sc1
	s_waitcnt vmcnt(0) lgkmcnt(0)
	buffer_inv sc0 sc1
	v_cmp_eq_u32_e32 vcc, 0, v0
	s_and_b64 vcc, vcc, exec
	s_or_b64 s[66:67], s[66:67], vcc
.LBB12_1037:                            ;   in Loop: Header=BB12_1035 Depth=3
	s_andn2_b64 s[64:65], s[64:65], exec
	s_and_b64 s[68:69], s[68:69], exec
	s_mov_b64 vcc, -1
	s_or_b64 s[64:65], s[64:65], s[68:69]
	s_and_saveexec_b64 s[68:69], s[66:67]
	s_cbranch_execz .LBB12_1034
; %bb.1038:                             ;   in Loop: Header=BB12_1035 Depth=3
	s_sleep 1
	s_trap 2
	ds_read_b64 v[4:5], v0
	s_andn2_b64 s[64:65], s[64:65], exec
	s_waitcnt lgkmcnt(0)
	v_cmp_ge_u64_e32 vcc, v[4:5], v[32:33]
	s_orn2_b64 vcc, vcc, exec
	s_branch .LBB12_1034
.LBB12_1039:                            ;   in Loop: Header=BB12_1003 Depth=2
	s_or_b64 exec, exec, s[60:61]
	s_and_saveexec_b64 vcc, s[62:63]
	s_xor_b64 vcc, exec, vcc
	s_cbranch_execz .LBB12_1041
; %bb.1040:                             ;   in Loop: Header=BB12_1003 Depth=2
	ds_write_b32 v0, v31
	s_trap 2
.LBB12_1041:                            ;   in Loop: Header=BB12_1003 Depth=2
	s_or_b64 exec, exec, s[58:59]
	;;#ASMSTART
	s_wakeup
	;;#ASMEND
.LBB12_1042:                            ;   in Loop: Header=BB12_1003 Depth=2
	s_or_b64 exec, exec, s[56:57]
.LBB12_1043:                            ;   in Loop: Header=BB12_1003 Depth=2
	s_andn2_saveexec_b64 vcc, s[54:55]
	s_cbranch_execz .LBB12_1045
; %bb.1044:                             ;   in Loop: Header=BB12_1003 Depth=2
	s_waitcnt lgkmcnt(0)
	s_barrier
.LBB12_1045:                            ;   in Loop: Header=BB12_1003 Depth=2
	s_or_b64 exec, exec, vcc
.LBB12_1046:                            ;   in Loop: Header=BB12_1003 Depth=2
	s_or_b64 exec, exec, s[22:23]
	s_trap 2
	ds_read_b32 v4, v0
	v_and_b32_e32 v0, 0x4000, v62
	v_cmp_ne_u32_e32 vcc, 0, v0
	s_xor_b64 s[22:23], s[2:3], -1
	s_and_b64 vcc, s[22:23], vcc
	s_and_saveexec_b64 s[22:23], vcc
	s_cbranch_execz .LBB12_1065
; %bb.1047:                             ;   in Loop: Header=BB12_1003 Depth=2
	s_and_saveexec_b64 vcc, s[38:39]
	s_xor_b64 s[54:55], exec, vcc
	s_cbranch_execz .LBB12_1062
; %bb.1048:                             ;   in Loop: Header=BB12_1003 Depth=2
	s_and_saveexec_b64 s[56:57], s[12:13]
	s_cbranch_execz .LBB12_1061
; %bb.1049:                             ;   in Loop: Header=BB12_1003 Depth=2
	s_mov_b64 s[60:61], exec
	v_mbcnt_lo_u32_b32 v0, s60, 0
	v_mbcnt_hi_u32_b32 v0, s61, v0
	v_cmp_eq_u32_e32 vcc, 0, v0
	s_waitcnt lgkmcnt(0)
	s_and_saveexec_b64 s[58:59], vcc
	s_cbranch_execz .LBB12_1051
; %bb.1050:                             ;   in Loop: Header=BB12_1003 Depth=2
	s_bcnt1_i32_b64 vcc_lo, s[60:61]
	v_mov_b32_e32 v2, vcc_lo
	ds_add_u64 v0, v[2:3]
	s_trap 2
.LBB12_1051:                            ;   in Loop: Header=BB12_1003 Depth=2
	s_or_b64 exec, exec, s[58:59]
	s_trap 2
	ds_read_b64 v[8:9], v0
	v_lshl_add_u64 v[32:33], v[32:33], 0, v[52:53]
	s_waitcnt lgkmcnt(0)
	v_cmp_lt_u64_e32 vcc, v[8:9], v[32:33]
	s_and_saveexec_b64 s[58:59], vcc
	s_cbranch_execz .LBB12_1060
; %bb.1052:                             ;   in Loop: Header=BB12_1003 Depth=2
	s_mov_b32 s71, 0
	s_mov_b64 s[60:61], 0
                                        ; implicit-def: $sgpr62_sgpr63
                                        ; implicit-def: $sgpr64_sgpr65
	s_branch .LBB12_1054
.LBB12_1053:                            ;   in Loop: Header=BB12_1054 Depth=3
	s_or_b64 exec, exec, s[68:69]
	s_and_b64 vcc, exec, vcc
	s_or_b64 s[60:61], vcc, s[60:61]
	s_andn2_b64 vcc, s[62:63], exec
	s_and_b64 s[62:63], s[64:65], exec
	s_or_b64 s[62:63], vcc, s[62:63]
	s_andn2_b64 exec, exec, s[60:61]
	s_cbranch_execz .LBB12_1058
.LBB12_1054:                            ;   Parent Loop BB12_47 Depth=1
                                        ;     Parent Loop BB12_1003 Depth=2
                                        ; =>    This Inner Loop Header: Depth=3
	s_add_i32 s71, s71, 1
	s_cmpk_lg_i32 s71, 0x2710
	s_cselect_b64 s[66:67], -1, 0
	s_and_b64 vcc, exec, s[66:67]
                                        ; implicit-def: $sgpr68_sgpr69
	s_cbranch_vccnz .LBB12_1056
; %bb.1055:                             ;   in Loop: Header=BB12_1054 Depth=3
	s_trap 2
	ds_read_b64 v[8:9], v0
	s_andn2_b64 s[66:67], s[66:67], exec
	s_mov_b32 s71, 0
	s_mov_b64 s[68:69], -1
	s_waitcnt vmcnt(0) lgkmcnt(0)
	flat_load_dword v0, v[8:9] sc0 sc1
	s_waitcnt vmcnt(0) lgkmcnt(0)
	buffer_inv sc0 sc1
	v_cmp_eq_u32_e32 vcc, 0, v0
	s_and_b64 vcc, vcc, exec
	s_or_b64 s[66:67], s[66:67], vcc
.LBB12_1056:                            ;   in Loop: Header=BB12_1054 Depth=3
	s_andn2_b64 s[64:65], s[64:65], exec
	s_and_b64 s[68:69], s[68:69], exec
	s_mov_b64 vcc, -1
	s_or_b64 s[64:65], s[64:65], s[68:69]
	s_and_saveexec_b64 s[68:69], s[66:67]
	s_cbranch_execz .LBB12_1053
; %bb.1057:                             ;   in Loop: Header=BB12_1054 Depth=3
	s_sleep 1
	s_trap 2
	ds_read_b64 v[8:9], v0
	s_andn2_b64 s[64:65], s[64:65], exec
	s_waitcnt lgkmcnt(0)
	v_cmp_ge_u64_e32 vcc, v[8:9], v[32:33]
	s_orn2_b64 vcc, vcc, exec
	s_branch .LBB12_1053
.LBB12_1058:                            ;   in Loop: Header=BB12_1003 Depth=2
	s_or_b64 exec, exec, s[60:61]
	s_and_saveexec_b64 vcc, s[62:63]
	s_xor_b64 vcc, exec, vcc
	s_cbranch_execz .LBB12_1060
; %bb.1059:                             ;   in Loop: Header=BB12_1003 Depth=2
	ds_write_b32 v0, v31
	s_trap 2
.LBB12_1060:                            ;   in Loop: Header=BB12_1003 Depth=2
	s_or_b64 exec, exec, s[58:59]
	;;#ASMSTART
	s_wakeup
	;;#ASMEND
.LBB12_1061:                            ;   in Loop: Header=BB12_1003 Depth=2
	s_or_b64 exec, exec, s[56:57]
.LBB12_1062:                            ;   in Loop: Header=BB12_1003 Depth=2
	s_andn2_saveexec_b64 vcc, s[54:55]
	s_cbranch_execz .LBB12_1064
; %bb.1063:                             ;   in Loop: Header=BB12_1003 Depth=2
	s_waitcnt lgkmcnt(0)
	s_barrier
.LBB12_1064:                            ;   in Loop: Header=BB12_1003 Depth=2
	s_or_b64 exec, exec, vcc
.LBB12_1065:                            ;   in Loop: Header=BB12_1003 Depth=2
	s_or_b64 exec, exec, s[22:23]
	s_trap 2
	ds_read_b64 v[8:9], v0
	v_sub_u32_e32 v0, v6, v24
	v_min_i32_e32 v22, v22, v0
	v_mov_b32_e32 v23, 0
	s_waitcnt lgkmcnt(0)
	v_readfirstlane_b32 s22, v8
	v_readfirstlane_b32 s23, v9
	s_cmp_eq_u64 s[22:23], 0
	s_cselect_b64 s[22:23], -1, 0
	s_or_b64 s[22:23], s[22:23], s[22:23]
	s_and_b64 vcc, exec, s[22:23]
	s_cbranch_vccnz .LBB12_1081
; %bb.1066:                             ;   in Loop: Header=BB12_1003 Depth=2
	s_trap 2
	ds_read_b64 v[12:13], v0
	s_mov_b64 s[22:23], -1
	s_and_saveexec_b64 s[54:55], s[16:17]
	s_cbranch_execz .LBB12_1068
; %bb.1067:                             ;   in Loop: Header=BB12_1003 Depth=2
	ds_read_b32 v0, v0 offset:720
	s_waitcnt lgkmcnt(0)
	v_and_b32_e32 v0, 15, v0
	v_cmp_eq_u32_e32 vcc, 0, v0
	s_orn2_b64 s[22:23], vcc, exec
.LBB12_1068:                            ;   in Loop: Header=BB12_1003 Depth=2
	s_or_b64 exec, exec, s[54:55]
	s_and_saveexec_b64 s[54:55], s[14:15]
	s_cbranch_execz .LBB12_1070
; %bb.1069:                             ;   in Loop: Header=BB12_1003 Depth=2
	ds_read_b32 v0, v0 offset:784
	s_waitcnt lgkmcnt(0)
	v_and_b32_e32 v0, 15, v0
	v_cmp_eq_u32_e32 vcc, 0, v0
	s_and_b64 vcc, s[22:23], vcc
	s_andn2_b64 s[22:23], s[22:23], exec
	s_and_b64 vcc, vcc, exec
	s_or_b64 s[22:23], s[22:23], vcc
.LBB12_1070:                            ;   in Loop: Header=BB12_1003 Depth=2
	s_or_b64 exec, exec, s[54:55]
	v_cmp_eq_u32_e32 vcc, 0, v4
	s_xor_b64 s[22:23], s[22:23], -1
	v_cndmask_b32_e64 v0, 0, 1, s[22:23]
	v_cndmask_b32_e32 v23, 0, v22, vcc
	s_waitcnt lgkmcnt(0)
	v_accvgpr_write_b32 a51, v13
	v_mov_b32_e32 v14, 0
	v_lshlrev_b32_e32 v5, 1, v23
	s_mov_b64 s[56:57], -1
	;;#ASMSTART
	;;#ASMEND
	v_accvgpr_write_b32 a50, v12
	v_cmp_ne_u32_e32 vcc, 0, v0
	s_cbranch_vccz .LBB12_1093
; %bb.1071:                             ;   in Loop: Header=BB12_1003 Depth=2
	v_mov_b32_e32 v15, v58
	v_mov_b32_e32 v8, v50
	s_and_saveexec_b64 s[22:23], s[56:57]
	s_cbranch_execz .LBB12_1106
.LBB12_1072:                            ;   in Loop: Header=BB12_1003 Depth=2
	v_ashrrev_i32_e32 v0, 31, v5
	v_lshrrev_b32_e32 v0, 22, v0
	v_add_u32_e32 v0, v5, v0
	s_waitcnt vmcnt(0)
	v_ashrrev_i32_e32 v17, 10, v0
	v_sub_u32_e32 v7, v17, v8
	v_ashrrev_i32_e32 v0, 31, v15
	v_cmp_lt_i32_e32 vcc, 0, v7
	v_lshrrev_b32_e32 v16, 26, v0
	s_and_saveexec_b64 s[54:55], vcc
	s_cbranch_execz .LBB12_1076
; %bb.1073:                             ;   in Loop: Header=BB12_1003 Depth=2
	v_accvgpr_write_b32 a34, v5
	s_trap 2
	ds_read_b64 v[4:5], v0
	v_add_u32_e32 v0, v15, v16
	v_and_b32_e32 v0, 0x7fffffc0, v0
	v_sub_u32_e32 v0, v15, v0
	v_lshlrev_b32_e32 v0, 1, v0
	v_lshlrev_b32_e32 v1, 10, v8
	v_accvgpr_write_b32 a12, v32
	v_add3_u32 v8, v0, v14, v1
	v_mov_b32_e32 v61, v23
	v_mov_b32_e32 v60, v24
	v_accvgpr_write_b32 a31, v22
	v_accvgpr_write_b32 a13, v33
	v_ashrrev_i32_e32 v9, 31, v8
	s_mov_b64 s[56:57], 0
	s_waitcnt lgkmcnt(0)
	v_mov_b64_e32 v[10:11], v[4:5]
.LBB12_1074:                            ;   Parent Loop BB12_47 Depth=1
                                        ;     Parent Loop BB12_1003 Depth=2
                                        ; =>    This Inner Loop Header: Depth=3
	v_lshl_add_u64 v[20:21], v[8:9], 0, v[10:11]
	v_lshl_add_u64 v[18:19], v[8:9], 0, v[12:13]
	flat_load_ushort v0, v[20:21] nt
	flat_load_ushort v1, v[20:21] offset:128 nt
	flat_load_ushort v2, v[20:21] offset:256 nt
	;; [unrolled: 1-line block ×6, first 2 shown]
	s_nop 0
	flat_load_ushort v20, v[20:21] offset:896 nt
	s_nop 0
	flat_load_ushort v21, v[18:19] nt
	flat_load_ushort v25, v[18:19] offset:128 nt
	flat_load_ushort v26, v[18:19] offset:256 nt
	;; [unrolled: 1-line block ×7, first 2 shown]
	v_sub_u32_e32 v7, v7, v52
	v_cmp_gt_i32_e32 vcc, 1, v7
	v_lshl_add_u64 v[18:19], v[8:9], 0, v[4:5]
	v_lshl_add_u64 v[12:13], v[12:13], 0, v[28:29]
	v_lshl_add_u64 v[10:11], v[10:11], 0, v[28:29]
	v_lshl_add_u64 v[4:5], v[4:5], 0, v[28:29]
	s_or_b64 s[56:57], vcc, s[56:57]
	s_waitcnt vmcnt(0) lgkmcnt(0)
	v_mul_f16_e32 v0, v0, v21
	v_mul_f16_e32 v1, v1, v25
	;; [unrolled: 1-line block ×8, first 2 shown]
	flat_store_short v[18:19], v0 nt
	flat_store_short v[18:19], v1 offset:128 nt
	flat_store_short v[18:19], v2 offset:256 nt
	;; [unrolled: 1-line block ×7, first 2 shown]
	s_andn2_b64 exec, exec, s[56:57]
	s_cbranch_execnz .LBB12_1074
; %bb.1075:                             ;   in Loop: Header=BB12_1003 Depth=2
	s_or_b64 exec, exec, s[56:57]
	scratch_load_dwordx2 v[20:21], off, s33 offset:156 ; 8-byte Folded Reload
	v_accvgpr_read_b32 v33, a13
	v_accvgpr_read_b32 v26, a36
	;; [unrolled: 1-line block ×7, first 2 shown]
	v_mov_b32_e32 v31, 1
	v_accvgpr_read_b32 v6, a24
	v_accvgpr_read_b32 v22, a31
	v_mov_b32_e32 v24, v60
	v_mov_b32_e32 v23, v61
	v_accvgpr_read_b32 v13, a51
	v_accvgpr_read_b32 v5, a34
.LBB12_1076:                            ;   in Loop: Header=BB12_1003 Depth=2
	s_or_b64 exec, exec, s[54:55]
	v_lshlrev_b32_e32 v4, 10, v17
	v_cmp_ne_u32_e32 vcc, v5, v4
	s_and_saveexec_b64 s[54:55], vcc
	s_cbranch_execz .LBB12_1080
; %bb.1077:                             ;   in Loop: Header=BB12_1003 Depth=2
	v_add_u32_e32 v0, v15, v16
	v_and_b32_e32 v0, 0xffffffc0, v0
	v_sub_u32_e32 v0, v15, v0
	v_lshlrev_b32_e32 v1, 6, v7
	v_sub_u32_e32 v0, v0, v1
	v_ashrrev_i32_e32 v1, 31, v0
	v_lshrrev_b32_e32 v1, 26, v1
	v_add_u32_e32 v1, v0, v1
	v_and_b32_e32 v2, 0x7fffffc0, v1
	v_sub_u32_e32 v0, v0, v2
	v_lshlrev_b32_e32 v1, 1, v1
	v_and_b32_e32 v1, 0xffffff80, v1
	v_lshlrev_b32_e32 v0, 1, v0
	v_add3_u32 v7, v1, v0, v4
	v_sub_u32_e32 v2, v5, v7
	v_cmp_lt_i32_e32 vcc, 1, v2
	s_and_b64 exec, exec, vcc
	s_cbranch_execz .LBB12_1080
; %bb.1078:                             ;   in Loop: Header=BB12_1003 Depth=2
	s_trap 2
	ds_read_b64 v[4:5], v0
	v_add_u32_e32 v8, v7, v14
	v_ashrrev_i32_e32 v9, 31, v8
	s_mov_b64 s[56:57], 0
.LBB12_1079:                            ;   Parent Loop BB12_47 Depth=1
                                        ;     Parent Loop BB12_1003 Depth=2
                                        ; =>    This Inner Loop Header: Depth=3
	v_lshl_add_u64 v[10:11], v[12:13], 0, v[8:9]
	s_waitcnt lgkmcnt(0)
	v_lshl_add_u64 v[12:13], v[4:5], 0, v[8:9]
	flat_load_ushort v0, v[12:13] nt
	flat_load_ushort v1, v[10:11] nt
	v_sub_u32_e32 v2, v2, v45
	v_cmp_gt_i32_e32 vcc, 2, v2
	v_lshl_add_u64 v[8:9], v[8:9], 0, v[26:27]
	s_or_b64 s[56:57], vcc, s[56:57]
	s_waitcnt vmcnt(0) lgkmcnt(0)
	v_mul_f16_e32 v0, v0, v1
	flat_store_short v[12:13], v0 nt
	v_accvgpr_read_b32 v12, a50
	v_accvgpr_read_b32 v13, a51
	s_andn2_b64 exec, exec, s[56:57]
	s_cbranch_execnz .LBB12_1079
.LBB12_1080:                            ;   in Loop: Header=BB12_1003 Depth=2
	s_or_b64 exec, exec, s[54:55]
	scratch_load_dwordx2 v[16:17], off, s33 offset:164 ; 8-byte Folded Reload
	s_or_b64 exec, exec, s[22:23]
	s_and_saveexec_b64 s[22:23], s[4:5]
	s_cbranch_execz .LBB12_1107
	s_branch .LBB12_1082
.LBB12_1081:                            ;   in Loop: Header=BB12_1003 Depth=2
	s_and_saveexec_b64 s[22:23], s[4:5]
	s_cbranch_execz .LBB12_1107
.LBB12_1082:                            ;   in Loop: Header=BB12_1003 Depth=2
	s_and_saveexec_b64 vcc, s[38:39]
	s_xor_b64 s[54:55], exec, vcc
	s_cbranch_execz .LBB12_1115
; %bb.1083:                             ;   in Loop: Header=BB12_1003 Depth=2
	s_and_saveexec_b64 s[56:57], s[12:13]
	s_cbranch_execz .LBB12_1114
; %bb.1084:                             ;   in Loop: Header=BB12_1003 Depth=2
	s_mov_b64 s[60:61], exec
	v_mbcnt_lo_u32_b32 v0, s60, 0
	v_mbcnt_hi_u32_b32 v0, s61, v0
	v_cmp_eq_u32_e32 vcc, 0, v0
	s_waitcnt lgkmcnt(0)
	s_and_saveexec_b64 s[58:59], vcc
	s_cbranch_execz .LBB12_1086
; %bb.1085:                             ;   in Loop: Header=BB12_1003 Depth=2
	s_bcnt1_i32_b64 vcc_lo, s[60:61]
	v_mov_b32_e32 v2, vcc_lo
	ds_add_u64 v0, v[2:3]
	s_trap 2
.LBB12_1086:                            ;   in Loop: Header=BB12_1003 Depth=2
	s_or_b64 exec, exec, s[58:59]
	s_trap 2
	ds_read_b64 v[4:5], v0
	v_lshl_add_u64 v[32:33], v[32:33], 0, v[52:53]
	s_waitcnt lgkmcnt(0)
	v_cmp_lt_u64_e32 vcc, v[4:5], v[32:33]
	s_and_saveexec_b64 s[58:59], vcc
	s_cbranch_execz .LBB12_1113
; %bb.1087:                             ;   in Loop: Header=BB12_1003 Depth=2
	s_mov_b32 s71, 0
	s_mov_b64 s[60:61], 0
                                        ; implicit-def: $sgpr62_sgpr63
                                        ; implicit-def: $sgpr64_sgpr65
	s_branch .LBB12_1089
.LBB12_1088:                            ;   in Loop: Header=BB12_1089 Depth=3
	s_or_b64 exec, exec, s[68:69]
	s_and_b64 vcc, exec, vcc
	s_or_b64 s[60:61], vcc, s[60:61]
	s_andn2_b64 vcc, s[62:63], exec
	s_and_b64 s[62:63], s[64:65], exec
	s_or_b64 s[62:63], vcc, s[62:63]
	s_andn2_b64 exec, exec, s[60:61]
	s_cbranch_execz .LBB12_1111
.LBB12_1089:                            ;   Parent Loop BB12_47 Depth=1
                                        ;     Parent Loop BB12_1003 Depth=2
                                        ; =>    This Inner Loop Header: Depth=3
	s_add_i32 s71, s71, 1
	s_cmpk_lg_i32 s71, 0x2710
	s_cselect_b64 s[66:67], -1, 0
	s_and_b64 vcc, exec, s[66:67]
                                        ; implicit-def: $sgpr68_sgpr69
	s_cbranch_vccnz .LBB12_1091
; %bb.1090:                             ;   in Loop: Header=BB12_1089 Depth=3
	s_trap 2
	ds_read_b64 v[4:5], v0
	s_andn2_b64 s[66:67], s[66:67], exec
	s_mov_b32 s71, 0
	s_mov_b64 s[68:69], -1
	s_waitcnt vmcnt(0) lgkmcnt(0)
	flat_load_dword v0, v[4:5] sc0 sc1
	s_waitcnt vmcnt(0) lgkmcnt(0)
	buffer_inv sc0 sc1
	v_cmp_eq_u32_e32 vcc, 0, v0
	s_and_b64 vcc, vcc, exec
	s_or_b64 s[66:67], s[66:67], vcc
.LBB12_1091:                            ;   in Loop: Header=BB12_1089 Depth=3
	s_andn2_b64 s[64:65], s[64:65], exec
	s_and_b64 s[68:69], s[68:69], exec
	s_mov_b64 vcc, -1
	s_or_b64 s[64:65], s[64:65], s[68:69]
	s_and_saveexec_b64 s[68:69], s[66:67]
	s_cbranch_execz .LBB12_1088
; %bb.1092:                             ;   in Loop: Header=BB12_1089 Depth=3
	s_sleep 1
	s_trap 2
	ds_read_b64 v[4:5], v0
	s_andn2_b64 s[64:65], s[64:65], exec
	s_waitcnt lgkmcnt(0)
	v_cmp_ge_u64_e32 vcc, v[4:5], v[32:33]
	s_orn2_b64 vcc, vcc, exec
	s_branch .LBB12_1088
.LBB12_1093:                            ;   in Loop: Header=BB12_1003 Depth=2
	v_ashrrev_i32_e32 v0, 31, v5
	v_lshrrev_b32_e32 v0, 20, v0
	v_add_u32_e32 v0, v5, v0
	v_ashrrev_i32_e32 v0, 12, v0
	v_sub_u32_e32 v7, v0, v50
	v_cmp_lt_i32_e32 vcc, 0, v7
	s_and_saveexec_b64 s[22:23], vcc
	s_cbranch_execz .LBB12_1097
; %bb.1094:                             ;   in Loop: Header=BB12_1003 Depth=2
	s_trap 2
	ds_read_b64 v[44:45], v0
	v_accvgpr_write_b32 a35, v33
	v_accvgpr_write_b32 a12, v40
	;; [unrolled: 1-line block ×9, first 2 shown]
	s_mov_b64 s[54:55], 0
	v_mov_b64_e32 v[60:61], v[54:55]
	s_waitcnt lgkmcnt(0)
	v_mov_b64_e32 v[54:55], v[44:45]
	v_mov_b64_e32 v[46:47], v[12:13]
.LBB12_1095:                            ;   Parent Loop BB12_47 Depth=1
                                        ;     Parent Loop BB12_1003 Depth=2
                                        ; =>    This Inner Loop Header: Depth=3
	s_waitcnt vmcnt(0)
	v_lshl_add_u64 v[4:5], v[20:21], 0, v[46:47]
	v_lshl_add_u64 v[8:9], v[20:21], 0, v[54:55]
	global_load_dwordx4 v[36:39], v[4:5], off nt
	global_load_dwordx4 v[48:51], v[8:9], off nt
	global_load_dwordx4 v[24:27], v[8:9], off offset:1024 nt
	global_load_dwordx4 v[32:35], v[4:5], off offset:1024 nt
	global_load_dwordx4 v[16:19], v[4:5], off offset:2048 nt
	global_load_dwordx4 v[20:23], v[8:9], off offset:2048 nt
	s_nop 0
	global_load_dwordx4 v[8:11], v[8:9], off offset:3072 nt
	s_nop 0
	global_load_dwordx4 v[12:15], v[4:5], off offset:3072 nt
	scratch_load_dwordx2 v[0:1], off, s33 offset:156 ; 8-byte Folded Reload
	v_sub_u32_e32 v7, v7, v52
	v_cmp_gt_i32_e32 vcc, 1, v7
	v_lshl_add_u64 v[46:47], v[46:47], 0, v[60:61]
	v_lshl_add_u64 v[54:55], v[54:55], 0, v[60:61]
	s_or_b64 s[54:55], vcc, s[54:55]
	s_waitcnt vmcnt(1)
	v_mul_f16_e32 v2, v9, v13
	s_waitcnt vmcnt(0)
	v_lshl_add_u64 v[4:5], v[0:1], 0, v[44:45]
	v_mul_f16_e32 v0, v48, v36
	v_mul_f16_sdwa v1, v48, v36 dst_sel:WORD_1 dst_unused:UNUSED_PAD src0_sel:WORD_1 src1_sel:WORD_1
	v_mul_f16_e32 v36, v49, v37
	v_mul_f16_sdwa v37, v49, v37 dst_sel:WORD_1 dst_unused:UNUSED_PAD src0_sel:WORD_1 src1_sel:WORD_1
	;; [unrolled: 2-line block ×13, first 2 shown]
	v_mul_f16_sdwa v30, v9, v13 dst_sel:WORD_1 dst_unused:UNUSED_PAD src0_sel:WORD_1 src1_sel:WORD_1
	v_mul_f16_e32 v31, v10, v14
	v_mul_f16_sdwa v6, v10, v14 dst_sel:WORD_1 dst_unused:UNUSED_PAD src0_sel:WORD_1 src1_sel:WORD_1
	v_mul_f16_e32 v40, v11, v15
	v_mul_f16_sdwa v41, v11, v15 dst_sel:WORD_1 dst_unused:UNUSED_PAD src0_sel:WORD_1 src1_sel:WORD_1
	v_or_b32_e32 v9, v37, v36
	v_or_b32_e32 v8, v1, v0
	;; [unrolled: 1-line block ×16, first 2 shown]
	global_store_dwordx4 v[4:5], v[8:11], off nt
	global_store_dwordx4 v[4:5], v[12:15], off offset:1024 nt
	global_store_dwordx4 v[4:5], v[16:19], off offset:2048 nt
	global_store_dwordx4 v[4:5], v[20:23], off offset:3072 nt
	scratch_load_dwordx2 v[20:21], off, s33 offset:156 ; 8-byte Folded Reload
	v_lshl_add_u64 v[44:45], v[44:45], 0, v[60:61]
	s_andn2_b64 exec, exec, s[54:55]
	s_cbranch_execnz .LBB12_1095
; %bb.1096:                             ;   in Loop: Header=BB12_1003 Depth=2
	s_or_b64 exec, exec, s[54:55]
	scratch_load_dwordx2 v[16:17], off, s33 offset:164 ; 8-byte Folded Reload
	v_accvgpr_read_b32 v41, a13
	v_accvgpr_read_b32 v49, a15
	;; [unrolled: 1-line block ×20, first 2 shown]
	v_mov_b64_e32 v[54:55], v[60:61]
	v_accvgpr_read_b32 v33, a35
	v_accvgpr_read_b32 v27, a37
	;; [unrolled: 1-line block ×3, first 2 shown]
	v_mov_b32_e32 v31, 1
	v_accvgpr_read_b32 v6, a24
	v_accvgpr_read_b32 v22, a31
	;; [unrolled: 1-line block ×7, first 2 shown]
.LBB12_1097:                            ;   in Loop: Header=BB12_1003 Depth=2
	s_or_b64 exec, exec, s[22:23]
	v_lshlrev_b32_e32 v10, 12, v0
	v_cmp_ne_u32_e32 vcc, v5, v10
	s_mov_b64 s[56:57], 0
	v_mov_b32_e32 v14, 0
                                        ; implicit-def: $vgpr15
                                        ; implicit-def: $vgpr8
	s_and_saveexec_b64 s[54:55], vcc
	s_cbranch_execz .LBB12_1105
; %bb.1098:                             ;   in Loop: Header=BB12_1003 Depth=2
	v_lshlrev_b32_e32 v1, 6, v7
	v_sub_u32_e32 v1, v59, v1
	v_ashrrev_i32_e32 v2, 31, v1
	v_lshrrev_b32_e32 v2, 26, v2
	v_add_u32_e32 v2, v1, v2
	v_ashrrev_i32_e32 v4, 6, v2
	v_and_b32_e32 v2, 0xffffffc0, v2
	v_sub_u32_e32 v7, v1, v2
	v_sub_u32_e32 v0, v5, v10
	v_lshlrev_b32_e32 v1, 4, v7
	v_lshl_add_u32 v8, v4, 10, v1
	v_ashrrev_i32_e32 v1, 31, v0
	v_lshrrev_b32_e32 v1, 22, v1
	v_add_u32_e32 v1, v0, v1
	v_and_b32_e32 v11, 0xfffffc00, v1
	v_sub_u32_e32 v13, v0, v11
	v_ashrrev_i32_e32 v2, 10, v1
	v_cmp_lt_i32_e32 vcc, 15, v13
	v_sub_u32_e32 v14, v0, v8
	s_nop 0
	v_addc_co_u32_e64 v0, s[22:23], 0, v2, vcc
	v_sub_u32_e32 v12, v0, v4
	v_cmp_lt_i32_e64 s[22:23], 15, v14
	s_and_saveexec_b64 s[56:57], s[22:23]
	s_cbranch_execz .LBB12_1102
; %bb.1099:                             ;   in Loop: Header=BB12_1003 Depth=2
	v_accvgpr_write_b32 a31, v5
	s_trap 2
	ds_read_b64 v[4:5], v0
	v_accvgpr_write_b32 a34, v46
	v_accvgpr_write_b32 a35, v47
	v_add_u32_e32 v8, v8, v10
	v_accvgpr_read_b32 v46, a50
	v_accvgpr_write_b32 a13, v23
	v_mov_b32_e32 v60, v24
	v_accvgpr_write_b32 a12, v22
	v_ashrrev_i32_e32 v9, 31, v8
	s_mov_b64 s[58:59], 0
	v_accvgpr_read_b32 v30, a3
	v_accvgpr_read_b32 v47, a51
.LBB12_1100:                            ;   Parent Loop BB12_47 Depth=1
                                        ;     Parent Loop BB12_1003 Depth=2
                                        ; =>    This Inner Loop Header: Depth=3
	s_waitcnt vmcnt(0)
	v_lshl_add_u64 v[20:21], v[46:47], 0, v[8:9]
	s_waitcnt lgkmcnt(0)
	v_lshl_add_u64 v[24:25], v[4:5], 0, v[8:9]
	global_load_dwordx4 v[16:19], v[24:25], off nt
	s_nop 0
	global_load_dwordx4 v[20:23], v[20:21], off nt
	v_sub_u32_e32 v14, v14, v30
	v_cmp_gt_i32_e64 s[22:23], 16, v14
	v_sub_u32_e32 v12, v12, v52
	v_lshl_add_u64 v[8:9], v[8:9], 0, v[28:29]
	s_or_b64 s[58:59], s[22:23], s[58:59]
	s_waitcnt vmcnt(0)
	v_mul_f16_e32 v0, v16, v20
	v_mul_f16_sdwa v1, v16, v20 dst_sel:WORD_1 dst_unused:UNUSED_PAD src0_sel:WORD_1 src1_sel:WORD_1
	v_mul_f16_e32 v2, v17, v21
	v_mul_f16_sdwa v6, v17, v21 dst_sel:WORD_1 dst_unused:UNUSED_PAD src0_sel:WORD_1 src1_sel:WORD_1
	v_mul_f16_e32 v15, v18, v22
	v_mul_f16_sdwa v18, v18, v22 dst_sel:WORD_1 dst_unused:UNUSED_PAD src0_sel:WORD_1 src1_sel:WORD_1
	v_mul_f16_e32 v20, v19, v23
	v_mul_f16_sdwa v19, v19, v23 dst_sel:WORD_1 dst_unused:UNUSED_PAD src0_sel:WORD_1 src1_sel:WORD_1
	v_or_b32_e32 v17, v6, v2
	v_or_b32_e32 v16, v1, v0
	;; [unrolled: 1-line block ×4, first 2 shown]
	global_store_dwordx4 v[24:25], v[16:19], off nt
	s_andn2_b64 exec, exec, s[58:59]
	s_cbranch_execnz .LBB12_1100
; %bb.1101:                             ;   in Loop: Header=BB12_1003 Depth=2
	s_or_b64 exec, exec, s[58:59]
	scratch_load_dwordx2 v[16:17], off, s33 offset:164 ; 8-byte Folded Reload
	scratch_load_dwordx2 v[20:21], off, s33 offset:156 ; 8-byte Folded Reload
	v_accvgpr_read_b32 v18, a42
	v_accvgpr_read_b32 v47, a35
	;; [unrolled: 1-line block ×5, first 2 shown]
	v_mov_b32_e32 v24, v60
	v_accvgpr_read_b32 v23, a13
	v_accvgpr_read_b32 v46, a34
	;; [unrolled: 1-line block ×3, first 2 shown]
.LBB12_1102:                            ;   in Loop: Header=BB12_1003 Depth=2
	s_or_b64 exec, exec, s[56:57]
	v_and_b32_e32 v4, 14, v5
	v_cndmask_b32_e32 v5, v13, v4, vcc
	v_cmp_ne_u32_e64 s[22:23], 0, v5
	s_mov_b64 s[56:57], 0
	v_mov_b32_e32 v14, 0
                                        ; implicit-def: $vgpr15
                                        ; implicit-def: $vgpr8
	s_and_saveexec_b64 s[58:59], s[22:23]
	s_cbranch_execz .LBB12_1104
; %bb.1103:                             ;   in Loop: Header=BB12_1003 Depth=2
	v_sub_u32_e32 v0, v13, v4
	v_cndmask_b32_e32 v0, 0, v0, vcc
	v_cmp_lt_i32_e32 vcc, 0, v12
	v_add3_u32 v14, v11, v10, v0
	s_mov_b64 s[56:57], exec
	v_cndmask_b32_e32 v0, 0, v52, vcc
	v_sub_u32_e32 v0, v0, v12
	v_lshl_add_u32 v15, v0, 6, v7
	v_ashrrev_i32_e32 v0, 31, v15
	v_lshrrev_b32_e32 v0, 26, v0
	v_add_u32_e32 v0, v15, v0
	v_ashrrev_i32_e32 v8, 6, v0
.LBB12_1104:                            ;   in Loop: Header=BB12_1003 Depth=2
	s_or_b64 exec, exec, s[58:59]
	v_accvgpr_read_b32 v12, a50
	s_and_b64 s[56:57], s[56:57], exec
	v_accvgpr_read_b32 v13, a51
.LBB12_1105:                            ;   in Loop: Header=BB12_1003 Depth=2
	s_or_b64 exec, exec, s[54:55]
	s_and_saveexec_b64 s[22:23], s[56:57]
	s_cbranch_execnz .LBB12_1072
.LBB12_1106:                            ;   in Loop: Header=BB12_1003 Depth=2
	s_or_b64 exec, exec, s[22:23]
	s_and_saveexec_b64 s[22:23], s[4:5]
	s_cbranch_execnz .LBB12_1082
.LBB12_1107:                            ;   in Loop: Header=BB12_1003 Depth=2
	s_or_b64 exec, exec, s[22:23]
	s_and_saveexec_b64 s[22:23], s[20:21]
	s_xor_b64 s[54:55], exec, s[22:23]
	s_cbranch_execz .LBB12_1118
.LBB12_1108:                            ;   in Loop: Header=BB12_1003 Depth=2
	v_and_b32_e32 v0, 16, v62
	v_cmp_lt_i32_e32 vcc, 0, v23
	v_cmp_ne_u32_e64 s[22:23], 0, v0
	s_and_b64 vcc, s[22:23], vcc
	s_and_saveexec_b64 s[22:23], vcc
	s_cbranch_execz .LBB12_1110
; %bb.1109:                             ;   in Loop: Header=BB12_1003 Depth=2
	buffer_wbl2 sc1
	s_waitcnt vmcnt(0) lgkmcnt(0)
	buffer_inv sc1
.LBB12_1110:                            ;   in Loop: Header=BB12_1003 Depth=2
	s_or_b64 exec, exec, s[22:23]
	s_andn2_saveexec_b64 s[22:23], s[54:55]
	s_cbranch_execz .LBB12_1137
	s_branch .LBB12_1119
.LBB12_1111:                            ;   in Loop: Header=BB12_1003 Depth=2
	s_or_b64 exec, exec, s[60:61]
	s_and_saveexec_b64 vcc, s[62:63]
	s_xor_b64 vcc, exec, vcc
	s_cbranch_execz .LBB12_1113
; %bb.1112:                             ;   in Loop: Header=BB12_1003 Depth=2
	ds_write_b32 v0, v31
	s_trap 2
.LBB12_1113:                            ;   in Loop: Header=BB12_1003 Depth=2
	s_or_b64 exec, exec, s[58:59]
	;;#ASMSTART
	s_wakeup
	;;#ASMEND
.LBB12_1114:                            ;   in Loop: Header=BB12_1003 Depth=2
	s_or_b64 exec, exec, s[56:57]
.LBB12_1115:                            ;   in Loop: Header=BB12_1003 Depth=2
	s_andn2_saveexec_b64 vcc, s[54:55]
	s_cbranch_execz .LBB12_1117
; %bb.1116:                             ;   in Loop: Header=BB12_1003 Depth=2
	s_waitcnt lgkmcnt(0)
	s_barrier
.LBB12_1117:                            ;   in Loop: Header=BB12_1003 Depth=2
	s_or_b64 exec, exec, vcc
	s_or_b64 exec, exec, s[22:23]
	s_and_saveexec_b64 s[22:23], s[20:21]
	s_xor_b64 s[54:55], exec, s[22:23]
	s_cbranch_execnz .LBB12_1108
.LBB12_1118:                            ;   in Loop: Header=BB12_1003 Depth=2
	s_andn2_saveexec_b64 s[22:23], s[54:55]
	s_cbranch_execz .LBB12_1137
.LBB12_1119:                            ;   in Loop: Header=BB12_1003 Depth=2
	s_and_saveexec_b64 vcc, s[38:39]
	s_xor_b64 s[54:55], exec, vcc
	s_cbranch_execz .LBB12_1134
; %bb.1120:                             ;   in Loop: Header=BB12_1003 Depth=2
	s_and_saveexec_b64 s[56:57], s[12:13]
	s_cbranch_execz .LBB12_1133
; %bb.1121:                             ;   in Loop: Header=BB12_1003 Depth=2
	s_mov_b64 s[60:61], exec
	v_mbcnt_lo_u32_b32 v0, s60, 0
	v_mbcnt_hi_u32_b32 v0, s61, v0
	v_cmp_eq_u32_e32 vcc, 0, v0
	;;#ASMSTART
	s_waitcnt lgkmcnt(0) vmcnt(0)
	;;#ASMEND
	s_and_saveexec_b64 s[58:59], vcc
	s_cbranch_execz .LBB12_1123
; %bb.1122:                             ;   in Loop: Header=BB12_1003 Depth=2
	s_bcnt1_i32_b64 vcc_lo, s[60:61]
	v_mov_b32_e32 v2, vcc_lo
	ds_add_u64 v0, v[2:3]
	s_trap 2
.LBB12_1123:                            ;   in Loop: Header=BB12_1003 Depth=2
	s_or_b64 exec, exec, s[58:59]
	s_trap 2
	ds_read_b64 v[4:5], v0
	v_lshl_add_u64 v[32:33], v[32:33], 0, v[52:53]
	s_waitcnt lgkmcnt(0)
	v_cmp_lt_u64_e32 vcc, v[4:5], v[32:33]
	s_and_saveexec_b64 s[58:59], vcc
	s_cbranch_execz .LBB12_1132
; %bb.1124:                             ;   in Loop: Header=BB12_1003 Depth=2
	s_mov_b32 s71, 0
	s_mov_b64 s[60:61], 0
                                        ; implicit-def: $sgpr62_sgpr63
                                        ; implicit-def: $sgpr64_sgpr65
	s_branch .LBB12_1126
.LBB12_1125:                            ;   in Loop: Header=BB12_1126 Depth=3
	s_or_b64 exec, exec, s[68:69]
	s_and_b64 vcc, exec, vcc
	s_or_b64 s[60:61], vcc, s[60:61]
	s_andn2_b64 vcc, s[62:63], exec
	s_and_b64 s[62:63], s[64:65], exec
	s_or_b64 s[62:63], vcc, s[62:63]
	s_andn2_b64 exec, exec, s[60:61]
	s_cbranch_execz .LBB12_1130
.LBB12_1126:                            ;   Parent Loop BB12_47 Depth=1
                                        ;     Parent Loop BB12_1003 Depth=2
                                        ; =>    This Inner Loop Header: Depth=3
	s_add_i32 s71, s71, 1
	s_cmpk_lg_i32 s71, 0x2710
	s_cselect_b64 s[66:67], -1, 0
	s_and_b64 vcc, exec, s[66:67]
                                        ; implicit-def: $sgpr68_sgpr69
	s_cbranch_vccnz .LBB12_1128
; %bb.1127:                             ;   in Loop: Header=BB12_1126 Depth=3
	s_trap 2
	ds_read_b64 v[4:5], v0
	s_andn2_b64 s[66:67], s[66:67], exec
	s_mov_b32 s71, 0
	s_mov_b64 s[68:69], -1
	s_waitcnt vmcnt(0) lgkmcnt(0)
	flat_load_dword v0, v[4:5] sc0 sc1
	s_waitcnt vmcnt(0) lgkmcnt(0)
	buffer_inv sc0 sc1
	v_cmp_eq_u32_e32 vcc, 0, v0
	s_and_b64 vcc, vcc, exec
	s_or_b64 s[66:67], s[66:67], vcc
.LBB12_1128:                            ;   in Loop: Header=BB12_1126 Depth=3
	s_andn2_b64 s[64:65], s[64:65], exec
	s_and_b64 s[68:69], s[68:69], exec
	s_mov_b64 vcc, -1
	s_or_b64 s[64:65], s[64:65], s[68:69]
	s_and_saveexec_b64 s[68:69], s[66:67]
	s_cbranch_execz .LBB12_1125
; %bb.1129:                             ;   in Loop: Header=BB12_1126 Depth=3
	s_sleep 1
	s_trap 2
	ds_read_b64 v[4:5], v0
	s_andn2_b64 s[64:65], s[64:65], exec
	s_waitcnt lgkmcnt(0)
	v_cmp_ge_u64_e32 vcc, v[4:5], v[32:33]
	s_orn2_b64 vcc, vcc, exec
	s_branch .LBB12_1125
.LBB12_1130:                            ;   in Loop: Header=BB12_1003 Depth=2
	s_or_b64 exec, exec, s[60:61]
	s_and_saveexec_b64 vcc, s[62:63]
	s_xor_b64 vcc, exec, vcc
	s_cbranch_execz .LBB12_1132
; %bb.1131:                             ;   in Loop: Header=BB12_1003 Depth=2
	ds_write_b32 v0, v31
	s_trap 2
.LBB12_1132:                            ;   in Loop: Header=BB12_1003 Depth=2
	s_or_b64 exec, exec, s[58:59]
	;;#ASMSTART
	s_wakeup
	;;#ASMEND
.LBB12_1133:                            ;   in Loop: Header=BB12_1003 Depth=2
	s_or_b64 exec, exec, s[56:57]
.LBB12_1134:                            ;   in Loop: Header=BB12_1003 Depth=2
	s_andn2_saveexec_b64 vcc, s[54:55]
	s_cbranch_execz .LBB12_1136
; %bb.1135:                             ;   in Loop: Header=BB12_1003 Depth=2
	;;#ASMSTART
	s_waitcnt lgkmcnt(0) vmcnt(0)
	;;#ASMEND
	s_barrier
.LBB12_1136:                            ;   in Loop: Header=BB12_1003 Depth=2
	s_or_b64 exec, exec, vcc
.LBB12_1137:                            ;   in Loop: Header=BB12_1003 Depth=2
	s_or_b64 exec, exec, s[22:23]
	v_and_b32_e32 v0, 32, v62
	v_cmp_ne_u32_e32 vcc, 0, v0
	s_and_saveexec_b64 s[22:23], vcc
	s_cbranch_execz .LBB12_1002
; %bb.1138:                             ;   in Loop: Header=BB12_1003 Depth=2
	v_lshl_add_u64 v[40:41], v[40:41], 0, 2
	flat_store_dwordx2 v[42:43], v[40:41] sc0 sc1
	s_branch .LBB12_1002
.LBB12_1139:                            ;   in Loop: Header=BB12_47 Depth=1
	s_or_b64 exec, exec, s[26:27]
.LBB12_1140:                            ;   in Loop: Header=BB12_47 Depth=1
	s_or_b64 exec, exec, s[24:25]
	v_cmp_gt_i32_e32 vcc, 2, v2
	s_and_saveexec_b64 s[24:25], vcc
	s_cbranch_execz .LBB12_46
; %bb.1141:                             ;   in Loop: Header=BB12_47 Depth=1
	v_cmp_eq_u32_e64 s[22:23], 0, v2
	s_mov_b64 s[26:27], 0
	s_branch .LBB12_1143
.LBB12_1142:                            ;   in Loop: Header=BB12_1143 Depth=2
	s_or_b64 exec, exec, s[22:23]
	v_add_u32_e32 v24, v22, v24
	s_mov_b64 s[22:23], 0
	s_andn2_b64 exec, exec, s[26:27]
	s_cbranch_execz .LBB12_45
.LBB12_1143:                            ;   Parent Loop BB12_47 Depth=1
                                        ; =>  This Loop Header: Depth=2
                                        ;       Child Loop BB12_1149 Depth 3
                                        ;       Child Loop BB12_1173 Depth 3
	;; [unrolled: 1-line block ×3, first 2 shown]
	v_and_b32_e32 v0, 4, v62
	s_mov_b64 s[54:55], -1
	v_cmp_ne_u32_e32 vcc, 0, v0
	s_and_saveexec_b64 s[28:29], vcc
	s_cbranch_execz .LBB12_1155
; %bb.1144:                             ;   in Loop: Header=BB12_1143 Depth=2
	v_lshl_add_u64 v[4:5], v[40:41], 0, 2
	v_cmp_lt_u64_e32 vcc, v[56:57], v[4:5]
	v_mov_b32_e32 v2, 1
	s_and_saveexec_b64 s[54:55], vcc
	s_cbranch_execz .LBB12_1154
; %bb.1145:                             ;   in Loop: Header=BB12_1143 Depth=2
	s_mov_b64 s[56:57], 0
	v_mov_b32_e32 v2, 0
                                        ; implicit-def: $sgpr58_sgpr59
	s_branch .LBB12_1149
.LBB12_1146:                            ;   in Loop: Header=BB12_1149 Depth=3
	s_or_b64 exec, exec, s[66:67]
	v_mov_b32_e32 v7, 0
	s_orn2_b64 s[64:65], s[64:65], exec
.LBB12_1147:                            ;   in Loop: Header=BB12_1149 Depth=3
	s_or_b64 exec, exec, s[62:63]
	s_andn2_b64 vcc, s[58:59], exec
	s_and_b64 s[58:59], s[64:65], exec
	s_or_b64 s[58:59], vcc, s[58:59]
	v_mov_b32_e32 v2, v7
.LBB12_1148:                            ;   in Loop: Header=BB12_1149 Depth=3
	s_or_b64 exec, exec, s[60:61]
	s_waitcnt vmcnt(0) lgkmcnt(0)
	v_cmp_ge_u64_e32 vcc, v[56:57], v[4:5]
	s_xor_b64 s[60:61], s[58:59], -1
	s_or_b64 vcc, s[60:61], vcc
	s_and_b64 vcc, exec, vcc
	s_or_b64 s[56:57], vcc, s[56:57]
	s_andn2_b64 exec, exec, s[56:57]
	s_cbranch_execz .LBB12_1153
.LBB12_1149:                            ;   Parent Loop BB12_47 Depth=1
                                        ;     Parent Loop BB12_1143 Depth=2
                                        ; =>    This Inner Loop Header: Depth=3
	s_sleep 1
	flat_load_dwordx2 v[56:57], v[42:43] sc0 sc1
	v_and_b32_e32 v0, 64, v62
	v_cmp_eq_u32_e32 vcc, 0, v0
	s_andn2_b64 s[58:59], s[58:59], exec
	s_and_saveexec_b64 s[60:61], vcc
	s_cbranch_execz .LBB12_1148
; %bb.1150:                             ;   in Loop: Header=BB12_1149 Depth=3
	v_add_u32_e32 v7, 1, v2
	v_cmp_lt_i32_e32 vcc, s82, v2
	s_mov_b64 s[64:65], -1
	s_and_saveexec_b64 s[62:63], vcc
	s_cbranch_execz .LBB12_1147
; %bb.1151:                             ;   in Loop: Header=BB12_1149 Depth=3
	s_trap 2
	ds_read_b64 v[8:9], v0
	s_waitcnt vmcnt(0) lgkmcnt(0)
	flat_load_dword v2, v[8:9] sc0 sc1
	s_waitcnt vmcnt(0) lgkmcnt(0)
	buffer_inv sc0 sc1
	v_cmp_ne_u32_e32 vcc, 0, v2
	s_and_saveexec_b64 s[66:67], vcc
	s_cbranch_execz .LBB12_1146
; %bb.1152:                             ;   in Loop: Header=BB12_1149 Depth=3
	v_or_b32_e32 v62, 64, v62
	s_xor_b64 s[64:65], exec, -1
	ds_write_b32 v0, v2
	s_trap 2
	s_branch .LBB12_1146
.LBB12_1153:                            ;   in Loop: Header=BB12_1143 Depth=2
	s_or_b64 exec, exec, s[56:57]
	v_and_b32_e32 v2, 4, v62
.LBB12_1154:                            ;   in Loop: Header=BB12_1143 Depth=2
	s_or_b64 exec, exec, s[54:55]
	v_cmp_eq_u32_e32 vcc, 0, v2
	s_orn2_b64 s[54:55], vcc, exec
	;;#ASMSTART
	s_wakeup
	;;#ASMEND
.LBB12_1155:                            ;   in Loop: Header=BB12_1143 Depth=2
	s_or_b64 exec, exec, s[28:29]
	s_xor_b64 s[22:23], s[22:23], -1
	s_and_b64 s[22:23], exec, s[22:23]
	s_or_b64 s[26:27], s[22:23], s[26:27]
	s_xor_b64 s[22:23], s[54:55], -1
	s_and_saveexec_b64 s[28:29], s[22:23]
	s_cbranch_execz .LBB12_1165
; %bb.1156:                             ;   in Loop: Header=BB12_1143 Depth=2
	v_and_b32_e32 v0, 0x100, v62
	v_cmp_ne_u32_e32 vcc, 0, v0
	v_and_b32_e32 v2, 7, v40
	s_mov_b64 s[22:23], -1
                                        ; implicit-def: $vgpr4_vgpr5
	s_and_saveexec_b64 s[54:55], vcc
	s_cbranch_execz .LBB12_1160
; %bb.1157:                             ;   in Loop: Header=BB12_1143 Depth=2
	v_mad_u64_u32 v[8:9], s[22:23], v2, 24, v[48:49]
	flat_load_dword v0, v[8:9]
                                        ; implicit-def: $vgpr4_vgpr5
	s_waitcnt vmcnt(0) lgkmcnt(0)
	v_cmp_ne_u32_e32 vcc, 1, v0
	v_cmp_eq_u32_e64 s[22:23], 1, v0
	s_and_saveexec_b64 s[56:57], s[22:23]
	s_cbranch_execz .LBB12_1159
; %bb.1158:                             ;   in Loop: Header=BB12_1143 Depth=2
	flat_load_dword v4, v[8:9] offset:4 sc0 sc1
	s_waitcnt vmcnt(0) lgkmcnt(0)
	v_ashrrev_i32_e32 v5, 31, v4
	v_lshrrev_b64 v[4:5], 1, v[4:5]
.LBB12_1159:                            ;   in Loop: Header=BB12_1143 Depth=2
	s_or_b64 exec, exec, s[56:57]
	s_orn2_b64 s[22:23], vcc, exec
.LBB12_1160:                            ;   in Loop: Header=BB12_1143 Depth=2
	s_or_b64 exec, exec, s[54:55]
	s_and_saveexec_b64 vcc, s[22:23]
; %bb.1161:                             ;   in Loop: Header=BB12_1143 Depth=2
	v_mad_i64_i32 v[4:5], s[22:23], v2, v44, 0
; %bb.1162:                             ;   in Loop: Header=BB12_1143 Depth=2
	s_or_b64 exec, exec, vcc
	v_lshl_add_u64 v[4:5], v[4:5], 1, v[38:39]
	ds_write_b64 v0, v[4:5] offset:720
	v_and_b32_e32 v0, 0x2000, v62
	v_cmp_ne_u32_e32 vcc, 0, v0
	s_and_saveexec_b64 s[22:23], vcc
	s_cbranch_execz .LBB12_1164
; %bb.1163:                             ;   in Loop: Header=BB12_1143 Depth=2
	ds_read_b64 v[4:5], v0 offset:584
	s_waitcnt lgkmcnt(0)
	v_lshl_add_u64 v[4:5], v[4:5], 0, 1
	ds_write_b64 v0, v[4:5] offset:584
.LBB12_1164:                            ;   in Loop: Header=BB12_1143 Depth=2
	s_or_b64 exec, exec, s[22:23]
	v_lshl_add_u64 v[40:41], v[40:41], 0, 2
.LBB12_1165:                            ;   in Loop: Header=BB12_1143 Depth=2
	s_or_b64 exec, exec, s[28:29]
	s_and_saveexec_b64 s[22:23], s[4:5]
	s_cbranch_execz .LBB12_1184
; %bb.1166:                             ;   in Loop: Header=BB12_1143 Depth=2
	s_and_saveexec_b64 s[28:29], s[38:39]
	s_xor_b64 s[28:29], exec, s[28:29]
	s_cbranch_execz .LBB12_1181
; %bb.1167:                             ;   in Loop: Header=BB12_1143 Depth=2
	s_and_saveexec_b64 s[54:55], s[12:13]
	s_cbranch_execz .LBB12_1180
; %bb.1168:                             ;   in Loop: Header=BB12_1143 Depth=2
	s_mov_b64 s[58:59], exec
	v_mbcnt_lo_u32_b32 v0, s58, 0
	v_mbcnt_hi_u32_b32 v0, s59, v0
	v_cmp_eq_u32_e32 vcc, 0, v0
	s_waitcnt lgkmcnt(0)
	s_and_saveexec_b64 s[56:57], vcc
	s_cbranch_execz .LBB12_1170
; %bb.1169:                             ;   in Loop: Header=BB12_1143 Depth=2
	s_bcnt1_i32_b64 vcc_lo, s[58:59]
	v_mov_b32_e32 v2, vcc_lo
	ds_add_u64 v0, v[2:3]
	s_trap 2
.LBB12_1170:                            ;   in Loop: Header=BB12_1143 Depth=2
	s_or_b64 exec, exec, s[56:57]
	s_trap 2
	ds_read_b64 v[4:5], v0
	v_lshl_add_u64 v[32:33], v[32:33], 0, v[52:53]
	s_waitcnt lgkmcnt(0)
	v_cmp_lt_u64_e32 vcc, v[4:5], v[32:33]
	s_and_saveexec_b64 s[56:57], vcc
	s_cbranch_execz .LBB12_1179
; %bb.1171:                             ;   in Loop: Header=BB12_1143 Depth=2
	s_mov_b32 s68, 0
	s_mov_b64 s[58:59], 0
                                        ; implicit-def: $sgpr60_sgpr61
                                        ; implicit-def: $sgpr62_sgpr63
	s_branch .LBB12_1173
.LBB12_1172:                            ;   in Loop: Header=BB12_1173 Depth=3
	s_or_b64 exec, exec, s[66:67]
	s_and_b64 vcc, exec, vcc
	s_or_b64 s[58:59], vcc, s[58:59]
	s_andn2_b64 vcc, s[60:61], exec
	s_and_b64 s[60:61], s[62:63], exec
	s_or_b64 s[60:61], vcc, s[60:61]
	s_andn2_b64 exec, exec, s[58:59]
	s_cbranch_execz .LBB12_1177
.LBB12_1173:                            ;   Parent Loop BB12_47 Depth=1
                                        ;     Parent Loop BB12_1143 Depth=2
                                        ; =>    This Inner Loop Header: Depth=3
	s_add_i32 s68, s68, 1
	s_cmpk_lg_i32 s68, 0x2710
	s_cselect_b64 s[64:65], -1, 0
	s_and_b64 vcc, exec, s[64:65]
                                        ; implicit-def: $sgpr66_sgpr67
	s_cbranch_vccnz .LBB12_1175
; %bb.1174:                             ;   in Loop: Header=BB12_1173 Depth=3
	s_trap 2
	ds_read_b64 v[4:5], v0
	s_andn2_b64 s[64:65], s[64:65], exec
	s_mov_b32 s68, 0
	s_mov_b64 s[66:67], -1
	s_waitcnt vmcnt(0) lgkmcnt(0)
	flat_load_dword v0, v[4:5] sc0 sc1
	s_waitcnt vmcnt(0) lgkmcnt(0)
	buffer_inv sc0 sc1
	v_cmp_eq_u32_e32 vcc, 0, v0
	s_and_b64 vcc, vcc, exec
	s_or_b64 s[64:65], s[64:65], vcc
.LBB12_1175:                            ;   in Loop: Header=BB12_1173 Depth=3
	s_andn2_b64 s[62:63], s[62:63], exec
	s_and_b64 s[66:67], s[66:67], exec
	s_mov_b64 vcc, -1
	s_or_b64 s[62:63], s[62:63], s[66:67]
	s_and_saveexec_b64 s[66:67], s[64:65]
	s_cbranch_execz .LBB12_1172
; %bb.1176:                             ;   in Loop: Header=BB12_1173 Depth=3
	s_sleep 1
	s_trap 2
	ds_read_b64 v[4:5], v0
	s_andn2_b64 s[62:63], s[62:63], exec
	s_waitcnt lgkmcnt(0)
	v_cmp_ge_u64_e32 vcc, v[4:5], v[32:33]
	s_orn2_b64 vcc, vcc, exec
	s_branch .LBB12_1172
.LBB12_1177:                            ;   in Loop: Header=BB12_1143 Depth=2
	s_or_b64 exec, exec, s[58:59]
	s_and_saveexec_b64 vcc, s[60:61]
	s_xor_b64 vcc, exec, vcc
	s_cbranch_execz .LBB12_1179
; %bb.1178:                             ;   in Loop: Header=BB12_1143 Depth=2
	ds_write_b32 v0, v31
	s_trap 2
.LBB12_1179:                            ;   in Loop: Header=BB12_1143 Depth=2
	s_or_b64 exec, exec, s[56:57]
	;;#ASMSTART
	s_wakeup
	;;#ASMEND
.LBB12_1180:                            ;   in Loop: Header=BB12_1143 Depth=2
	s_or_b64 exec, exec, s[54:55]
.LBB12_1181:                            ;   in Loop: Header=BB12_1143 Depth=2
	s_andn2_saveexec_b64 s[28:29], s[28:29]
	s_cbranch_execz .LBB12_1183
; %bb.1182:                             ;   in Loop: Header=BB12_1143 Depth=2
	s_waitcnt lgkmcnt(0)
	s_barrier
.LBB12_1183:                            ;   in Loop: Header=BB12_1143 Depth=2
	s_or_b64 exec, exec, s[28:29]
.LBB12_1184:                            ;   in Loop: Header=BB12_1143 Depth=2
	s_or_b64 exec, exec, s[22:23]
	v_sub_u32_e32 v0, v6, v24
	v_min_i32_e32 v22, v22, v0
	s_and_saveexec_b64 s[22:23], s[20:21]
	s_xor_b64 s[22:23], exec, s[22:23]
	s_cbranch_execz .LBB12_1188
; %bb.1185:                             ;   in Loop: Header=BB12_1143 Depth=2
	s_trap 2
	ds_read_b32 v0, v0
	v_cmp_lt_i32_e32 vcc, 0, v22
	v_and_b32_e32 v1, 16, v62
	s_waitcnt lgkmcnt(0)
	v_readfirstlane_b32 s28, v0
	s_cmp_eq_u32 s28, 0
	s_cselect_b64 s[28:29], -1, 0
	s_and_b64 s[28:29], vcc, s[28:29]
	v_cmp_ne_u32_e32 vcc, 0, v1
	s_and_b64 vcc, vcc, s[28:29]
	s_and_saveexec_b64 s[28:29], vcc
	s_cbranch_execz .LBB12_1187
; %bb.1186:                             ;   in Loop: Header=BB12_1143 Depth=2
	buffer_wbl2 sc1
	s_waitcnt vmcnt(0)
	buffer_inv sc1
.LBB12_1187:                            ;   in Loop: Header=BB12_1143 Depth=2
	s_or_b64 exec, exec, s[28:29]
.LBB12_1188:                            ;   in Loop: Header=BB12_1143 Depth=2
	s_andn2_saveexec_b64 s[22:23], s[22:23]
	s_cbranch_execz .LBB12_1207
; %bb.1189:                             ;   in Loop: Header=BB12_1143 Depth=2
	s_and_saveexec_b64 s[28:29], s[38:39]
	s_xor_b64 s[28:29], exec, s[28:29]
	s_cbranch_execz .LBB12_1204
; %bb.1190:                             ;   in Loop: Header=BB12_1143 Depth=2
	s_and_saveexec_b64 s[54:55], s[12:13]
	s_cbranch_execz .LBB12_1203
; %bb.1191:                             ;   in Loop: Header=BB12_1143 Depth=2
	s_mov_b64 s[58:59], exec
	v_mbcnt_lo_u32_b32 v0, s58, 0
	v_mbcnt_hi_u32_b32 v0, s59, v0
	v_cmp_eq_u32_e32 vcc, 0, v0
	;;#ASMSTART
	s_waitcnt lgkmcnt(0) vmcnt(0)
	;;#ASMEND
	s_and_saveexec_b64 s[56:57], vcc
	s_cbranch_execz .LBB12_1193
; %bb.1192:                             ;   in Loop: Header=BB12_1143 Depth=2
	s_bcnt1_i32_b64 vcc_lo, s[58:59]
	v_mov_b32_e32 v2, vcc_lo
	ds_add_u64 v0, v[2:3]
	s_trap 2
.LBB12_1193:                            ;   in Loop: Header=BB12_1143 Depth=2
	s_or_b64 exec, exec, s[56:57]
	s_trap 2
	ds_read_b64 v[4:5], v0
	v_lshl_add_u64 v[32:33], v[32:33], 0, v[52:53]
	s_waitcnt lgkmcnt(0)
	v_cmp_lt_u64_e32 vcc, v[4:5], v[32:33]
	s_and_saveexec_b64 s[56:57], vcc
	s_cbranch_execz .LBB12_1202
; %bb.1194:                             ;   in Loop: Header=BB12_1143 Depth=2
	s_mov_b32 s68, 0
	s_mov_b64 s[58:59], 0
                                        ; implicit-def: $sgpr60_sgpr61
                                        ; implicit-def: $sgpr62_sgpr63
	s_branch .LBB12_1196
.LBB12_1195:                            ;   in Loop: Header=BB12_1196 Depth=3
	s_or_b64 exec, exec, s[66:67]
	s_and_b64 vcc, exec, vcc
	s_or_b64 s[58:59], vcc, s[58:59]
	s_andn2_b64 vcc, s[60:61], exec
	s_and_b64 s[60:61], s[62:63], exec
	s_or_b64 s[60:61], vcc, s[60:61]
	s_andn2_b64 exec, exec, s[58:59]
	s_cbranch_execz .LBB12_1200
.LBB12_1196:                            ;   Parent Loop BB12_47 Depth=1
                                        ;     Parent Loop BB12_1143 Depth=2
                                        ; =>    This Inner Loop Header: Depth=3
	s_add_i32 s68, s68, 1
	s_cmpk_lg_i32 s68, 0x2710
	s_cselect_b64 s[64:65], -1, 0
	s_and_b64 vcc, exec, s[64:65]
                                        ; implicit-def: $sgpr66_sgpr67
	s_cbranch_vccnz .LBB12_1198
; %bb.1197:                             ;   in Loop: Header=BB12_1196 Depth=3
	s_trap 2
	ds_read_b64 v[4:5], v0
	s_andn2_b64 s[64:65], s[64:65], exec
	s_mov_b32 s68, 0
	s_mov_b64 s[66:67], -1
	s_waitcnt vmcnt(0) lgkmcnt(0)
	flat_load_dword v0, v[4:5] sc0 sc1
	s_waitcnt vmcnt(0) lgkmcnt(0)
	buffer_inv sc0 sc1
	v_cmp_eq_u32_e32 vcc, 0, v0
	s_and_b64 vcc, vcc, exec
	s_or_b64 s[64:65], s[64:65], vcc
.LBB12_1198:                            ;   in Loop: Header=BB12_1196 Depth=3
	s_andn2_b64 s[62:63], s[62:63], exec
	s_and_b64 s[66:67], s[66:67], exec
	s_mov_b64 vcc, -1
	s_or_b64 s[62:63], s[62:63], s[66:67]
	s_and_saveexec_b64 s[66:67], s[64:65]
	s_cbranch_execz .LBB12_1195
; %bb.1199:                             ;   in Loop: Header=BB12_1196 Depth=3
	s_sleep 1
	s_trap 2
	ds_read_b64 v[4:5], v0
	s_andn2_b64 s[62:63], s[62:63], exec
	s_waitcnt lgkmcnt(0)
	v_cmp_ge_u64_e32 vcc, v[4:5], v[32:33]
	s_orn2_b64 vcc, vcc, exec
	s_branch .LBB12_1195
.LBB12_1200:                            ;   in Loop: Header=BB12_1143 Depth=2
	s_or_b64 exec, exec, s[58:59]
	s_and_saveexec_b64 vcc, s[60:61]
	s_xor_b64 vcc, exec, vcc
	s_cbranch_execz .LBB12_1202
; %bb.1201:                             ;   in Loop: Header=BB12_1143 Depth=2
	ds_write_b32 v0, v31
	s_trap 2
.LBB12_1202:                            ;   in Loop: Header=BB12_1143 Depth=2
	s_or_b64 exec, exec, s[56:57]
	;;#ASMSTART
	s_wakeup
	;;#ASMEND
.LBB12_1203:                            ;   in Loop: Header=BB12_1143 Depth=2
	s_or_b64 exec, exec, s[54:55]
.LBB12_1204:                            ;   in Loop: Header=BB12_1143 Depth=2
	s_andn2_saveexec_b64 s[28:29], s[28:29]
	s_cbranch_execz .LBB12_1206
; %bb.1205:                             ;   in Loop: Header=BB12_1143 Depth=2
	;;#ASMSTART
	s_waitcnt lgkmcnt(0) vmcnt(0)
	;;#ASMEND
	s_barrier
.LBB12_1206:                            ;   in Loop: Header=BB12_1143 Depth=2
	s_or_b64 exec, exec, s[28:29]
.LBB12_1207:                            ;   in Loop: Header=BB12_1143 Depth=2
	s_or_b64 exec, exec, s[22:23]
	v_and_b32_e32 v0, 32, v62
	v_cmp_ne_u32_e32 vcc, 0, v0
	s_and_saveexec_b64 s[22:23], vcc
	s_cbranch_execz .LBB12_1142
; %bb.1208:                             ;   in Loop: Header=BB12_1143 Depth=2
	v_lshl_add_u64 v[40:41], v[40:41], 0, 2
	flat_store_dwordx2 v[42:43], v[40:41] sc0 sc1
	s_branch .LBB12_1142
.LBB12_1209:
	s_or_b64 exec, exec, s[36:37]
	v_accvgpr_read_b32 v23, a11
	v_accvgpr_read_b32 v1, a0
	;; [unrolled: 1-line block ×3, first 2 shown]
	s_waitcnt vmcnt(0)
	v_accvgpr_read_b32 v16, a2
	v_accvgpr_read_b32 v22, a10
.LBB12_1210:
	s_or_b64 exec, exec, s[34:35]
	v_and_b32_e32 v0, 0x800, v62
	v_cmp_eq_u32_e32 vcc, 0, v0
	s_and_saveexec_b64 s[0:1], vcc
	s_cbranch_execz .LBB12_1245
; %bb.1211:
	v_and_b32_e32 v0, 48, v62
	v_cmp_ne_u32_e32 vcc, 0, v0
	s_and_saveexec_b64 s[2:3], vcc
	s_cbranch_execz .LBB12_1213
; %bb.1212:
	flat_store_dwordx2 v[22:23], v[40:41] offset:104
.LBB12_1213:
	s_or_b64 exec, exec, s[2:3]
	s_movk_i32 s2, 0x88
	v_and_b32_e32 v0, 0x88, v62
	v_cmp_eq_u32_e32 vcc, s2, v0
	s_and_saveexec_b64 s[2:3], vcc
	s_cbranch_execz .LBB12_1225
; %bb.1214:
	v_add_u32_e32 v0, 6, v40
	v_and_b32_e32 v0, 7, v0
	v_mad_u64_u32 v[2:3], s[4:5], v0, 24, v[48:49]
	v_lshl_add_u64 v[2:3], v[2:3], 0, 8
	s_mov_b64 s[4:5], 0
	v_mov_b32_e32 v0, 0
	s_movk_i32 s20, 0x270e
                                        ; implicit-def: $sgpr6_sgpr7
	s_branch .LBB12_1219
.LBB12_1215:                            ;   in Loop: Header=BB12_1219 Depth=1
	s_or_b64 exec, exec, s[18:19]
	v_mov_b32_e32 v4, 0
	s_orn2_b64 s[16:17], s[16:17], exec
.LBB12_1216:                            ;   in Loop: Header=BB12_1219 Depth=1
	s_or_b64 exec, exec, s[14:15]
	s_and_b64 s[14:15], s[16:17], exec
	v_mov_b32_e32 v0, v4
.LBB12_1217:                            ;   in Loop: Header=BB12_1219 Depth=1
	s_or_b64 exec, exec, s[12:13]
	s_xor_b64 s[12:13], s[14:15], -1
	s_andn2_b64 s[6:7], s[6:7], exec
	s_and_b64 s[12:13], s[12:13], exec
	s_or_b64 s[6:7], s[6:7], s[12:13]
.LBB12_1218:                            ;   in Loop: Header=BB12_1219 Depth=1
	s_or_b64 exec, exec, s[10:11]
	s_and_b64 s[10:11], exec, s[6:7]
	s_or_b64 s[4:5], s[10:11], s[4:5]
	s_andn2_b64 exec, exec, s[4:5]
	s_cbranch_execz .LBB12_1224
.LBB12_1219:                            ; =>This Inner Loop Header: Depth=1
	flat_load_dwordx2 v[4:5], v[2:3] sc0 sc1
	s_waitcnt vmcnt(0)
	s_or_b64 s[6:7], s[6:7], exec
	s_waitcnt lgkmcnt(0)
	v_cmp_ne_u64_e32 vcc, -1, v[4:5]
	s_and_saveexec_b64 s[10:11], vcc
	s_cbranch_execz .LBB12_1218
; %bb.1220:                             ;   in Loop: Header=BB12_1219 Depth=1
	v_and_b32_e32 v4, 64, v62
	v_cmp_eq_u32_e32 vcc, 0, v4
	s_mov_b64 s[14:15], 0
	s_and_saveexec_b64 s[12:13], vcc
	s_cbranch_execz .LBB12_1217
; %bb.1221:                             ;   in Loop: Header=BB12_1219 Depth=1
	v_add_u32_e32 v4, 1, v0
	v_cmp_lt_i32_e32 vcc, s20, v0
	s_mov_b64 s[16:17], -1
	s_and_saveexec_b64 s[14:15], vcc
	s_cbranch_execz .LBB12_1216
; %bb.1222:                             ;   in Loop: Header=BB12_1219 Depth=1
	s_trap 2
	ds_read_b64 v[4:5], v0
	s_waitcnt lgkmcnt(0)
	flat_load_dword v0, v[4:5] sc0 sc1
	s_waitcnt vmcnt(0) lgkmcnt(0)
	buffer_inv sc0 sc1
	v_cmp_ne_u32_e32 vcc, 0, v0
	s_and_saveexec_b64 s[18:19], vcc
	s_cbranch_execz .LBB12_1215
; %bb.1223:                             ;   in Loop: Header=BB12_1219 Depth=1
	v_or_b32_e32 v62, 64, v62
	s_xor_b64 s[16:17], exec, -1
	ds_write_b32 v0, v0
	s_trap 2
	s_branch .LBB12_1215
.LBB12_1224:
	s_or_b64 exec, exec, s[4:5]
.LBB12_1225:
	s_or_b64 exec, exec, s[2:3]
	v_and_b32_e32 v0, 0x2000, v62
	v_cmp_ne_u32_e32 vcc, 0, v0
	s_and_saveexec_b64 s[2:3], vcc
	s_cbranch_execz .LBB12_1227
; %bb.1226:
	s_trap 2
	ds_read_b64 v[2:3], v0
	v_accvgpr_read_b32 v4, a8
	v_accvgpr_read_b32 v5, a9
	s_waitcnt lgkmcnt(0)
	flat_store_dwordx2 v[4:5], v[2:3] offset:16
.LBB12_1227:
	s_or_b64 exec, exec, s[2:3]
	v_cmp_ne_u32_e32 vcc, 64, v1
	s_and_b64 exec, exec, vcc
	s_cbranch_execz .LBB12_1245
; %bb.1228:
	v_cmp_ne_u32_sdwa s[2:3], v16, v1 src0_sel:WORD_0 src1_sel:DWORD
	s_and_saveexec_b64 s[4:5], s[2:3]
	s_xor_b64 s[2:3], exec, s[4:5]
	s_cbranch_execz .LBB12_1243
; %bb.1229:
	v_and_b32_e32 v0, 63, v31
	v_cmp_eq_u32_e32 vcc, 0, v0
	s_and_saveexec_b64 s[4:5], vcc
	s_cbranch_execz .LBB12_1242
; %bb.1230:
	s_mov_b64 s[10:11], exec
	v_mbcnt_lo_u32_b32 v0, s10, 0
	v_mbcnt_hi_u32_b32 v0, s11, v0
	v_cmp_eq_u32_e32 vcc, 0, v0
	s_waitcnt lgkmcnt(0)
	s_and_saveexec_b64 s[6:7], vcc
	s_cbranch_execz .LBB12_1232
; %bb.1231:
	s_bcnt1_i32_b64 s10, s[10:11]
	v_mov_b32_e32 v2, s10
	v_mov_b32_e32 v3, 0
	ds_add_u64 v0, v[2:3]
	s_trap 2
.LBB12_1232:
	s_or_b64 exec, exec, s[6:7]
	v_ashrrev_i32_e32 v0, 31, v1
	v_lshrrev_b32_e32 v0, 26, v0
	s_trap 2
	ds_read_b64 v[2:3], v0
	v_add_u32_e32 v0, v1, v0
	v_ashrrev_i32_e32 v0, 6, v0
	v_ashrrev_i32_e32 v1, 31, v0
	v_lshl_add_u64 v[0:1], v[32:33], 0, v[0:1]
	s_waitcnt lgkmcnt(0)
	v_cmp_lt_u64_e32 vcc, v[2:3], v[0:1]
	s_and_saveexec_b64 s[6:7], vcc
	s_cbranch_execz .LBB12_1241
; %bb.1233:
	s_mov_b32 s22, 0
	s_mov_b64 s[10:11], 0
                                        ; implicit-def: $sgpr12_sgpr13
                                        ; implicit-def: $sgpr14_sgpr15
	s_branch .LBB12_1235
.LBB12_1234:                            ;   in Loop: Header=BB12_1235 Depth=1
	s_or_b64 exec, exec, s[20:21]
	s_and_b64 s[16:17], exec, s[18:19]
	s_or_b64 s[10:11], s[16:17], s[10:11]
	s_andn2_b64 s[12:13], s[12:13], exec
	s_and_b64 s[16:17], s[14:15], exec
	s_or_b64 s[12:13], s[12:13], s[16:17]
	s_andn2_b64 exec, exec, s[10:11]
	s_cbranch_execz .LBB12_1239
.LBB12_1235:                            ; =>This Inner Loop Header: Depth=1
	s_add_i32 s22, s22, 1
	s_cmpk_lg_i32 s22, 0x2710
	s_cselect_b64 s[16:17], -1, 0
	s_and_b64 vcc, exec, s[16:17]
                                        ; implicit-def: $sgpr20_sgpr21
	s_cbranch_vccnz .LBB12_1237
; %bb.1236:                             ;   in Loop: Header=BB12_1235 Depth=1
	s_trap 2
	ds_read_b64 v[2:3], v0
	s_andn2_b64 s[16:17], s[16:17], exec
	s_mov_b32 s22, 0
	s_mov_b64 s[20:21], -1
	s_waitcnt vmcnt(0) lgkmcnt(0)
	flat_load_dword v2, v[2:3] sc0 sc1
	s_waitcnt vmcnt(0) lgkmcnt(0)
	buffer_inv sc0 sc1
	v_cmp_eq_u32_e32 vcc, 0, v2
	s_and_b64 s[18:19], vcc, exec
	s_or_b64 s[16:17], s[16:17], s[18:19]
.LBB12_1237:                            ;   in Loop: Header=BB12_1235 Depth=1
	s_andn2_b64 s[14:15], s[14:15], exec
	s_and_b64 s[20:21], s[20:21], exec
	s_mov_b64 s[18:19], -1
	s_or_b64 s[14:15], s[14:15], s[20:21]
	s_and_saveexec_b64 s[20:21], s[16:17]
	s_cbranch_execz .LBB12_1234
; %bb.1238:                             ;   in Loop: Header=BB12_1235 Depth=1
	s_sleep 1
	s_trap 2
	ds_read_b64 v[2:3], v0
	s_andn2_b64 s[14:15], s[14:15], exec
	s_waitcnt lgkmcnt(0)
	v_cmp_ge_u64_e32 vcc, v[2:3], v[0:1]
	s_orn2_b64 s[18:19], vcc, exec
	s_branch .LBB12_1234
.LBB12_1239:
	s_or_b64 exec, exec, s[10:11]
	s_and_saveexec_b64 s[10:11], s[12:13]
	s_xor_b64 s[10:11], exec, s[10:11]
	s_cbranch_execz .LBB12_1241
; %bb.1240:
	v_mov_b32_e32 v0, 1
	ds_write_b32 v0, v0
	s_trap 2
.LBB12_1241:
	s_or_b64 exec, exec, s[6:7]
	;;#ASMSTART
	s_wakeup
	;;#ASMEND
.LBB12_1242:
	s_or_b64 exec, exec, s[4:5]
.LBB12_1243:
	s_andn2_saveexec_b64 s[2:3], s[2:3]
	s_cbranch_execz .LBB12_1245
; %bb.1244:
	s_waitcnt lgkmcnt(0)
	s_barrier
.LBB12_1245:
	s_or_b64 exec, exec, s[0:1]
.LBB12_1246:
	s_andn2_saveexec_b64 s[22:23], s[30:31]
	s_cbranch_execz .LBB12_1248
; %bb.1247:
	s_getpc_b64 s[0:1]
	s_add_u32 s0, s0, __PRETTY_FUNCTION__._ZN10PrimitivesI6__half8FuncProdIS0_E12FanSymmetricILi1EELi0E11ProtoSimpleILi2ELi2ELi1ELi2ELi0ELi0EELi0ELb0ELi0ELi0ELi1EEC2EiiPKiS9_PKvPvmhhhP15ncclDevWorkCollP14ncclDevWorkP2pii@rel32@lo+4
	s_addc_u32 s1, s1, __PRETTY_FUNCTION__._ZN10PrimitivesI6__half8FuncProdIS0_E12FanSymmetricILi1EELi0E11ProtoSimpleILi2ELi2ELi1ELi2ELi0ELi0EELi0ELb0ELi0ELi0ELi1EEC2EiiPKiS9_PKvPvmhhhP15ncclDevWorkCollP14ncclDevWorkP2pii@rel32@hi+12
	v_mov_b32_e32 v0, s0
	v_mov_b32_e32 v1, s1
	s_getpc_b64 s[2:3]
	s_add_u32 s2, s2, __assert_fail@rel32@lo+4
	s_addc_u32 s3, s3, __assert_fail@rel32@hi+12
	s_swappc_b64 s[30:31], s[2:3]
	; divergent unreachable
.LBB12_1248:
	s_or_b64 exec, exec, s[22:23]
	scratch_load_dword a55, off, s33        ; 4-byte Folded Reload
	scratch_load_dword a54, off, s33 offset:4 ; 4-byte Folded Reload
	scratch_load_dword a53, off, s33 offset:8 ; 4-byte Folded Reload
	;; [unrolled: 1-line block ×34, first 2 shown]
	s_waitcnt lgkmcnt(0)
	scratch_load_dword v43, off, s33 offset:140 ; 4-byte Folded Reload
	scratch_load_dword v42, off, s33 offset:144 ; 4-byte Folded Reload
	;; [unrolled: 1-line block ×4, first 2 shown]
	v_readlane_b32 s30, v63, 56
	v_readlane_b32 s31, v63, 57
	;; [unrolled: 1-line block ×59, first 2 shown]
	s_or_saveexec_b64 s[2:3], -1
	scratch_load_dword v63, off, s33 offset:172 ; 4-byte Folded Reload
	s_mov_b64 exec, s[2:3]
	s_addk_i32 s32, 0xff40
	s_mov_b32 s33, s0
	s_waitcnt vmcnt(0)
	s_setpc_b64 s[30:31]
.Lfunc_end12:
	.size	_ZN12_GLOBAL__N_17runRingI6__half8FuncProdIS1_E11ProtoSimpleILi2ELi2ELi1ELi2ELi0ELi0EELi0ELi1ELi2ELi0EEEviiP15ncclDevWorkColl, .Lfunc_end12-_ZN12_GLOBAL__N_17runRingI6__half8FuncProdIS1_E11ProtoSimpleILi2ELi2ELi1ELi2ELi0ELi0EELi0ELi1ELi2ELi0EEEviiP15ncclDevWorkColl
                                        ; -- End function
	.section	.AMDGPU.csdata,"",@progbits
; Function info:
; codeLenInByte = 44944
; NumSgprs: 96
; NumVgprs: 64
; NumAgprs: 56
; TotalNumVgprs: 120
; ScratchSize: 256
; MemoryBound: 1
	.text
	.p2align	2                               ; -- Begin function _Z48ncclDevFunc_AllReduce_RING_SIMPLE_Prod_f16_1_0_2v
	.type	_Z48ncclDevFunc_AllReduce_RING_SIMPLE_Prod_f16_1_0_2v,@function
_Z48ncclDevFunc_AllReduce_RING_SIMPLE_Prod_f16_1_0_2v: ; @_Z48ncclDevFunc_AllReduce_RING_SIMPLE_Prod_f16_1_0_2v
; %bb.0:
	s_waitcnt vmcnt(0) expcnt(0) lgkmcnt(0)
	s_mov_b32 s0, s33
	s_mov_b32 s33, s32
	s_or_saveexec_b64 s[2:3], -1
	scratch_store_dword off, v44, s33 offset:20 ; 4-byte Folded Spill
	scratch_store_dword off, v45, s33 offset:24 ; 4-byte Folded Spill
	s_mov_b64 exec, s[2:3]
	v_writelane_b32 v45, s0, 2
	s_add_i32 s32, s32, 32
	scratch_store_dword off, v40, s33 offset:16 ; 4-byte Folded Spill
	scratch_store_dword off, v41, s33 offset:12 ; 4-byte Folded Spill
	;; [unrolled: 1-line block ×4, first 2 shown]
	scratch_store_dword off, v63, s33       ; 4-byte Folded Spill
	v_writelane_b32 v44, s34, 0
	v_writelane_b32 v44, s35, 1
	;; [unrolled: 1-line block ×65, first 2 shown]
	s_nop 1
	v_writelane_b32 v45, s31, 1
	s_trap 2
	ds_read_b32 v0, v0
	v_mov_b32_e32 v40, v31
	s_mov_b32 s92, s12
	s_mov_b64 s[90:91], s[8:9]
	s_waitcnt lgkmcnt(0)
	v_cmp_gt_i32_e32 vcc, 1, v0
	s_cbranch_vccnz .LBB13_11
; %bb.1:
	s_mov_b32 s93, 0
	v_and_b32_e32 v41, 0x3ff, v40
	s_mov_b64 s[94:95], src_shared_base
	v_mov_b32_e32 v43, 6
	s_branch .LBB13_3
.LBB13_2:                               ;   in Loop: Header=BB13_3 Depth=1
	s_or_b64 exec, exec, s[96:97]
	s_trap 2
	ds_read_b32 v0, v0
	s_add_i32 s93, s93, 1
	s_waitcnt lgkmcnt(0)
	v_cmp_lt_i32_e32 vcc, s93, v0
	s_cbranch_vccz .LBB13_11
.LBB13_3:                               ; =>This Inner Loop Header: Depth=1
	s_trap 2
	ds_read_b32 v0, v0
	s_cmp_eq_u32 s93, 0
	s_cbranch_scc1 .LBB13_6
; %bb.4:                                ;   in Loop: Header=BB13_3 Depth=1
	s_trap 2
	s_waitcnt lgkmcnt(0)
	ds_read_b32 v1, v0
	s_waitcnt lgkmcnt(0)
	v_xor_b32_e32 v1, v1, v0
	v_and_b32_e32 v1, 0xff0000, v1
	v_cmp_eq_u32_e32 vcc, 0, v1
	s_cbranch_vccnz .LBB13_6
; %bb.5:                                ;   in Loop: Header=BB13_3 Depth=1
	s_barrier
	ds_read_b32 v0, v0
.LBB13_6:                               ;   in Loop: Header=BB13_3 Depth=1
	s_waitcnt lgkmcnt(0)
	v_lshlrev_b32_sdwa v42, v43, v0 dst_sel:DWORD dst_unused:UNUSED_PAD src0_sel:DWORD src1_sel:BYTE_2
	v_cmp_lt_u32_e32 vcc, v41, v42
	s_and_saveexec_b64 s[96:97], vcc
	s_cbranch_execz .LBB13_2
; %bb.7:                                ;   in Loop: Header=BB13_3 Depth=1
	v_cmp_lt_i32_e32 vcc, -1, v0
	s_mov_b64 s[0:1], -1
	s_cbranch_vccnz .LBB13_9
; %bb.8:                                ;   in Loop: Header=BB13_3 Depth=1
	s_mov_b64 s[8:9], s[90:91]
	s_mov_b32 s12, s92
	v_mov_b32_e32 v31, v40
	v_mov_b32_e32 v0, v41
	;; [unrolled: 1-line block ×4, first 2 shown]
	s_getpc_b64 s[0:1]
	s_add_u32 s0, s0, _ZN12_GLOBAL__N_17runRingI6__half8FuncProdIS1_E11ProtoSimpleILi1ELi4ELi1ELi2ELi0ELi0EELi0ELi1ELi2ELi0EEEviiP15ncclDevWorkColl@rel32@lo+4
	s_addc_u32 s1, s1, _ZN12_GLOBAL__N_17runRingI6__half8FuncProdIS1_E11ProtoSimpleILi1ELi4ELi1ELi2ELi0ELi0EELi0ELi1ELi2ELi0EEEviiP15ncclDevWorkColl@rel32@hi+12
	s_swappc_b64 s[30:31], s[0:1]
	s_mov_b64 s[0:1], 0
.LBB13_9:                               ;   in Loop: Header=BB13_3 Depth=1
	s_andn2_b64 vcc, exec, s[0:1]
	s_cbranch_vccnz .LBB13_2
; %bb.10:                               ;   in Loop: Header=BB13_3 Depth=1
	s_mov_b64 s[8:9], s[90:91]
	s_mov_b32 s12, s92
	v_mov_b32_e32 v31, v40
	v_mov_b32_e32 v0, v41
	;; [unrolled: 1-line block ×4, first 2 shown]
	s_getpc_b64 s[0:1]
	s_add_u32 s0, s0, _ZN12_GLOBAL__N_17runRingI6__half8FuncProdIS1_E11ProtoSimpleILi2ELi2ELi1ELi2ELi0ELi0EELi0ELi1ELi2ELi0EEEviiP15ncclDevWorkColl@rel32@lo+4
	s_addc_u32 s1, s1, _ZN12_GLOBAL__N_17runRingI6__half8FuncProdIS1_E11ProtoSimpleILi2ELi2ELi1ELi2ELi0ELi0EELi0ELi1ELi2ELi0EEEviiP15ncclDevWorkColl@rel32@hi+12
	s_swappc_b64 s[30:31], s[0:1]
	s_branch .LBB13_2
.LBB13_11:
	scratch_load_dword v63, off, s33        ; 4-byte Folded Reload
	scratch_load_dword v43, off, s33 offset:4 ; 4-byte Folded Reload
	scratch_load_dword v42, off, s33 offset:8 ; 4-byte Folded Reload
	;; [unrolled: 1-line block ×4, first 2 shown]
	v_readlane_b32 s30, v45, 0
	v_readlane_b32 s31, v45, 1
	;; [unrolled: 1-line block ×67, first 2 shown]
	s_or_saveexec_b64 s[2:3], -1
	scratch_load_dword v44, off, s33 offset:20 ; 4-byte Folded Reload
	scratch_load_dword v45, off, s33 offset:24 ; 4-byte Folded Reload
	s_mov_b64 exec, s[2:3]
	s_addk_i32 s32, 0xffe0
	s_mov_b32 s33, s0
	s_waitcnt vmcnt(0)
	s_setpc_b64 s[30:31]
.Lfunc_end13:
	.size	_Z48ncclDevFunc_AllReduce_RING_SIMPLE_Prod_f16_1_0_2v, .Lfunc_end13-_Z48ncclDevFunc_AllReduce_RING_SIMPLE_Prod_f16_1_0_2v
                                        ; -- End function
	.section	.AMDGPU.csdata,"",@progbits
; Function info:
; codeLenInByte = 1548
; NumSgprs: 104
; NumVgprs: 64
; NumAgprs: 56
; TotalNumVgprs: 120
; ScratchSize: 288
; MemoryBound: 0
	.text
	.p2align	2                               ; -- Begin function _ZN12_GLOBAL__N_17runRingI6__half8FuncProdIS1_E11ProtoSimpleILi1ELi4ELi0ELi4ELi0ELi0EELi0ELi0ELi4ELi0EEEviiP15ncclDevWorkColl
	.type	_ZN12_GLOBAL__N_17runRingI6__half8FuncProdIS1_E11ProtoSimpleILi1ELi4ELi0ELi4ELi0ELi0EELi0ELi0ELi4ELi0EEEviiP15ncclDevWorkColl,@function
_ZN12_GLOBAL__N_17runRingI6__half8FuncProdIS1_E11ProtoSimpleILi1ELi4ELi0ELi4ELi0ELi0EELi0ELi0ELi4ELi0EEEviiP15ncclDevWorkColl: ; @_ZN12_GLOBAL__N_17runRingI6__half8FuncProdIS1_E11ProtoSimpleILi1ELi4ELi0ELi4ELi0ELi0EELi0ELi0ELi4ELi0EEEviiP15ncclDevWorkColl
; %bb.0:
	s_waitcnt vmcnt(0) expcnt(0) lgkmcnt(0)
	s_mov_b32 s0, s33
	s_mov_b32 s33, s32
	s_or_saveexec_b64 s[2:3], -1
	scratch_store_dword off, v63, s33 offset:152 ; 4-byte Folded Spill
	scratch_store_dword off, v62, s33 offset:156 ; 4-byte Folded Spill
	s_mov_b64 exec, s[2:3]
	v_writelane_b32 v62, s0, 1
	s_addk_i32 s32, 0xb0
	scratch_store_dword off, v40, s33 offset:132 ; 4-byte Folded Spill
	scratch_store_dword off, v41, s33 offset:128 ; 4-byte Folded Spill
	;; [unrolled: 1-line block ×33, first 2 shown]
	scratch_store_dword off, a51, s33       ; 4-byte Folded Spill
	v_writelane_b32 v63, s34, 0
	v_writelane_b32 v63, s35, 1
	;; [unrolled: 1-line block ×64, first 2 shown]
	s_nop 1
	v_writelane_b32 v62, s31, 0
	v_mov_b32_e32 v18, v1
	s_trap 2
	flat_load_dword v1, v[2:3]
	ds_read_b32 v4, v0
	v_mov_b32_e32 v32, v0
                                        ; implicit-def: $vgpr14_vgpr15
                                        ; implicit-def: $agpr4_agpr5
                                        ; implicit-def: $vgpr20_vgpr21
	s_waitcnt lgkmcnt(0)
	v_readfirstlane_b32 s72, v4
	s_waitcnt vmcnt(0)
	v_cmp_ne_u32_sdwa s[0:1], v1, v4 src0_sel:BYTE_0 src1_sel:DWORD
	s_and_saveexec_b64 s[2:3], s[0:1]
	s_xor_b64 s[0:1], exec, s[2:3]
	s_cbranch_execz .LBB14_6
; %bb.1:
	v_not_b32_sdwa v0, v1 dst_sel:DWORD dst_unused:UNUSED_PAD src0_sel:BYTE_0
	v_cmp_ne_u32_sdwa s[2:3], v1, v4 src0_sel:BYTE_1 src1_sel:DWORD
                                        ; implicit-def: $vgpr14_vgpr15
                                        ; implicit-def: $agpr4_agpr5
                                        ; implicit-def: $vgpr20_vgpr21
	s_and_saveexec_b64 s[4:5], s[2:3]
	s_xor_b64 s[2:3], exec, s[4:5]
	s_cbranch_execz .LBB14_3
; %bb.2:
	flat_load_dwordx4 v[6:9], v[2:3] offset:72
	flat_load_dwordx2 v[10:11], v[2:3] offset:96
	v_add_u32_e32 v0, v4, v0
	v_ashrrev_i32_e32 v1, 31, v0
	s_waitcnt vmcnt(0) lgkmcnt(0)
	v_mul_lo_u32 v1, v8, v1
	v_mad_u64_u32 v[4:5], s[4:5], v8, v0, v[6:7]
	v_mul_lo_u32 v0, v9, v0
	v_add3_u32 v5, v0, v5, v1
	v_accvgpr_write_b32 a4, v4
	v_lshrrev_b64 v[14:15], 13, v[10:11]
	v_accvgpr_write_b32 a5, v5
	v_mov_b64_e32 v[20:21], v[8:9]
                                        ; implicit-def: $vgpr1
                                        ; implicit-def: $vgpr0
.LBB14_3:
	s_andn2_saveexec_b64 s[2:3], s[2:3]
	s_cbranch_execz .LBB14_5
; %bb.4:
	flat_load_dwordx4 v[4:7], v[2:3] offset:72
	flat_load_dwordx4 v[20:23], v[2:3] offset:88
	v_add_u32_sdwa v0, v1, v0 dst_sel:DWORD dst_unused:UNUSED_PAD src0_sel:BYTE_1 src1_sel:DWORD
	v_ashrrev_i32_e32 v1, 31, v0
	s_waitcnt vmcnt(0) lgkmcnt(0)
	v_mul_lo_u32 v1, v6, v1
	v_mad_u64_u32 v[4:5], s[4:5], v6, v0, v[4:5]
	v_mul_lo_u32 v0, v7, v0
	v_add3_u32 v5, v0, v5, v1
	v_accvgpr_write_b32 a4, v4
	v_accvgpr_write_b32 a5, v5
	v_lshrrev_b32_e32 v14, 2, v23
.LBB14_5:
	s_or_b64 exec, exec, s[2:3]
.LBB14_6:
	s_andn2_saveexec_b64 s[0:1], s[0:1]
	s_cbranch_execz .LBB14_8
; %bb.7:
	flat_load_dwordx2 v[0:1], v[2:3] offset:96
	flat_load_dwordx2 v[20:21], v[2:3] offset:72
	s_waitcnt vmcnt(0) lgkmcnt(0)
	v_lshlrev_b64 v[14:15], 8, v[0:1]
	v_mov_b64_e32 v[0:1], 0
	v_accvgpr_write_b32 a5, v1
	v_accvgpr_write_b32 a4, v0
.LBB14_8:
	s_or_b64 exec, exec, s[0:1]
	s_trap 2
	ds_read_b64 v[4:5], v0
	s_waitcnt lgkmcnt(0)
	v_cmp_ne_u32_e32 vcc, -1, v4
	s_nop 1
	v_cndmask_b32_e64 v1, 0, 1, vcc
	v_cmp_ne_u32_e32 vcc, -1, v5
	s_nop 1
	v_addc_co_u32_e64 v6, s[0:1], 0, v1, vcc
	v_lshlrev_b32_e32 v0, 1, v6
	v_cmp_le_i32_e64 s[0:1], v0, v18
	s_and_saveexec_b64 s[2:3], s[0:1]
	s_xor_b64 s[34:35], exec, s[2:3]
	s_cbranch_execz .LBB14_1219
; %bb.9:
	flat_load_dwordx2 v[4:5], v[2:3] offset:104
	flat_load_dwordx4 v[10:13], v[2:3] offset:16
	flat_load_ushort v9, v[2:3] offset:8
	flat_load_dword v8, v[2:3] offset:4
	s_trap 2
	s_load_dword s0, s[8:9], 0x0
	v_mov_b32_e32 v0, 0
	s_waitcnt lgkmcnt(0)
	s_cmp_lt_u32 s12, s0
	s_cselect_b32 s0, 12, 18
	s_add_u32 s0, s8, s0
	s_addc_u32 s1, s9, 0
	global_load_ushort v15, v0, s[0:1]
	ds_read_b32 v0, v0
	v_cmp_ge_i32_e64 s[0:1], v32, v1
	s_waitcnt lgkmcnt(0)
	v_readfirstlane_b32 s16, v0
	v_mov_b32_e32 v0, 4
	s_and_saveexec_b64 s[2:3], s[0:1]
	s_cbranch_execz .LBB14_19
; %bb.10:
	v_cmp_le_u32_e64 s[0:1], v6, v32
                                        ; implicit-def: $vgpr0
	s_and_saveexec_b64 s[4:5], s[0:1]
	s_xor_b64 s[0:1], exec, s[4:5]
	s_cbranch_execz .LBB14_16
; %bb.11:
	v_cndmask_b32_e64 v0, 0, 1, vcc
	v_sub_u32_e32 v0, v18, v0
	v_cmp_ge_u32_e32 vcc, v32, v0
                                        ; implicit-def: $sgpr6
	s_and_saveexec_b64 s[4:5], vcc
	s_xor_b64 s[4:5], exec, s[4:5]
; %bb.12:
	s_mov_b32 s6, 16
                                        ; implicit-def: $vgpr6
; %bb.13:
	s_or_saveexec_b64 s[4:5], s[4:5]
	v_mov_b32_e32 v0, s6
	s_xor_b64 exec, exec, s[4:5]
; %bb.14:
	v_sub_u32_e32 v0, v18, v6
	v_cmp_ge_i32_e32 vcc, v32, v0
	s_nop 1
	v_cndmask_b32_e64 v0, 0, 1, vcc
	v_lshlrev_b32_e32 v0, 5, v0
; %bb.15:
	s_or_b64 exec, exec, s[4:5]
.LBB14_16:
	s_andn2_saveexec_b64 s[0:1], s[0:1]
; %bb.17:
	v_mov_b32_e32 v0, 8
; %bb.18:
	s_or_b64 exec, exec, s[0:1]
.LBB14_19:
	s_or_b64 exec, exec, s[2:3]
	v_and_b32_e32 v6, 36, v0
	v_cmp_ne_u32_e32 vcc, 0, v6
	v_mov_b32_e32 v6, -1
	s_and_saveexec_b64 s[0:1], vcc
	s_cbranch_execz .LBB14_21
; %bb.20:
	s_trap 2
	ds_read_b32 v6, v0
.LBB14_21:
	s_or_b64 exec, exec, s[0:1]
	v_and_b32_e32 v7, 24, v0
	v_cmp_ne_u32_e64 s[0:1], 0, v7
	s_and_saveexec_b64 s[2:3], s[0:1]
	s_cbranch_execz .LBB14_23
; %bb.22:
	s_trap 2
	s_waitcnt lgkmcnt(0)
	ds_read_b32 v6, v0
.LBB14_23:
	s_or_b64 exec, exec, s[2:3]
	s_waitcnt vmcnt(0)
	v_lshrrev_b64 v[8:9], 31, v[8:9]
	v_mov_b64_e32 v[24:25], 0
	v_and_b32_e32 v8, 3, v8
	v_mov_b64_e32 v[36:37], v[24:25]
                                        ; implicit-def: $agpr8_agpr9
                                        ; implicit-def: $vgpr40
                                        ; implicit-def: $vgpr54_vgpr55
                                        ; implicit-def: $vgpr48_vgpr49
                                        ; implicit-def: $vgpr56_vgpr57
                                        ; implicit-def: $vgpr42_vgpr43
	s_and_saveexec_b64 s[0:1], vcc
	s_cbranch_execz .LBB14_33
; %bb.24:
	s_trap 2
	ds_read_b64 v[16:17], v0
	s_waitcnt lgkmcnt(1)
	v_ashrrev_i32_e32 v7, 31, v6
	s_movk_i32 s2, 0xa8
                                        ; implicit-def: $agpr8_agpr9
	s_waitcnt lgkmcnt(0)
	v_lshl_add_u64 v[16:17], v[6:7], 3, v[16:17]
	flat_load_dwordx2 v[16:17], v[16:17]
	v_and_b32_e32 v7, 0xffff, v8
	s_waitcnt vmcnt(0) lgkmcnt(0)
	v_mad_u64_u32 v[16:17], s[2:3], v7, s2, v[16:17]
	flat_load_dword v7, v[16:17] offset:640
	s_mov_b64 s[2:3], 0x1f8
	v_lshl_add_u64 v[24:25], v[16:17], 0, s[2:3]
	s_waitcnt vmcnt(0) lgkmcnt(0)
	v_cmp_eq_u32_e32 vcc, 1, v7
	s_and_saveexec_b64 s[2:3], vcc
	s_cbranch_execz .LBB14_26
; %bb.25:
	flat_load_dwordx2 v[22:23], v[24:25] offset:144
	s_waitcnt vmcnt(0) lgkmcnt(0)
	v_accvgpr_write_b32 a8, v22
	flat_load_dwordx2 v[16:17], v[22:23]
	s_trap 2
	v_accvgpr_write_b32 a9, v23
	s_waitcnt vmcnt(0) lgkmcnt(0)
	ds_write_b64 v0, v[16:17]
	flat_load_dwordx2 v[16:17], v[22:23] offset:8
	s_waitcnt vmcnt(0) lgkmcnt(0)
	ds_write_b64 v0, v[16:17]
	flat_load_dwordx2 v[16:17], v[22:23] offset:16
	s_waitcnt vmcnt(0) lgkmcnt(0)
	ds_write_b64 v0, v[16:17]
	v_or_b32_e32 v0, 0x2000, v0
.LBB14_26:
	s_or_b64 exec, exec, s[2:3]
	flat_load_dwordx2 v[16:17], v[24:25] offset:104
	v_and_b32_e32 v7, 32, v0
	v_cmp_ne_u32_e32 vcc, 0, v7
                                        ; implicit-def: $vgpr42_vgpr43
	s_waitcnt vmcnt(0) lgkmcnt(0)
	v_lshl_add_u64 v[54:55], v[16:17], 0, 3
	v_and_b32_e32 v54, -4, v54
	s_and_saveexec_b64 s[2:3], vcc
	s_cbranch_execz .LBB14_28
; %bb.27:
	flat_load_dwordx2 v[42:43], v[24:25] offset:56
	s_waitcnt vmcnt(0) lgkmcnt(0)
	flat_store_dwordx2 v[42:43], v[54:55] sc0 sc1
.LBB14_28:
	s_or_b64 exec, exec, s[2:3]
	v_and_b32_e32 v7, 4, v0
	v_cmp_ne_u32_e32 vcc, 0, v7
	v_mov_b64_e32 v[36:37], 0
                                        ; implicit-def: $vgpr40
                                        ; implicit-def: $vgpr48_vgpr49
                                        ; implicit-def: $vgpr56_vgpr57
	s_and_saveexec_b64 s[2:3], vcc
	s_cbranch_execz .LBB14_32
; %bb.29:
	v_and_b32_e32 v7, 0x800, v0
	v_cmp_eq_u32_e32 vcc, 0, v7
	s_and_saveexec_b64 s[4:5], vcc
	s_cbranch_execz .LBB14_31
; %bb.30:
	s_trap 2
	ds_write_b64 v0, v[24:25]
.LBB14_31:
	s_or_b64 exec, exec, s[4:5]
	flat_load_dwordx2 v[42:43], v[24:25] offset:48
	v_or_b32_e32 v9, 0x100, v0
	s_waitcnt vmcnt(0) lgkmcnt(0)
	flat_load_dwordx2 v[56:57], v[42:43] sc0 sc1
	flat_load_dword v7, v[24:25] offset:72
	flat_load_dwordx2 v[36:37], v[24:25] offset:96
	flat_load_dwordx2 v[48:49], v[24:25] offset:16
	s_waitcnt vmcnt(0) lgkmcnt(0)
	v_ashrrev_i32_e32 v40, 1, v7
	v_cmp_eq_u64_e32 vcc, 0, v[36:37]
	s_nop 1
	v_cndmask_b32_e32 v0, v9, v0, vcc
.LBB14_32:
	s_or_b64 exec, exec, s[2:3]
.LBB14_33:
	s_or_b64 exec, exec, s[0:1]
	v_and_b32_e32 v7, 24, v0
	v_cmp_ne_u32_e32 vcc, 0, v7
                                        ; implicit-def: $vgpr50_vgpr51
	s_and_saveexec_b64 s[0:1], vcc
	s_cbranch_execz .LBB14_41
; %bb.34:
	s_trap 2
	ds_read_b64 v[16:17], v0
	s_waitcnt lgkmcnt(0)
	v_ashrrev_i32_e32 v7, 31, v6
	v_and_b32_e32 v8, 0xffff, v8
	s_movk_i32 s2, 0xa8
                                        ; implicit-def: $vgpr50_vgpr51
	v_lshl_add_u64 v[6:7], v[6:7], 3, v[16:17]
	flat_load_dwordx2 v[6:7], v[6:7]
	s_waitcnt vmcnt(0) lgkmcnt(0)
	v_mad_u64_u32 v[24:25], s[2:3], v8, s2, v[6:7]
	flat_load_dwordx4 v[36:39], v[24:25] offset:96
	v_or_b32_e32 v6, 0x100, v0
	s_waitcnt vmcnt(0) lgkmcnt(0)
	v_cmp_eq_u64_e32 vcc, 0, v[36:37]
	s_nop 1
	v_cndmask_b32_e32 v0, v6, v0, vcc
	v_and_b32_e32 v6, 16, v0
	v_cmp_ne_u32_e32 vcc, 0, v6
	s_and_saveexec_b64 s[2:3], vcc
	s_cbranch_execz .LBB14_36
; %bb.35:
	flat_load_dwordx2 v[50:51], v[24:25] offset:120
	flat_load_dwordx2 v[42:43], v[24:25] offset:48
	;; [unrolled: 1-line block ×3, first 2 shown]
.LBB14_36:
	s_or_b64 exec, exec, s[2:3]
	v_lshl_add_u64 v[54:55], v[38:39], 0, 3
	v_and_b32_e32 v6, 8, v0
	v_and_b32_e32 v54, -4, v54
	v_cmp_ne_u32_e32 vcc, 0, v6
	s_and_saveexec_b64 s[2:3], vcc
	s_cbranch_execz .LBB14_40
; %bb.37:
	v_and_b32_e32 v6, 0x800, v0
	v_cmp_eq_u32_e32 vcc, 0, v6
	s_and_saveexec_b64 s[4:5], vcc
	s_cbranch_execz .LBB14_39
; %bb.38:
	s_trap 2
	ds_write_b64 v0, v[24:25]
.LBB14_39:
	s_or_b64 exec, exec, s[4:5]
	s_waitcnt vmcnt(0) lgkmcnt(0)
	flat_load_dwordx2 v[42:43], v[24:25] offset:56
	s_waitcnt vmcnt(0) lgkmcnt(0)
	flat_load_dwordx2 v[56:57], v[42:43] sc0 sc1
	flat_load_dword v6, v[24:25] offset:72
	flat_load_dwordx2 v[48:49], v[24:25] offset:16
	s_waitcnt vmcnt(0) lgkmcnt(0)
	v_ashrrev_i32_e32 v40, 1, v6
.LBB14_40:
	s_or_b64 exec, exec, s[2:3]
.LBB14_41:
	s_or_b64 exec, exec, s[0:1]
	v_cmp_eq_u32_e64 s[0:1], 0, v32
	s_and_saveexec_b64 s[2:3], s[0:1]
	s_cbranch_execz .LBB14_43
; %bb.42:
	s_waitcnt lgkmcnt(0)
	flat_load_dwordx2 v[6:7], v[2:3] offset:32
	v_mov_b32_e32 v8, v12
	v_mov_b32_e32 v9, v13
	ds_write2_b64 v0, v[8:9], v[10:11] offset1:1
	s_trap 2
	s_waitcnt vmcnt(0) lgkmcnt(0)
	ds_write_b64 v0, v[6:7]
	ds_write_b64 v0, v[4:5]
.LBB14_43:
	s_or_b64 exec, exec, s[2:3]
	s_mov_b64 s[38:39], 0
	v_cmp_lt_i64_e32 vcc, 0, v[20:21]
	v_mov_b64_e32 v[38:39], 0
	s_and_saveexec_b64 s[36:37], vcc
	s_cbranch_execz .LBB14_1183
; %bb.44:
	flat_load_dword v4, v[2:3] offset:4
	s_ashr_i32 s17, s16, 31
	s_lshr_b32 s17, s17, 29
	s_add_i32 s22, s16, s17
	s_ashr_i32 s73, s72, 31
	s_ashr_i32 s23, s22, 4
	v_and_b32_e32 v2, 0x1fffff00, v14
	s_add_u32 s46, s72, -1
	v_and_b32_e32 v5, 63, v31
	s_waitcnt lgkmcnt(0)
	v_ashrrev_i32_e32 v6, 31, v32
	v_mad_i64_i32 v[34:35], s[14:15], v2, s72, 0
	s_addc_u32 s47, s73, -1
	s_add_i32 s76, s72, s72
	s_not_b32 s24, s72
	v_lshrrev_b32_e32 v52, 6, v18
	v_mov_b32_e32 v7, 0xffffe000
	v_cmp_eq_u32_e64 s[14:15], 0, v5
	v_lshrrev_b32_e32 v5, 26, v6
	s_cmp_gt_i32 s72, 0
	v_mov_b32_e32 v8, 0xfffff800
	v_lshl_add_u32 v6, v52, 13, v7
	v_add_u32_e32 v5, v32, v5
	s_cselect_b32 s24, s24, -1
	s_ashr_i32 s22, s22, 31
	s_mov_b64 s[18:19], 0x2000
	v_mov_b32_e32 v9, 0xfffff000
	v_lshl_add_u32 v8, v52, 11, v8
	v_ashrrev_i32_e32 v7, 31, v6
	v_ashrrev_i32_e32 v41, 6, v5
	v_and_b32_e32 v5, 0xffffffc0, v5
	s_lshr_b32 s22, s22, 29
	s_mov_b64 s[20:21], 0x800
	v_lshl_add_u32 v10, v52, 12, v9
	v_ashrrev_i32_e32 v9, 31, v8
	v_lshl_add_u64 v[28:29], v[6:7], 0, s[18:19]
	v_sub_u32_e32 v7, v32, v5
	s_add_i32 s77, s24, s76
	s_add_i32 s23, s23, s22
	v_lshl_add_u64 v[60:61], v[8:9], 0, s[20:21]
	v_cmp_lt_i32_e64 s[18:19], v7, v1
	v_cmp_le_i32_e64 s[20:21], v7, v1
	s_ashr_i32 s78, s77, 31
	s_ashr_i32 s79, s23, 3
	v_lshlrev_b32_e32 v44, 10, v52
	v_lshlrev_b32_e32 v45, 7, v52
	v_ashrrev_i32_e32 v11, 31, v10
	v_lshlrev_b32_e32 v5, 13, v41
	s_cmp_gt_i32 s72, 2
	s_mov_b64 s[24:25], 0x1000
	v_add_u32_e32 v12, 0xfffffc00, v44
	v_add_u32_e32 v26, 0xffffff80, v45
	v_lshlrev_b32_e32 v6, 12, v41
	v_lshl_add_u32 v22, v7, 4, v5
	s_cselect_b64 s[48:49], -1, 0
	v_accvgpr_write_b32 a10, v24
	s_mov_b64 s[42:43], 0x400
	s_mov_b64 s[44:45], 0x80
	v_ashrrev_i32_e32 v13, 31, v12
	v_ashrrev_i32_e32 v27, 31, v26
	v_sub_u32_e32 v6, v22, v6
	v_accvgpr_write_b32 a11, v25
	v_accvgpr_write_b32 a1, v31
	v_lshl_add_u64 v[30:31], v[12:13], 0, s[42:43]
	v_lshl_add_u64 v[24:25], v[26:27], 0, s[44:45]
	v_cmp_gt_i32_e64 s[16:17], 1, v7
	v_accvgpr_write_b32 a33, v7
	v_ashrrev_i32_e32 v7, 31, v6
	v_mov_b32_e32 v3, 0
	v_cmp_ge_i32_e64 s[2:3], v32, v18
	v_ashrrev_i32_e32 v33, 31, v40
	v_cmp_eq_u32_e64 s[4:5], 64, v18
	v_cmp_ne_u32_e64 s[6:7], 64, v18
	v_cmp_ne_u32_sdwa s[40:41], v15, v18 src0_sel:WORD_0 src1_sel:DWORD
	v_accvgpr_write_b32 a0, v18
	v_accvgpr_write_b32 a29, v13
	;; [unrolled: 1-line block ×3, first 2 shown]
	v_mov_b64_e32 v[18:19], 0
	v_accvgpr_write_b32 a14, v36
	s_waitcnt vmcnt(0)
	v_accvgpr_write_b32 a18, v48
	v_and_b32_e32 v1, 1, v4
	v_cmp_eq_u32_e64 s[22:23], 1, v1
	v_lshl_add_u64 v[4:5], v[10:11], 0, s[24:25]
	s_xor_b64 s[50:51], s[22:23], -1
	s_add_i32 s24, s72, 1
	s_cmp_le_i32 s72, s24
	s_cselect_b32 s25, s72, 0
	s_sub_i32 s80, s24, s25
	v_accvgpr_write_b32 a20, v50
	v_accvgpr_write_b32 a24, v34
	;; [unrolled: 1-line block ×7, first 2 shown]
	s_movk_i32 s74, 0xfc00
	s_movk_i32 s75, 0xff80
	v_cmp_eq_u64_e64 s[10:11], 0, v[50:51]
	v_cmp_ne_u64_e64 s[12:13], 0, v[50:51]
	v_mov_b32_e32 v53, v3
	v_accvgpr_write_b32 a28, v12
	v_ashrrev_i32_e32 v23, 31, v22
	v_accvgpr_write_b32 a40, v6
	s_ashr_i32 s81, s80, 31
	s_add_i32 s82, s72, -2
	s_movk_i32 s83, 0x270e
	v_mov_b32_e32 v17, 1
	s_movk_i32 s84, 0x108
	s_mov_b64 s[52:53], 0x780
	s_movk_i32 s85, 0xf880
	s_movk_i32 s86, 0xf900
	;; [unrolled: 1-line block ×10, first 2 shown]
	v_mov_b64_e32 v[46:47], v[2:3]
	v_mov_b64_e32 v[38:39], v[18:19]
	v_accvgpr_write_b32 a15, v37
	v_accvgpr_write_b32 a16, v40
	;; [unrolled: 1-line block ×13, first 2 shown]
	s_trap 2
	scratch_store_dwordx2 off, v[4:5], s33 offset:136 ; 8-byte Folded Spill
	scratch_store_dwordx2 off, v[22:23], s33 offset:144 ; 8-byte Folded Spill
	s_branch .LBB14_47
.LBB14_45:                              ;   in Loop: Header=BB14_47 Depth=1
	s_or_b64 exec, exec, s[24:25]
.LBB14_46:                              ;   in Loop: Header=BB14_47 Depth=1
	s_or_b64 exec, exec, s[28:29]
	v_accvgpr_read_b32 v21, a7
	v_lshl_add_u64 v[18:19], v[18:19], 0, v[34:35]
	v_accvgpr_read_b32 v20, a6
	v_cmp_ge_i64_e32 vcc, v[18:19], v[20:21]
	s_or_b64 s[38:39], vcc, s[38:39]
	s_andn2_b64 exec, exec, s[38:39]
	s_cbranch_execz .LBB14_1182
.LBB14_47:                              ; =>This Loop Header: Depth=1
                                        ;     Child Loop BB14_62 Depth 2
                                        ;     Child Loop BB14_86 Depth 2
	;; [unrolled: 1-line block ×13, first 2 shown]
                                        ;       Child Loop BB14_275 Depth 3
                                        ;       Child Loop BB14_301 Depth 3
	;; [unrolled: 1-line block ×12, first 2 shown]
                                        ;     Child Loop BB14_491 Depth 2
                                        ;     Child Loop BB14_524 Depth 2
	;; [unrolled: 1-line block ×9, first 2 shown]
                                        ;       Child Loop BB14_625 Depth 3
                                        ;     Child Loop BB14_634 Depth 2
                                        ;     Child Loop BB14_639 Depth 2
                                        ;       Child Loop BB14_640 Depth 3
                                        ;     Child Loop BB14_679 Depth 2
                                        ;     Child Loop BB14_710 Depth 2
	;; [unrolled: 1-line block ×6, first 2 shown]
                                        ;       Child Loop BB14_737 Depth 3
                                        ;       Child Loop BB14_763 Depth 3
	;; [unrolled: 1-line block ×9, first 2 shown]
                                        ;         Child Loop BB14_815 Depth 4
                                        ;       Child Loop BB14_824 Depth 3
                                        ;       Child Loop BB14_829 Depth 3
                                        ;         Child Loop BB14_830 Depth 4
                                        ;       Child Loop BB14_869 Depth 3
                                        ;       Child Loop BB14_888 Depth 3
	;; [unrolled: 1-line block ×5, first 2 shown]
                                        ;     Child Loop BB14_987 Depth 2
                                        ;     Child Loop BB14_1011 Depth 2
	;; [unrolled: 1-line block ×12, first 2 shown]
	v_sub_co_u32_e32 v4, vcc, v20, v18
	v_accvgpr_write_b32 a6, v20
	s_nop 0
	v_subb_co_u32_e32 v5, vcc, v21, v19, vcc
	v_accvgpr_write_b32 a7, v21
	v_mov_b64_e32 v[20:21], v[4:5]
	v_cmp_lt_i64_e32 vcc, v[20:21], v[34:35]
	s_and_saveexec_b64 s[26:27], vcc
	s_cbranch_execz .LBB14_53
; %bb.48:                               ;   in Loop: Header=BB14_47 Depth=1
	v_lshl_add_u64 v[4:5], s[46:47], 0, v[20:21]
	v_or_b32_e32 v7, s73, v5
	v_mov_b32_e32 v6, v3
	v_cmp_ne_u64_e32 vcc, 0, v[6:7]
                                        ; implicit-def: $vgpr6_vgpr7
	s_and_saveexec_b64 s[24:25], vcc
	s_xor_b64 s[28:29], exec, s[24:25]
	s_cbranch_execz .LBB14_50
; %bb.49:                               ;   in Loop: Header=BB14_47 Depth=1
	s_add_u32 s24, s72, s73
	s_mov_b32 s30, s73
	s_mov_b32 s31, s73
	s_addc_u32 s25, s73, s73
	s_xor_b64 s[54:55], s[24:25], s[30:31]
	v_cvt_f32_u32_e32 v1, s54
	v_cvt_f32_u32_e32 v2, s55
	s_sub_u32 s24, 0, s54
	s_subb_u32 s25, 0, s55
	v_fmac_f32_e32 v1, 0x4f800000, v2
	v_rcp_f32_e32 v1, v1
	s_nop 0
	v_mul_f32_e32 v1, 0x5f7ffffc, v1
	v_mul_f32_e32 v2, 0x2f800000, v1
	v_trunc_f32_e32 v2, v2
	v_fmac_f32_e32 v1, 0xcf800000, v2
	v_cvt_u32_f32_e32 v8, v2
	v_cvt_u32_f32_e32 v1, v1
	v_mul_lo_u32 v2, s24, v8
	v_mul_hi_u32 v7, s24, v1
	v_mul_lo_u32 v6, s25, v1
	v_add_u32_e32 v2, v7, v2
	v_mul_lo_u32 v9, s24, v1
	v_add_u32_e32 v10, v2, v6
	v_mul_hi_u32 v7, v1, v10
	v_mul_lo_u32 v6, v1, v10
	v_mul_hi_u32 v2, v1, v9
	v_lshl_add_u64 v[6:7], v[2:3], 0, v[6:7]
	v_mul_hi_u32 v2, v8, v9
	v_mul_lo_u32 v9, v8, v9
	v_add_co_u32_e32 v6, vcc, v6, v9
	v_mul_hi_u32 v11, v8, v10
	s_nop 0
	v_addc_co_u32_e32 v2, vcc, v7, v2, vcc
	v_mul_lo_u32 v6, v8, v10
	s_nop 0
	v_addc_co_u32_e32 v7, vcc, 0, v11, vcc
	v_lshl_add_u64 v[6:7], v[2:3], 0, v[6:7]
	v_add_co_u32_e32 v1, vcc, v1, v6
	v_mul_hi_u32 v6, s24, v1
	s_nop 0
	v_addc_co_u32_e32 v8, vcc, v8, v7, vcc
	v_mul_lo_u32 v2, s24, v8
	v_add_u32_e32 v2, v6, v2
	v_mul_lo_u32 v6, s25, v1
	v_add_u32_e32 v9, v2, v6
	v_mul_lo_u32 v2, s24, v1
	v_mul_hi_u32 v11, v8, v2
	v_mul_lo_u32 v12, v8, v2
	v_mul_hi_u32 v7, v1, v9
	;; [unrolled: 2-line block ×3, first 2 shown]
	v_lshl_add_u64 v[6:7], v[2:3], 0, v[6:7]
	v_add_co_u32_e32 v2, vcc, v6, v12
	v_mul_hi_u32 v10, v8, v9
	s_nop 0
	v_addc_co_u32_e32 v2, vcc, v7, v11, vcc
	v_mul_lo_u32 v6, v8, v9
	s_nop 0
	v_addc_co_u32_e32 v7, vcc, 0, v10, vcc
	v_lshl_add_u64 v[6:7], v[2:3], 0, v[6:7]
	v_add_co_u32_e32 v1, vcc, v1, v6
	v_ashrrev_i32_e32 v6, 31, v5
	s_nop 0
	v_addc_co_u32_e32 v8, vcc, v8, v7, vcc
	v_mov_b32_e32 v7, v6
	v_lshl_add_u64 v[4:5], v[4:5], 0, v[6:7]
	v_xor_b32_e32 v12, v4, v6
	v_xor_b32_e32 v7, v5, v6
	v_mad_u64_u32 v[4:5], s[24:25], v12, v8, 0
	v_mul_hi_u32 v2, v12, v1
	v_lshl_add_u64 v[4:5], v[2:3], 0, v[4:5]
	v_mad_u64_u32 v[10:11], s[24:25], v7, v1, 0
	v_add_co_u32_e32 v1, vcc, v4, v10
	v_mad_u64_u32 v[8:9], s[24:25], v7, v8, 0
	s_nop 0
	v_addc_co_u32_e32 v2, vcc, v5, v11, vcc
	s_nop 1
	v_addc_co_u32_e32 v9, vcc, 0, v9, vcc
	v_lshl_add_u64 v[4:5], v[2:3], 0, v[8:9]
	v_mul_lo_u32 v1, s55, v4
	v_mul_lo_u32 v2, s54, v5
	v_mad_u64_u32 v[8:9], s[24:25], s54, v4, 0
	v_add3_u32 v1, v9, v2, v1
	v_sub_u32_e32 v2, v7, v1
	v_mov_b32_e32 v9, s55
	v_sub_co_u32_e32 v12, vcc, v12, v8
	v_lshl_add_u64 v[10:11], v[4:5], 0, 1
	s_nop 0
	v_subb_co_u32_e64 v2, s[24:25], v2, v9, vcc
	v_subrev_co_u32_e64 v8, s[24:25], s54, v12
	v_subb_co_u32_e32 v1, vcc, v7, v1, vcc
	s_nop 0
	v_subbrev_co_u32_e64 v2, s[24:25], 0, v2, s[24:25]
	v_cmp_le_u32_e64 s[24:25], s55, v2
	v_cmp_le_u32_e32 vcc, s55, v1
	s_nop 0
	v_cndmask_b32_e64 v9, 0, -1, s[24:25]
	v_cmp_le_u32_e64 s[24:25], s54, v8
	v_cndmask_b32_e64 v7, 0, -1, vcc
	v_cmp_le_u32_e32 vcc, s54, v12
	v_cndmask_b32_e64 v8, 0, -1, s[24:25]
	v_cmp_eq_u32_e64 s[24:25], s55, v2
	s_nop 1
	v_cndmask_b32_e64 v2, v9, v8, s[24:25]
	v_lshl_add_u64 v[8:9], v[4:5], 0, 2
	v_cmp_ne_u32_e64 s[24:25], 0, v2
	s_nop 1
	v_cndmask_b32_e64 v2, v11, v9, s[24:25]
	v_cndmask_b32_e64 v9, 0, -1, vcc
	v_cmp_eq_u32_e32 vcc, s55, v1
	s_nop 1
	v_cndmask_b32_e32 v1, v7, v9, vcc
	v_cmp_ne_u32_e32 vcc, 0, v1
	s_nop 1
	v_cndmask_b32_e32 v1, v5, v2, vcc
	v_cndmask_b32_e64 v2, v10, v8, s[24:25]
	v_cndmask_b32_e32 v2, v4, v2, vcc
	v_xor_b32_e32 v5, s30, v6
	v_xor_b32_e32 v4, s31, v6
	;; [unrolled: 1-line block ×4, first 2 shown]
	v_sub_co_u32_e32 v6, vcc, v2, v5
	s_nop 1
	v_subb_co_u32_e32 v7, vcc, v1, v4, vcc
                                        ; implicit-def: $vgpr4_vgpr5
.LBB14_50:                              ;   in Loop: Header=BB14_47 Depth=1
	s_andn2_saveexec_b64 s[24:25], s[28:29]
	s_cbranch_execz .LBB14_52
; %bb.51:                               ;   in Loop: Header=BB14_47 Depth=1
	v_cvt_f32_u32_e32 v1, s72
	s_sub_i32 s28, 0, s72
	v_rcp_iflag_f32_e32 v1, v1
	s_nop 0
	v_mul_f32_e32 v1, 0x4f7ffffe, v1
	v_cvt_u32_f32_e32 v1, v1
	v_mul_lo_u32 v2, s28, v1
	v_mul_hi_u32 v2, v1, v2
	v_add_u32_e32 v1, v1, v2
	v_mul_hi_u32 v1, v4, v1
	v_mul_lo_u32 v2, v1, s72
	v_sub_u32_e32 v2, v4, v2
	v_add_u32_e32 v5, 1, v1
	v_subrev_u32_e32 v4, s72, v2
	v_cmp_le_u32_e32 vcc, s72, v2
	s_nop 1
	v_cndmask_b32_e32 v2, v2, v4, vcc
	v_cndmask_b32_e32 v1, v1, v5, vcc
	v_add_u32_e32 v4, 1, v1
	v_cmp_le_u32_e32 vcc, s72, v2
	s_nop 1
	v_cndmask_b32_e32 v2, v1, v4, vcc
	v_mov_b64_e32 v[6:7], v[2:3]
.LBB14_52:                              ;   in Loop: Header=BB14_47 Depth=1
	s_or_b64 exec, exec, s[24:25]
	v_lshl_add_u64 v[46:47], v[6:7], 0, 7
	v_and_b32_e32 v46, -8, v46
.LBB14_53:                              ;   in Loop: Header=BB14_47 Depth=1
	s_or_b64 exec, exec, s[26:27]
	v_accvgpr_read_b32 v7, a5
	v_accvgpr_read_b32 v6, a4
	v_lshl_add_u64 v[6:7], v[18:19], 0, v[6:7]
	v_mul_lo_u32 v1, v47, s77
	v_mul_lo_u32 v2, v46, s78
	v_mad_u64_u32 v[4:5], s[24:25], v46, s77, 0
	v_accvgpr_write_b32 a49, v7
	v_add3_u32 v5, v5, v2, v1
	v_accvgpr_write_b32 a48, v6
	v_sub_co_u32_e32 v6, vcc, v20, v4
	s_nop 1
	v_subb_co_u32_e32 v7, vcc, v21, v5, vcc
	v_cmp_lt_i64_e32 vcc, v[46:47], v[6:7]
	s_nop 1
	v_cndmask_b32_e32 v2, v6, v46, vcc
	v_max_i32_e32 v1, 0, v2
	v_add_u32_e32 v6, 15, v1
	v_ashrrev_i32_e32 v7, 31, v6
	v_lshrrev_b32_e32 v7, 28, v7
	v_add_u32_e32 v6, v6, v7
	v_and_b32_e32 v6, -16, v6
	v_cmp_gt_i32_e32 vcc, 1, v2
	v_max_i32_e32 v6, s79, v6
	s_or_b64 s[26:27], s[2:3], vcc
	v_mov_b32_e32 v2, 0
	s_xor_b64 s[24:25], s[26:27], -1
	s_mov_b64 s[28:29], exec
	v_accvgpr_write_b32 a43, v19
	v_accvgpr_write_b32 a47, v21
	s_and_b64 s[24:25], s[28:29], s[24:25]
	v_accvgpr_write_b32 a42, v18
	v_accvgpr_write_b32 a46, v20
	s_mov_b64 exec, s[24:25]
	s_cbranch_execz .LBB14_192
; %bb.54:                               ;   in Loop: Header=BB14_47 Depth=1
	s_and_saveexec_b64 s[24:25], s[0:1]
	s_cbranch_execz .LBB14_56
; %bb.55:                               ;   in Loop: Header=BB14_47 Depth=1
	s_trap 2
	ds_read_b64 v[8:9], v0
	v_accvgpr_read_b32 v10, a48
	v_accvgpr_read_b32 v11, a49
	v_mov_b32_e32 v2, v3
	s_waitcnt lgkmcnt(0)
	v_lshl_add_u64 v[8:9], v[10:11], 1, v[8:9]
	v_lshl_add_u64 v[4:5], v[4:5], 1, v[8:9]
	ds_write_b64 v0, v[4:5]
	ds_write_b64 v0, v[2:3]
.LBB14_56:                              ;   in Loop: Header=BB14_47 Depth=1
	s_or_b64 exec, exec, s[24:25]
	v_and_b32_e32 v2, 8, v0
	v_cmp_ne_u32_e32 vcc, 0, v2
	s_mov_b64 s[30:31], -1
	s_and_saveexec_b64 s[24:25], vcc
	s_cbranch_execz .LBB14_68
; %bb.57:                               ;   in Loop: Header=BB14_47 Depth=1
	v_lshl_add_u64 v[8:9], v[56:57], 0, 8
	v_lshl_add_u64 v[4:5], v[54:55], 0, 4
	v_cmp_lt_u64_e32 vcc, v[8:9], v[4:5]
	v_mov_b32_e32 v2, 1
	s_and_saveexec_b64 s[30:31], vcc
	s_cbranch_execz .LBB14_67
; %bb.58:                               ;   in Loop: Header=BB14_47 Depth=1
	s_mov_b64 s[54:55], 0
	v_mov_b32_e32 v2, 0
                                        ; implicit-def: $sgpr56_sgpr57
	s_branch .LBB14_62
.LBB14_59:                              ;   in Loop: Header=BB14_62 Depth=2
	s_or_b64 exec, exec, s[64:65]
	v_mov_b32_e32 v7, 0
	s_orn2_b64 s[62:63], s[62:63], exec
.LBB14_60:                              ;   in Loop: Header=BB14_62 Depth=2
	s_or_b64 exec, exec, s[60:61]
	s_andn2_b64 vcc, s[56:57], exec
	s_and_b64 s[56:57], s[62:63], exec
	s_or_b64 s[56:57], vcc, s[56:57]
	v_mov_b32_e32 v2, v7
.LBB14_61:                              ;   in Loop: Header=BB14_62 Depth=2
	s_or_b64 exec, exec, s[58:59]
	s_waitcnt vmcnt(0) lgkmcnt(0)
	v_lshl_add_u64 v[8:9], v[56:57], 0, 8
	v_cmp_ge_u64_e32 vcc, v[8:9], v[4:5]
	s_xor_b64 s[58:59], s[56:57], -1
	s_or_b64 vcc, s[58:59], vcc
	s_and_b64 vcc, exec, vcc
	s_or_b64 s[54:55], vcc, s[54:55]
	s_andn2_b64 exec, exec, s[54:55]
	s_cbranch_execz .LBB14_66
.LBB14_62:                              ;   Parent Loop BB14_47 Depth=1
                                        ; =>  This Inner Loop Header: Depth=2
	s_sleep 1
	flat_load_dwordx2 v[56:57], v[42:43] sc0 sc1
	v_and_b32_e32 v7, 64, v0
	v_cmp_eq_u32_e32 vcc, 0, v7
	s_andn2_b64 s[56:57], s[56:57], exec
	s_and_saveexec_b64 s[58:59], vcc
	s_cbranch_execz .LBB14_61
; %bb.63:                               ;   in Loop: Header=BB14_62 Depth=2
	v_add_u32_e32 v7, 1, v2
	v_cmp_lt_i32_e32 vcc, s83, v2
	s_mov_b64 s[62:63], -1
	s_and_saveexec_b64 s[60:61], vcc
	s_cbranch_execz .LBB14_60
; %bb.64:                               ;   in Loop: Header=BB14_62 Depth=2
	s_trap 2
	ds_read_b64 v[8:9], v0
	s_waitcnt vmcnt(0) lgkmcnt(0)
	flat_load_dword v2, v[8:9] sc0 sc1
	s_waitcnt vmcnt(0) lgkmcnt(0)
	buffer_inv sc0 sc1
	v_cmp_ne_u32_e32 vcc, 0, v2
	s_and_saveexec_b64 s[64:65], vcc
	s_cbranch_execz .LBB14_59
; %bb.65:                               ;   in Loop: Header=BB14_62 Depth=2
	v_or_b32_e32 v0, 64, v0
	s_xor_b64 s[62:63], exec, -1
	ds_write_b32 v0, v2
	s_trap 2
	s_branch .LBB14_59
.LBB14_66:                              ;   in Loop: Header=BB14_47 Depth=1
	s_or_b64 exec, exec, s[54:55]
	v_and_b32_e32 v2, 8, v0
.LBB14_67:                              ;   in Loop: Header=BB14_47 Depth=1
	s_or_b64 exec, exec, s[30:31]
	v_cmp_eq_u32_e32 vcc, 0, v2
	s_orn2_b64 s[30:31], vcc, exec
	;;#ASMSTART
	s_wakeup
	;;#ASMEND
.LBB14_68:                              ;   in Loop: Header=BB14_47 Depth=1
	s_or_b64 exec, exec, s[24:25]
	s_xor_b64 s[24:25], s[30:31], -1
	v_min_i32_e32 v6, v6, v1
	s_and_saveexec_b64 s[30:31], s[24:25]
	s_cbranch_execz .LBB14_78
; %bb.69:                               ;   in Loop: Header=BB14_47 Depth=1
	v_and_b32_e32 v2, 0x100, v0
	v_cmp_ne_u32_e32 vcc, 0, v2
	v_and_b32_e32 v2, 7, v54
	s_mov_b64 s[24:25], -1
                                        ; implicit-def: $vgpr4_vgpr5
	s_and_saveexec_b64 s[54:55], vcc
	s_cbranch_execz .LBB14_73
; %bb.70:                               ;   in Loop: Header=BB14_47 Depth=1
	v_mad_u64_u32 v[8:9], s[24:25], v2, 24, v[36:37]
	flat_load_dword v10, v[8:9]
	v_ashrrev_i32_e32 v7, 31, v6
	v_lshlrev_b64 v[4:5], 1, v[6:7]
	flat_store_dwordx2 v[8:9], v[4:5] offset:8
                                        ; implicit-def: $vgpr4_vgpr5
	s_waitcnt vmcnt(0) lgkmcnt(0)
	v_cmp_ne_u32_e32 vcc, 1, v10
	v_cmp_eq_u32_e64 s[24:25], 1, v10
	s_and_saveexec_b64 s[56:57], s[24:25]
	s_cbranch_execz .LBB14_72
; %bb.71:                               ;   in Loop: Header=BB14_47 Depth=1
	flat_load_dword v4, v[8:9] offset:4 sc0 sc1
	s_waitcnt vmcnt(0) lgkmcnt(0)
	v_ashrrev_i32_e32 v5, 31, v4
	v_lshrrev_b64 v[4:5], 1, v[4:5]
.LBB14_72:                              ;   in Loop: Header=BB14_47 Depth=1
	s_or_b64 exec, exec, s[56:57]
	s_orn2_b64 s[24:25], vcc, exec
.LBB14_73:                              ;   in Loop: Header=BB14_47 Depth=1
	s_or_b64 exec, exec, s[54:55]
	s_and_saveexec_b64 vcc, s[24:25]
; %bb.74:                               ;   in Loop: Header=BB14_47 Depth=1
	v_mad_i64_i32 v[4:5], s[24:25], v2, v40, 0
; %bb.75:                               ;   in Loop: Header=BB14_47 Depth=1
	s_or_b64 exec, exec, vcc
	v_and_b32_e32 v2, 0x2000, v0
	v_lshl_add_u64 v[4:5], v[4:5], 1, v[48:49]
	v_cmp_ne_u32_e32 vcc, 0, v2
	ds_write_b64 v0, v[4:5] offset:784
	s_and_saveexec_b64 s[24:25], vcc
	s_cbranch_execz .LBB14_77
; %bb.76:                               ;   in Loop: Header=BB14_47 Depth=1
	ds_read_b64 v[4:5], v0 offset:584
	s_waitcnt lgkmcnt(0)
	v_lshl_add_u64 v[4:5], v[4:5], 0, 1
	ds_write_b64 v0, v[4:5] offset:584
.LBB14_77:                              ;   in Loop: Header=BB14_47 Depth=1
	s_or_b64 exec, exec, s[24:25]
	v_lshl_add_u64 v[54:55], v[54:55], 0, 4
.LBB14_78:                              ;   in Loop: Header=BB14_47 Depth=1
	s_or_b64 exec, exec, s[30:31]
	s_and_saveexec_b64 s[24:25], s[6:7]
	s_cbranch_execz .LBB14_97
; %bb.79:                               ;   in Loop: Header=BB14_47 Depth=1
	s_and_saveexec_b64 vcc, s[40:41]
	s_xor_b64 s[30:31], exec, vcc
	s_cbranch_execz .LBB14_94
; %bb.80:                               ;   in Loop: Header=BB14_47 Depth=1
	s_and_saveexec_b64 s[54:55], s[14:15]
	s_cbranch_execz .LBB14_93
; %bb.81:                               ;   in Loop: Header=BB14_47 Depth=1
	s_mov_b64 s[58:59], exec
	v_mbcnt_lo_u32_b32 v2, s58, 0
	v_mbcnt_hi_u32_b32 v2, s59, v2
	v_cmp_eq_u32_e32 vcc, 0, v2
	s_waitcnt lgkmcnt(0)
	s_and_saveexec_b64 s[56:57], vcc
	s_cbranch_execz .LBB14_83
; %bb.82:                               ;   in Loop: Header=BB14_47 Depth=1
	s_bcnt1_i32_b64 vcc_lo, s[58:59]
	v_mov_b32_e32 v2, vcc_lo
	ds_add_u64 v0, v[2:3]
	s_trap 2
.LBB14_83:                              ;   in Loop: Header=BB14_47 Depth=1
	s_or_b64 exec, exec, s[56:57]
	s_trap 2
	ds_read_b64 v[4:5], v0
	v_lshl_add_u64 v[38:39], v[38:39], 0, v[52:53]
	s_waitcnt lgkmcnt(0)
	v_cmp_lt_u64_e32 vcc, v[4:5], v[38:39]
	s_and_saveexec_b64 s[56:57], vcc
	s_cbranch_execz .LBB14_92
; %bb.84:                               ;   in Loop: Header=BB14_47 Depth=1
	s_mov_b32 s68, 0
	s_mov_b64 s[58:59], 0
                                        ; implicit-def: $sgpr60_sgpr61
                                        ; implicit-def: $sgpr62_sgpr63
	s_branch .LBB14_86
.LBB14_85:                              ;   in Loop: Header=BB14_86 Depth=2
	s_or_b64 exec, exec, s[66:67]
	s_and_b64 vcc, exec, vcc
	s_or_b64 s[58:59], vcc, s[58:59]
	s_andn2_b64 vcc, s[60:61], exec
	s_and_b64 s[60:61], s[62:63], exec
	s_or_b64 s[60:61], vcc, s[60:61]
	s_andn2_b64 exec, exec, s[58:59]
	s_cbranch_execz .LBB14_90
.LBB14_86:                              ;   Parent Loop BB14_47 Depth=1
                                        ; =>  This Inner Loop Header: Depth=2
	s_add_i32 s68, s68, 1
	s_cmpk_lg_i32 s68, 0x2710
	s_cselect_b64 s[64:65], -1, 0
	s_and_b64 vcc, exec, s[64:65]
                                        ; implicit-def: $sgpr66_sgpr67
	s_cbranch_vccnz .LBB14_88
; %bb.87:                               ;   in Loop: Header=BB14_86 Depth=2
	s_trap 2
	ds_read_b64 v[4:5], v0
	s_andn2_b64 s[64:65], s[64:65], exec
	s_mov_b32 s68, 0
	s_mov_b64 s[66:67], -1
	s_waitcnt vmcnt(0) lgkmcnt(0)
	flat_load_dword v2, v[4:5] sc0 sc1
	s_waitcnt vmcnt(0) lgkmcnt(0)
	buffer_inv sc0 sc1
	v_cmp_eq_u32_e32 vcc, 0, v2
	s_and_b64 vcc, vcc, exec
	s_or_b64 s[64:65], s[64:65], vcc
.LBB14_88:                              ;   in Loop: Header=BB14_86 Depth=2
	s_andn2_b64 s[62:63], s[62:63], exec
	s_and_b64 s[66:67], s[66:67], exec
	s_mov_b64 vcc, -1
	s_or_b64 s[62:63], s[62:63], s[66:67]
	s_and_saveexec_b64 s[66:67], s[64:65]
	s_cbranch_execz .LBB14_85
; %bb.89:                               ;   in Loop: Header=BB14_86 Depth=2
	s_sleep 1
	s_trap 2
	ds_read_b64 v[4:5], v0
	s_andn2_b64 s[62:63], s[62:63], exec
	s_waitcnt lgkmcnt(0)
	v_cmp_ge_u64_e32 vcc, v[4:5], v[38:39]
	s_orn2_b64 vcc, vcc, exec
	s_branch .LBB14_85
.LBB14_90:                              ;   in Loop: Header=BB14_47 Depth=1
	s_or_b64 exec, exec, s[58:59]
	s_and_saveexec_b64 vcc, s[60:61]
	s_xor_b64 vcc, exec, vcc
	s_cbranch_execz .LBB14_92
; %bb.91:                               ;   in Loop: Header=BB14_47 Depth=1
	ds_write_b32 v0, v17
	s_trap 2
.LBB14_92:                              ;   in Loop: Header=BB14_47 Depth=1
	s_or_b64 exec, exec, s[56:57]
	;;#ASMSTART
	s_wakeup
	;;#ASMEND
.LBB14_93:                              ;   in Loop: Header=BB14_47 Depth=1
	s_or_b64 exec, exec, s[54:55]
.LBB14_94:                              ;   in Loop: Header=BB14_47 Depth=1
	s_andn2_saveexec_b64 vcc, s[30:31]
	s_cbranch_execz .LBB14_96
; %bb.95:                               ;   in Loop: Header=BB14_47 Depth=1
	s_waitcnt lgkmcnt(0)
	s_barrier
.LBB14_96:                              ;   in Loop: Header=BB14_47 Depth=1
	s_or_b64 exec, exec, vcc
.LBB14_97:                              ;   in Loop: Header=BB14_47 Depth=1
	s_or_b64 exec, exec, s[24:25]
	s_trap 2
	ds_read_b32 v4, v0
	v_and_b32_e32 v2, 0x4000, v0
	v_cmp_ne_u32_e32 vcc, 0, v2
	s_xor_b64 s[24:25], s[4:5], -1
	s_and_b64 vcc, s[24:25], vcc
	s_and_saveexec_b64 s[24:25], vcc
	s_cbranch_execz .LBB14_116
; %bb.98:                               ;   in Loop: Header=BB14_47 Depth=1
	s_and_saveexec_b64 vcc, s[40:41]
	s_xor_b64 s[30:31], exec, vcc
	s_cbranch_execz .LBB14_113
; %bb.99:                               ;   in Loop: Header=BB14_47 Depth=1
	s_and_saveexec_b64 s[54:55], s[14:15]
	s_cbranch_execz .LBB14_112
; %bb.100:                              ;   in Loop: Header=BB14_47 Depth=1
	s_mov_b64 s[58:59], exec
	v_mbcnt_lo_u32_b32 v2, s58, 0
	v_mbcnt_hi_u32_b32 v2, s59, v2
	v_cmp_eq_u32_e32 vcc, 0, v2
	s_waitcnt lgkmcnt(0)
	s_and_saveexec_b64 s[56:57], vcc
	s_cbranch_execz .LBB14_102
; %bb.101:                              ;   in Loop: Header=BB14_47 Depth=1
	s_bcnt1_i32_b64 vcc_lo, s[58:59]
	v_mov_b32_e32 v2, vcc_lo
	ds_add_u64 v0, v[2:3]
	s_trap 2
.LBB14_102:                             ;   in Loop: Header=BB14_47 Depth=1
	s_or_b64 exec, exec, s[56:57]
	s_trap 2
	ds_read_b64 v[8:9], v0
	v_lshl_add_u64 v[38:39], v[38:39], 0, v[52:53]
	s_waitcnt lgkmcnt(0)
	v_cmp_lt_u64_e32 vcc, v[8:9], v[38:39]
	s_and_saveexec_b64 s[56:57], vcc
	s_cbranch_execz .LBB14_111
; %bb.103:                              ;   in Loop: Header=BB14_47 Depth=1
	s_mov_b32 s68, 0
	s_mov_b64 s[58:59], 0
                                        ; implicit-def: $sgpr60_sgpr61
                                        ; implicit-def: $sgpr62_sgpr63
	s_branch .LBB14_105
.LBB14_104:                             ;   in Loop: Header=BB14_105 Depth=2
	s_or_b64 exec, exec, s[66:67]
	s_and_b64 vcc, exec, vcc
	s_or_b64 s[58:59], vcc, s[58:59]
	s_andn2_b64 vcc, s[60:61], exec
	s_and_b64 s[60:61], s[62:63], exec
	s_or_b64 s[60:61], vcc, s[60:61]
	s_andn2_b64 exec, exec, s[58:59]
	s_cbranch_execz .LBB14_109
.LBB14_105:                             ;   Parent Loop BB14_47 Depth=1
                                        ; =>  This Inner Loop Header: Depth=2
	s_add_i32 s68, s68, 1
	s_cmpk_lg_i32 s68, 0x2710
	s_cselect_b64 s[64:65], -1, 0
	s_and_b64 vcc, exec, s[64:65]
                                        ; implicit-def: $sgpr66_sgpr67
	s_cbranch_vccnz .LBB14_107
; %bb.106:                              ;   in Loop: Header=BB14_105 Depth=2
	s_trap 2
	ds_read_b64 v[8:9], v0
	s_andn2_b64 s[64:65], s[64:65], exec
	s_mov_b32 s68, 0
	s_mov_b64 s[66:67], -1
	s_waitcnt vmcnt(0) lgkmcnt(0)
	flat_load_dword v2, v[8:9] sc0 sc1
	s_waitcnt vmcnt(0) lgkmcnt(0)
	buffer_inv sc0 sc1
	v_cmp_eq_u32_e32 vcc, 0, v2
	s_and_b64 vcc, vcc, exec
	s_or_b64 s[64:65], s[64:65], vcc
.LBB14_107:                             ;   in Loop: Header=BB14_105 Depth=2
	s_andn2_b64 s[62:63], s[62:63], exec
	s_and_b64 s[66:67], s[66:67], exec
	s_mov_b64 vcc, -1
	s_or_b64 s[62:63], s[62:63], s[66:67]
	s_and_saveexec_b64 s[66:67], s[64:65]
	s_cbranch_execz .LBB14_104
; %bb.108:                              ;   in Loop: Header=BB14_105 Depth=2
	s_sleep 1
	s_trap 2
	ds_read_b64 v[8:9], v0
	s_andn2_b64 s[62:63], s[62:63], exec
	s_waitcnt lgkmcnt(0)
	v_cmp_ge_u64_e32 vcc, v[8:9], v[38:39]
	s_orn2_b64 vcc, vcc, exec
	s_branch .LBB14_104
.LBB14_109:                             ;   in Loop: Header=BB14_47 Depth=1
	s_or_b64 exec, exec, s[58:59]
	s_and_saveexec_b64 vcc, s[60:61]
	s_xor_b64 vcc, exec, vcc
	s_cbranch_execz .LBB14_111
; %bb.110:                              ;   in Loop: Header=BB14_47 Depth=1
	ds_write_b32 v0, v17
	s_trap 2
.LBB14_111:                             ;   in Loop: Header=BB14_47 Depth=1
	s_or_b64 exec, exec, s[56:57]
	;;#ASMSTART
	s_wakeup
	;;#ASMEND
.LBB14_112:                             ;   in Loop: Header=BB14_47 Depth=1
	s_or_b64 exec, exec, s[54:55]
.LBB14_113:                             ;   in Loop: Header=BB14_47 Depth=1
	s_andn2_saveexec_b64 vcc, s[30:31]
	s_cbranch_execz .LBB14_115
; %bb.114:                              ;   in Loop: Header=BB14_47 Depth=1
	s_waitcnt lgkmcnt(0)
	s_barrier
.LBB14_115:                             ;   in Loop: Header=BB14_47 Depth=1
	s_or_b64 exec, exec, vcc
.LBB14_116:                             ;   in Loop: Header=BB14_47 Depth=1
	s_or_b64 exec, exec, s[24:25]
	s_trap 2
	ds_read_b64 v[8:9], v0
	s_waitcnt lgkmcnt(0)
	v_readfirstlane_b32 s24, v8
	v_readfirstlane_b32 s25, v9
	s_cmp_eq_u64 s[24:25], 0
	s_cselect_b64 s[24:25], -1, 0
	s_or_b64 vcc, s[24:25], s[24:25]
	s_mov_b64 s[24:25], 0
	s_and_b64 vcc, exec, vcc
	s_cbranch_vccnz .LBB14_123
; %bb.117:                              ;   in Loop: Header=BB14_47 Depth=1
	s_mov_b64 s[24:25], -1
	s_and_saveexec_b64 s[30:31], s[16:17]
	s_cbranch_execz .LBB14_119
; %bb.118:                              ;   in Loop: Header=BB14_47 Depth=1
	ds_read_b32 v2, v0 offset:720
	s_waitcnt lgkmcnt(0)
	v_and_b32_e32 v2, 15, v2
	v_cmp_eq_u32_e32 vcc, 0, v2
	s_orn2_b64 s[24:25], vcc, exec
.LBB14_119:                             ;   in Loop: Header=BB14_47 Depth=1
	s_or_b64 exec, exec, s[30:31]
	s_and_saveexec_b64 s[30:31], s[18:19]
	s_cbranch_execz .LBB14_121
; %bb.120:                              ;   in Loop: Header=BB14_47 Depth=1
	ds_read_b32 v2, v0 offset:784
	s_waitcnt lgkmcnt(0)
	v_and_b32_e32 v2, 15, v2
	v_cmp_eq_u32_e32 vcc, 0, v2
	s_and_b64 vcc, s[24:25], vcc
	s_andn2_b64 s[24:25], s[24:25], exec
	s_and_b64 vcc, vcc, exec
	s_or_b64 s[24:25], s[24:25], vcc
.LBB14_121:                             ;   in Loop: Header=BB14_47 Depth=1
	s_or_b64 exec, exec, s[30:31]
	v_cmp_eq_u32_e32 vcc, 0, v4
	s_xor_b64 s[24:25], s[24:25], -1
	v_cndmask_b32_e64 v4, 0, 1, s[24:25]
	v_cndmask_b32_e32 v2, 0, v6, vcc
	v_mov_b32_e32 v12, 0
	v_lshlrev_b32_e32 v7, 1, v2
	s_mov_b64 s[54:55], -1
	;;#ASMSTART
	;;#ASMEND
	s_nop 0
	v_cmp_ne_u32_e32 vcc, 0, v4
	s_cbranch_vccz .LBB14_129
; %bb.122:                              ;   in Loop: Header=BB14_47 Depth=1
	v_mov_b32_e32 v13, v32
	v_mov_b32_e32 v8, v41
	s_and_saveexec_b64 s[24:25], s[54:55]
	s_cbranch_execnz .LBB14_142
	s_branch .LBB14_150
.LBB14_123:                             ;   in Loop: Header=BB14_47 Depth=1
	s_and_saveexec_b64 s[30:31], s[6:7]
	s_cbranch_execnz .LBB14_151
.LBB14_124:                             ;   in Loop: Header=BB14_47 Depth=1
	s_or_b64 exec, exec, s[30:31]
                                        ; implicit-def: $vgpr2
	s_and_saveexec_b64 vcc, s[22:23]
	s_xor_b64 s[30:31], exec, vcc
	s_cbranch_execz .LBB14_169
.LBB14_125:                             ;   in Loop: Header=BB14_47 Depth=1
	v_and_b32_e32 v4, 16, v0
	v_cmp_ne_u32_e32 vcc, 0, v4
	v_and_b32_e32 v2, 16, v0
	s_and_b64 vcc, vcc, s[24:25]
	s_and_saveexec_b64 s[24:25], vcc
	s_cbranch_execz .LBB14_127
; %bb.126:                              ;   in Loop: Header=BB14_47 Depth=1
	v_mov_b32_e32 v2, 1
	buffer_wbl2 sc1
	s_waitcnt vmcnt(0) lgkmcnt(0)
	buffer_inv sc1
.LBB14_127:                             ;   in Loop: Header=BB14_47 Depth=1
	s_or_b64 exec, exec, s[24:25]
	s_andn2_saveexec_b64 s[24:25], s[30:31]
	s_cbranch_execnz .LBB14_170
.LBB14_128:                             ;   in Loop: Header=BB14_47 Depth=1
	s_or_b64 exec, exec, s[24:25]
	v_cmp_ne_u32_e32 vcc, 0, v2
	s_and_saveexec_b64 s[24:25], vcc
	s_cbranch_execnz .LBB14_188
	s_branch .LBB14_191
.LBB14_129:                             ;   in Loop: Header=BB14_47 Depth=1
	v_ashrrev_i32_e32 v4, 31, v7
	v_lshrrev_b32_e32 v4, 19, v4
	v_add_u32_e32 v4, v7, v4
	v_ashrrev_i32_e32 v10, 13, v4
	v_sub_u32_e32 v11, v10, v41
	v_cmp_lt_i32_e32 vcc, 0, v11
	s_and_saveexec_b64 s[30:31], vcc
	s_cbranch_execz .LBB14_133
; %bb.130:                              ;   in Loop: Header=BB14_47 Depth=1
	s_trap 2
	ds_read_b64 v[4:5], v0
	v_accvgpr_write_b32 a12, v38
	v_accvgpr_write_b32 a22, v44
	;; [unrolled: 1-line block ×4, first 2 shown]
	s_mov_b64 s[54:55], 0
	s_waitcnt lgkmcnt(0)
	v_mov_b64_e32 v[8:9], v[4:5]
	v_mov_b64_e32 v[58:59], v[28:29]
.LBB14_131:                             ;   Parent Loop BB14_47 Depth=1
                                        ; =>  This Inner Loop Header: Depth=2
	s_waitcnt vmcnt(0)
	v_lshl_add_u64 v[28:29], v[22:23], 0, v[8:9]
	v_add_co_u32_e32 v48, vcc, 0x1000, v28
	global_load_dwordx4 v[12:15], v[28:29], off nt
	global_load_dwordx4 v[16:19], v[28:29], off offset:1024 nt
	global_load_dwordx4 v[20:23], v[28:29], off offset:2048 nt
	;; [unrolled: 1-line block ×3, first 2 shown]
	v_addc_co_u32_e32 v49, vcc, 0, v29, vcc
	global_load_dwordx4 v[28:31], v[48:49], off nt
	global_load_dwordx4 v[32:35], v[48:49], off offset:1024 nt
	global_load_dwordx4 v[36:39], v[48:49], off offset:2048 nt
	s_nop 0
	global_load_dwordx4 v[48:51], v[48:49], off offset:3072 nt
	s_nop 0
	scratch_load_dwordx2 v[40:41], off, s33 offset:144 ; 8-byte Folded Reload
	v_sub_u32_e32 v11, v11, v52
	v_cmp_gt_i32_e64 s[24:25], 1, v11
	v_lshl_add_u64 v[8:9], v[8:9], 0, v[58:59]
	s_or_b64 s[54:55], s[24:25], s[54:55]
	s_waitcnt vmcnt(0)
	v_lshl_add_u64 v[40:41], v[40:41], 0, v[4:5]
	global_store_dwordx4 v[40:41], v[12:15], off nt
	global_store_dwordx4 v[40:41], v[16:19], off offset:1024 nt
	global_store_dwordx4 v[40:41], v[20:23], off offset:2048 nt
	scratch_load_dwordx2 v[22:23], off, s33 offset:144 ; 8-byte Folded Reload
	v_lshl_add_u64 v[4:5], v[4:5], 0, v[58:59]
	v_add_co_u32_e32 v44, vcc, 0x1000, v40
	s_nop 1
	v_addc_co_u32_e32 v45, vcc, 0, v41, vcc
	global_store_dwordx4 v[40:41], v[24:27], off offset:3072 nt
	global_store_dwordx4 v[44:45], v[28:31], off nt
	global_store_dwordx4 v[44:45], v[32:35], off offset:1024 nt
	global_store_dwordx4 v[44:45], v[36:39], off offset:2048 nt
	;; [unrolled: 1-line block ×3, first 2 shown]
	s_andn2_b64 exec, exec, s[54:55]
	s_cbranch_execnz .LBB14_131
; %bb.132:                              ;   in Loop: Header=BB14_47 Depth=1
	s_or_b64 exec, exec, s[54:55]
	v_accvgpr_read_b32 v37, a15
	v_accvgpr_read_b32 v49, a19
	;; [unrolled: 1-line block ×20, first 2 shown]
	v_mov_b64_e32 v[28:29], v[58:59]
	v_accvgpr_read_b32 v32, a3
	v_accvgpr_read_b32 v31, a37
	v_accvgpr_read_b32 v25, a39
	v_accvgpr_read_b32 v19, a43
	v_mov_b32_e32 v17, 1
	v_accvgpr_read_b32 v44, a22
	v_accvgpr_read_b32 v21, a47
.LBB14_133:                             ;   in Loop: Header=BB14_47 Depth=1
	s_or_b64 exec, exec, s[30:31]
	v_lshlrev_b32_e32 v10, 13, v10
	v_cmp_ne_u32_e32 vcc, v7, v10
	s_mov_b64 s[54:55], 0
	v_mov_b32_e32 v12, 0
                                        ; implicit-def: $vgpr13
                                        ; implicit-def: $vgpr8
	s_and_saveexec_b64 s[30:31], vcc
	s_cbranch_execz .LBB14_141
; %bb.134:                              ;   in Loop: Header=BB14_47 Depth=1
	v_lshlrev_b32_e32 v5, 6, v11
	v_accvgpr_read_b32 v8, a33
	v_sub_u32_e32 v5, v8, v5
	v_ashrrev_i32_e32 v8, 31, v5
	v_lshrrev_b32_e32 v8, 26, v8
	v_add_u32_e32 v8, v5, v8
	v_ashrrev_i32_e32 v9, 6, v8
	v_and_b32_e32 v8, 0xffffffc0, v8
	v_sub_u32_e32 v11, v5, v8
	v_sub_u32_e32 v4, v7, v10
	v_lshlrev_b32_e32 v5, 4, v11
	v_lshl_add_u32 v8, v9, 10, v5
	v_ashrrev_i32_e32 v5, 31, v4
	v_lshrrev_b32_e32 v5, 22, v5
	v_add_u32_e32 v5, v4, v5
	v_and_b32_e32 v14, 0xfffffc00, v5
	v_sub_u32_e32 v16, v4, v14
	v_ashrrev_i32_e32 v13, 10, v5
	v_cmp_lt_i32_e32 vcc, 15, v16
	v_sub_u32_e32 v12, v4, v8
	s_nop 0
	v_addc_co_u32_e64 v4, s[24:25], 0, v13, vcc
	v_sub_u32_e32 v15, v4, v9
	v_cmp_lt_i32_e64 s[24:25], 15, v12
	s_and_saveexec_b64 s[54:55], s[24:25]
	s_cbranch_execz .LBB14_138
; %bb.135:                              ;   in Loop: Header=BB14_47 Depth=1
	s_trap 2
	ds_read_b64 v[4:5], v0
	v_add_u32_e32 v8, v8, v10
	v_ashrrev_i32_e32 v9, 31, v8
	s_mov_b64 s[56:57], 0
.LBB14_136:                             ;   Parent Loop BB14_47 Depth=1
                                        ; =>  This Inner Loop Header: Depth=2
	s_waitcnt vmcnt(0) lgkmcnt(0)
	v_lshl_add_u64 v[22:23], v[4:5], 0, v[8:9]
	global_load_dwordx4 v[18:21], v[22:23], off nt
	v_sub_u32_e32 v12, v12, v44
	v_cmp_gt_i32_e64 s[24:25], 16, v12
	v_sub_u32_e32 v15, v15, v52
	v_lshl_add_u64 v[8:9], v[8:9], 0, v[30:31]
	s_or_b64 s[56:57], s[24:25], s[56:57]
	s_waitcnt vmcnt(0)
	global_store_dwordx4 v[22:23], v[18:21], off nt
	s_andn2_b64 exec, exec, s[56:57]
	s_cbranch_execnz .LBB14_136
; %bb.137:                              ;   in Loop: Header=BB14_47 Depth=1
	s_or_b64 exec, exec, s[56:57]
	scratch_load_dwordx2 v[22:23], off, s33 offset:144 ; 8-byte Folded Reload
	v_accvgpr_read_b32 v18, a42
	v_accvgpr_read_b32 v20, a46
	;; [unrolled: 1-line block ×4, first 2 shown]
.LBB14_138:                             ;   in Loop: Header=BB14_47 Depth=1
	s_or_b64 exec, exec, s[54:55]
	v_and_b32_e32 v4, 14, v7
	v_cndmask_b32_e32 v7, v16, v4, vcc
	v_cmp_ne_u32_e64 s[24:25], 0, v7
	s_mov_b64 s[54:55], 0
	v_mov_b32_e32 v12, 0
                                        ; implicit-def: $vgpr13
                                        ; implicit-def: $vgpr8
	s_and_saveexec_b64 s[56:57], s[24:25]
	s_cbranch_execz .LBB14_140
; %bb.139:                              ;   in Loop: Header=BB14_47 Depth=1
	v_sub_u32_e32 v4, v16, v4
	v_cndmask_b32_e32 v4, 0, v4, vcc
	v_cmp_lt_i32_e32 vcc, 0, v15
	v_add3_u32 v12, v14, v10, v4
	s_mov_b64 s[54:55], exec
	v_cndmask_b32_e32 v4, 0, v52, vcc
	v_sub_u32_e32 v4, v4, v15
	v_lshl_add_u32 v13, v4, 6, v11
	v_ashrrev_i32_e32 v4, 31, v13
	v_lshrrev_b32_e32 v4, 26, v4
	v_add_u32_e32 v4, v13, v4
	v_ashrrev_i32_e32 v8, 6, v4
.LBB14_140:                             ;   in Loop: Header=BB14_47 Depth=1
	s_or_b64 exec, exec, s[56:57]
	s_and_b64 s[54:55], s[54:55], exec
.LBB14_141:                             ;   in Loop: Header=BB14_47 Depth=1
	s_or_b64 exec, exec, s[30:31]
	s_and_saveexec_b64 s[24:25], s[54:55]
	s_cbranch_execz .LBB14_150
.LBB14_142:                             ;   in Loop: Header=BB14_47 Depth=1
	v_ashrrev_i32_e32 v4, 31, v7
	v_lshrrev_b32_e32 v4, 21, v4
	v_add_u32_e32 v4, v7, v4
	v_ashrrev_i32_e32 v16, 11, v4
	v_sub_u32_e32 v14, v16, v8
	v_ashrrev_i32_e32 v4, 31, v13
	v_cmp_lt_i32_e32 vcc, 0, v14
	v_lshrrev_b32_e32 v15, 26, v4
	s_and_saveexec_b64 s[30:31], vcc
	s_cbranch_execz .LBB14_146
; %bb.143:                              ;   in Loop: Header=BB14_47 Depth=1
	s_trap 2
	ds_read_b64 v[4:5], v0
	v_add_u32_e32 v9, v13, v15
	v_and_b32_e32 v9, 0x7fffffc0, v9
	v_sub_u32_e32 v9, v13, v9
	v_lshlrev_b32_e32 v9, 1, v9
	v_lshlrev_b32_e32 v8, 11, v8
	v_add3_u32 v8, v9, v12, v8
	v_accvgpr_write_b32 a3, v32
	v_ashrrev_i32_e32 v9, 31, v8
	s_mov_b64 s[54:55], 0
	s_waitcnt lgkmcnt(0)
	v_mov_b64_e32 v[10:11], v[4:5]
.LBB14_144:                             ;   Parent Loop BB14_47 Depth=1
                                        ; =>  This Inner Loop Header: Depth=2
	v_lshl_add_u64 v[18:19], v[8:9], 0, v[10:11]
	flat_load_ushort v17, v[18:19] nt
	flat_load_ushort v20, v[18:19] offset:128 nt
	flat_load_ushort v21, v[18:19] offset:256 nt
	s_waitcnt vmcnt(0)
	flat_load_ushort v22, v[18:19] offset:384 nt
	flat_load_ushort v23, v[18:19] offset:512 nt
	;; [unrolled: 1-line block ×13, first 2 shown]
	v_sub_u32_e32 v14, v14, v52
	v_cmp_gt_i32_e32 vcc, 1, v14
	v_lshl_add_u64 v[18:19], v[8:9], 0, v[4:5]
	v_lshl_add_u64 v[10:11], v[10:11], 0, v[60:61]
	;; [unrolled: 1-line block ×3, first 2 shown]
	s_or_b64 s[54:55], vcc, s[54:55]
	s_waitcnt lgkmcnt(0)
	flat_store_short v[18:19], v17 nt
	flat_store_short v[18:19], v20 offset:128 nt
	flat_store_short v[18:19], v21 offset:256 nt
	s_waitcnt vmcnt(0)
	flat_store_short v[18:19], v22 offset:384 nt
	flat_store_short v[18:19], v23 offset:512 nt
	;; [unrolled: 1-line block ×13, first 2 shown]
	s_andn2_b64 exec, exec, s[54:55]
	s_cbranch_execnz .LBB14_144
; %bb.145:                              ;   in Loop: Header=BB14_47 Depth=1
	s_or_b64 exec, exec, s[54:55]
	scratch_load_dwordx2 v[22:23], off, s33 offset:144 ; 8-byte Folded Reload
	v_accvgpr_read_b32 v35, a25
	v_accvgpr_read_b32 v26, a30
	;; [unrolled: 1-line block ×15, first 2 shown]
	v_mov_b32_e32 v17, 1
	v_accvgpr_read_b32 v21, a47
.LBB14_146:                             ;   in Loop: Header=BB14_47 Depth=1
	s_or_b64 exec, exec, s[30:31]
	v_lshlrev_b32_e32 v4, 11, v16
	v_cmp_ne_u32_e32 vcc, v7, v4
	s_and_b64 exec, exec, vcc
	s_cbranch_execz .LBB14_150
; %bb.147:                              ;   in Loop: Header=BB14_47 Depth=1
	v_add_u32_e32 v5, v13, v15
	v_and_b32_e32 v5, 0xffffffc0, v5
	v_sub_u32_e32 v5, v13, v5
	v_lshlrev_b32_e32 v8, 6, v14
	v_sub_u32_e32 v5, v5, v8
	v_ashrrev_i32_e32 v8, 31, v5
	v_lshrrev_b32_e32 v8, 26, v8
	v_add_u32_e32 v8, v5, v8
	v_and_b32_e32 v9, 0x7fffffc0, v8
	v_sub_u32_e32 v5, v5, v9
	v_lshlrev_b32_e32 v8, 1, v8
	v_and_b32_e32 v8, 0xffffff80, v8
	v_lshlrev_b32_e32 v5, 1, v5
	v_add3_u32 v8, v8, v5, v4
	v_sub_u32_e32 v7, v7, v8
	v_cmp_lt_i32_e32 vcc, 1, v7
	s_and_b64 exec, exec, vcc
	s_cbranch_execz .LBB14_150
; %bb.148:                              ;   in Loop: Header=BB14_47 Depth=1
	s_trap 2
	ds_read_b64 v[4:5], v0
	v_add_u32_e32 v8, v8, v12
	v_ashrrev_i32_e32 v9, 31, v8
	s_mov_b64 s[30:31], 0
.LBB14_149:                             ;   Parent Loop BB14_47 Depth=1
                                        ; =>  This Inner Loop Header: Depth=2
	s_waitcnt lgkmcnt(0)
	v_lshl_add_u64 v[10:11], v[4:5], 0, v[8:9]
	flat_load_ushort v12, v[10:11] nt
	v_sub_u32_e32 v7, v7, v45
	v_cmp_gt_i32_e32 vcc, 2, v7
	v_lshl_add_u64 v[8:9], v[8:9], 0, v[24:25]
	s_or_b64 s[30:31], vcc, s[30:31]
	s_waitcnt vmcnt(0) lgkmcnt(0)
	flat_store_short v[10:11], v12 nt
	s_andn2_b64 exec, exec, s[30:31]
	s_cbranch_execnz .LBB14_149
.LBB14_150:                             ;   in Loop: Header=BB14_47 Depth=1
	s_or_b64 exec, exec, s[24:25]
	v_cmp_lt_i32_e64 s[24:25], 0, v2
	s_and_saveexec_b64 s[30:31], s[6:7]
	s_cbranch_execz .LBB14_124
.LBB14_151:                             ;   in Loop: Header=BB14_47 Depth=1
	s_and_saveexec_b64 vcc, s[40:41]
	s_xor_b64 s[54:55], exec, vcc
	s_cbranch_execz .LBB14_166
; %bb.152:                              ;   in Loop: Header=BB14_47 Depth=1
	s_and_saveexec_b64 s[56:57], s[14:15]
	s_cbranch_execz .LBB14_165
; %bb.153:                              ;   in Loop: Header=BB14_47 Depth=1
	s_mov_b64 s[60:61], exec
	v_mbcnt_lo_u32_b32 v2, s60, 0
	v_mbcnt_hi_u32_b32 v2, s61, v2
	v_cmp_eq_u32_e32 vcc, 0, v2
	s_waitcnt lgkmcnt(0)
	s_and_saveexec_b64 s[58:59], vcc
	s_cbranch_execz .LBB14_155
; %bb.154:                              ;   in Loop: Header=BB14_47 Depth=1
	s_bcnt1_i32_b64 vcc_lo, s[60:61]
	v_mov_b32_e32 v2, vcc_lo
	ds_add_u64 v0, v[2:3]
	s_trap 2
.LBB14_155:                             ;   in Loop: Header=BB14_47 Depth=1
	s_or_b64 exec, exec, s[58:59]
	s_trap 2
	ds_read_b64 v[4:5], v0
	v_lshl_add_u64 v[38:39], v[38:39], 0, v[52:53]
	s_waitcnt lgkmcnt(0)
	v_cmp_lt_u64_e32 vcc, v[4:5], v[38:39]
	s_and_saveexec_b64 s[58:59], vcc
	s_cbranch_execz .LBB14_164
; %bb.156:                              ;   in Loop: Header=BB14_47 Depth=1
	s_mov_b32 s70, 0
	s_mov_b64 s[60:61], 0
                                        ; implicit-def: $sgpr62_sgpr63
                                        ; implicit-def: $sgpr64_sgpr65
	s_branch .LBB14_158
.LBB14_157:                             ;   in Loop: Header=BB14_158 Depth=2
	s_or_b64 exec, exec, s[68:69]
	s_and_b64 vcc, exec, vcc
	s_or_b64 s[60:61], vcc, s[60:61]
	s_andn2_b64 vcc, s[62:63], exec
	s_and_b64 s[62:63], s[64:65], exec
	s_or_b64 s[62:63], vcc, s[62:63]
	s_andn2_b64 exec, exec, s[60:61]
	s_cbranch_execz .LBB14_162
.LBB14_158:                             ;   Parent Loop BB14_47 Depth=1
                                        ; =>  This Inner Loop Header: Depth=2
	s_add_i32 s70, s70, 1
	s_cmpk_lg_i32 s70, 0x2710
	s_cselect_b64 s[66:67], -1, 0
	s_and_b64 vcc, exec, s[66:67]
                                        ; implicit-def: $sgpr68_sgpr69
	s_cbranch_vccnz .LBB14_160
; %bb.159:                              ;   in Loop: Header=BB14_158 Depth=2
	s_trap 2
	ds_read_b64 v[4:5], v0
	s_andn2_b64 s[66:67], s[66:67], exec
	s_mov_b32 s70, 0
	s_mov_b64 s[68:69], -1
	s_waitcnt vmcnt(0) lgkmcnt(0)
	flat_load_dword v2, v[4:5] sc0 sc1
	s_waitcnt vmcnt(0) lgkmcnt(0)
	buffer_inv sc0 sc1
	v_cmp_eq_u32_e32 vcc, 0, v2
	s_and_b64 vcc, vcc, exec
	s_or_b64 s[66:67], s[66:67], vcc
.LBB14_160:                             ;   in Loop: Header=BB14_158 Depth=2
	s_andn2_b64 s[64:65], s[64:65], exec
	s_and_b64 s[68:69], s[68:69], exec
	s_mov_b64 vcc, -1
	s_or_b64 s[64:65], s[64:65], s[68:69]
	s_and_saveexec_b64 s[68:69], s[66:67]
	s_cbranch_execz .LBB14_157
; %bb.161:                              ;   in Loop: Header=BB14_158 Depth=2
	s_sleep 1
	s_trap 2
	ds_read_b64 v[4:5], v0
	s_andn2_b64 s[64:65], s[64:65], exec
	s_waitcnt lgkmcnt(0)
	v_cmp_ge_u64_e32 vcc, v[4:5], v[38:39]
	s_orn2_b64 vcc, vcc, exec
	s_branch .LBB14_157
.LBB14_162:                             ;   in Loop: Header=BB14_47 Depth=1
	s_or_b64 exec, exec, s[60:61]
	s_and_saveexec_b64 vcc, s[62:63]
	s_xor_b64 vcc, exec, vcc
	s_cbranch_execz .LBB14_164
; %bb.163:                              ;   in Loop: Header=BB14_47 Depth=1
	ds_write_b32 v0, v17
	s_trap 2
.LBB14_164:                             ;   in Loop: Header=BB14_47 Depth=1
	s_or_b64 exec, exec, s[58:59]
	;;#ASMSTART
	s_wakeup
	;;#ASMEND
.LBB14_165:                             ;   in Loop: Header=BB14_47 Depth=1
	s_or_b64 exec, exec, s[56:57]
.LBB14_166:                             ;   in Loop: Header=BB14_47 Depth=1
	s_andn2_saveexec_b64 vcc, s[54:55]
	s_cbranch_execz .LBB14_168
; %bb.167:                              ;   in Loop: Header=BB14_47 Depth=1
	s_waitcnt lgkmcnt(0)
	s_barrier
.LBB14_168:                             ;   in Loop: Header=BB14_47 Depth=1
	s_or_b64 exec, exec, vcc
	s_or_b64 exec, exec, s[30:31]
                                        ; implicit-def: $vgpr2
	s_and_saveexec_b64 vcc, s[22:23]
	s_xor_b64 s[30:31], exec, vcc
	s_cbranch_execnz .LBB14_125
.LBB14_169:                             ;   in Loop: Header=BB14_47 Depth=1
	s_andn2_saveexec_b64 s[24:25], s[30:31]
	s_cbranch_execz .LBB14_128
.LBB14_170:                             ;   in Loop: Header=BB14_47 Depth=1
	s_and_saveexec_b64 vcc, s[40:41]
	s_xor_b64 s[30:31], exec, vcc
	s_cbranch_execz .LBB14_185
; %bb.171:                              ;   in Loop: Header=BB14_47 Depth=1
	s_and_saveexec_b64 s[54:55], s[14:15]
	s_cbranch_execz .LBB14_184
; %bb.172:                              ;   in Loop: Header=BB14_47 Depth=1
	s_mov_b64 s[58:59], exec
	v_mbcnt_lo_u32_b32 v2, s58, 0
	v_mbcnt_hi_u32_b32 v2, s59, v2
	v_cmp_eq_u32_e32 vcc, 0, v2
	;;#ASMSTART
	s_waitcnt lgkmcnt(0) vmcnt(0)
	;;#ASMEND
	s_and_saveexec_b64 s[56:57], vcc
	s_cbranch_execz .LBB14_174
; %bb.173:                              ;   in Loop: Header=BB14_47 Depth=1
	s_bcnt1_i32_b64 vcc_lo, s[58:59]
	v_mov_b32_e32 v2, vcc_lo
	ds_add_u64 v0, v[2:3]
	s_trap 2
.LBB14_174:                             ;   in Loop: Header=BB14_47 Depth=1
	s_or_b64 exec, exec, s[56:57]
	s_trap 2
	ds_read_b64 v[4:5], v0
	v_lshl_add_u64 v[38:39], v[38:39], 0, v[52:53]
	s_waitcnt lgkmcnt(0)
	v_cmp_lt_u64_e32 vcc, v[4:5], v[38:39]
	s_and_saveexec_b64 s[56:57], vcc
	s_cbranch_execz .LBB14_183
; %bb.175:                              ;   in Loop: Header=BB14_47 Depth=1
	s_mov_b32 s68, 0
	s_mov_b64 s[58:59], 0
                                        ; implicit-def: $sgpr60_sgpr61
                                        ; implicit-def: $sgpr62_sgpr63
	s_branch .LBB14_177
.LBB14_176:                             ;   in Loop: Header=BB14_177 Depth=2
	s_or_b64 exec, exec, s[66:67]
	s_and_b64 vcc, exec, vcc
	s_or_b64 s[58:59], vcc, s[58:59]
	s_andn2_b64 vcc, s[60:61], exec
	s_and_b64 s[60:61], s[62:63], exec
	s_or_b64 s[60:61], vcc, s[60:61]
	s_andn2_b64 exec, exec, s[58:59]
	s_cbranch_execz .LBB14_181
.LBB14_177:                             ;   Parent Loop BB14_47 Depth=1
                                        ; =>  This Inner Loop Header: Depth=2
	s_add_i32 s68, s68, 1
	s_cmpk_lg_i32 s68, 0x2710
	s_cselect_b64 s[64:65], -1, 0
	s_and_b64 vcc, exec, s[64:65]
                                        ; implicit-def: $sgpr66_sgpr67
	s_cbranch_vccnz .LBB14_179
; %bb.178:                              ;   in Loop: Header=BB14_177 Depth=2
	s_trap 2
	ds_read_b64 v[4:5], v0
	s_andn2_b64 s[64:65], s[64:65], exec
	s_mov_b32 s68, 0
	s_mov_b64 s[66:67], -1
	s_waitcnt vmcnt(0) lgkmcnt(0)
	flat_load_dword v2, v[4:5] sc0 sc1
	s_waitcnt vmcnt(0) lgkmcnt(0)
	buffer_inv sc0 sc1
	v_cmp_eq_u32_e32 vcc, 0, v2
	s_and_b64 vcc, vcc, exec
	s_or_b64 s[64:65], s[64:65], vcc
.LBB14_179:                             ;   in Loop: Header=BB14_177 Depth=2
	s_andn2_b64 s[62:63], s[62:63], exec
	s_and_b64 s[66:67], s[66:67], exec
	s_mov_b64 vcc, -1
	s_or_b64 s[62:63], s[62:63], s[66:67]
	s_and_saveexec_b64 s[66:67], s[64:65]
	s_cbranch_execz .LBB14_176
; %bb.180:                              ;   in Loop: Header=BB14_177 Depth=2
	s_sleep 1
	s_trap 2
	ds_read_b64 v[4:5], v0
	s_andn2_b64 s[62:63], s[62:63], exec
	s_waitcnt lgkmcnt(0)
	v_cmp_ge_u64_e32 vcc, v[4:5], v[38:39]
	s_orn2_b64 vcc, vcc, exec
	s_branch .LBB14_176
.LBB14_181:                             ;   in Loop: Header=BB14_47 Depth=1
	s_or_b64 exec, exec, s[58:59]
	s_and_saveexec_b64 vcc, s[60:61]
	s_xor_b64 vcc, exec, vcc
	s_cbranch_execz .LBB14_183
; %bb.182:                              ;   in Loop: Header=BB14_47 Depth=1
	ds_write_b32 v0, v17
	s_trap 2
.LBB14_183:                             ;   in Loop: Header=BB14_47 Depth=1
	s_or_b64 exec, exec, s[56:57]
	;;#ASMSTART
	s_wakeup
	;;#ASMEND
.LBB14_184:                             ;   in Loop: Header=BB14_47 Depth=1
	s_or_b64 exec, exec, s[54:55]
.LBB14_185:                             ;   in Loop: Header=BB14_47 Depth=1
	s_andn2_saveexec_b64 vcc, s[30:31]
	s_cbranch_execz .LBB14_187
; %bb.186:                              ;   in Loop: Header=BB14_47 Depth=1
	;;#ASMSTART
	s_waitcnt lgkmcnt(0) vmcnt(0)
	;;#ASMEND
	s_barrier
.LBB14_187:                             ;   in Loop: Header=BB14_47 Depth=1
	s_or_b64 exec, exec, vcc
	v_and_b32_e32 v2, 16, v0
	s_or_b64 exec, exec, s[24:25]
	v_cmp_ne_u32_e32 vcc, 0, v2
	s_and_saveexec_b64 s[24:25], vcc
	s_cbranch_execz .LBB14_191
.LBB14_188:                             ;   in Loop: Header=BB14_47 Depth=1
	s_and_saveexec_b64 vcc, s[12:13]
	s_cbranch_execz .LBB14_190
; %bb.189:                              ;   in Loop: Header=BB14_47 Depth=1
	flat_store_dword v[50:51], v17 sc0 sc1
.LBB14_190:                             ;   in Loop: Header=BB14_47 Depth=1
	s_or_b64 exec, exec, vcc
	v_lshl_add_u64 v[54:55], v[54:55], 0, 4
	flat_store_dwordx2 v[42:43], v[54:55] sc0 sc1
.LBB14_191:                             ;   in Loop: Header=BB14_47 Depth=1
	s_or_b64 exec, exec, s[24:25]
	v_mov_b32_e32 v2, v6
.LBB14_192:                             ;   in Loop: Header=BB14_47 Depth=1
	s_or_b64 exec, exec, s[28:29]
	s_and_saveexec_b64 s[28:29], s[26:27]
	s_cbranch_execz .LBB14_262
; %bb.193:                              ;   in Loop: Header=BB14_47 Depth=1
	v_and_b32_e32 v4, 8, v0
	v_cmp_ne_u32_e32 vcc, 0, v4
	s_mov_b64 s[26:27], -1
	s_and_saveexec_b64 s[24:25], vcc
	s_cbranch_execz .LBB14_205
; %bb.194:                              ;   in Loop: Header=BB14_47 Depth=1
	v_lshl_add_u64 v[8:9], v[56:57], 0, 8
	v_lshl_add_u64 v[4:5], v[54:55], 0, 4
	v_cmp_lt_u64_e32 vcc, v[8:9], v[4:5]
	v_mov_b32_e32 v7, 1
	s_and_saveexec_b64 s[26:27], vcc
	s_cbranch_execz .LBB14_204
; %bb.195:                              ;   in Loop: Header=BB14_47 Depth=1
	s_mov_b64 s[30:31], 0
	v_mov_b32_e32 v7, 0
                                        ; implicit-def: $sgpr54_sgpr55
	s_branch .LBB14_199
.LBB14_196:                             ;   in Loop: Header=BB14_199 Depth=2
	s_or_b64 exec, exec, s[62:63]
	v_mov_b32_e32 v8, 0
	s_orn2_b64 s[60:61], s[60:61], exec
.LBB14_197:                             ;   in Loop: Header=BB14_199 Depth=2
	s_or_b64 exec, exec, s[58:59]
	s_andn2_b64 vcc, s[54:55], exec
	s_and_b64 s[54:55], s[60:61], exec
	s_or_b64 s[54:55], vcc, s[54:55]
	v_mov_b32_e32 v7, v8
.LBB14_198:                             ;   in Loop: Header=BB14_199 Depth=2
	s_or_b64 exec, exec, s[56:57]
	s_waitcnt vmcnt(0) lgkmcnt(0)
	v_lshl_add_u64 v[8:9], v[56:57], 0, 8
	v_cmp_ge_u64_e32 vcc, v[8:9], v[4:5]
	s_xor_b64 s[56:57], s[54:55], -1
	s_or_b64 vcc, s[56:57], vcc
	s_and_b64 vcc, exec, vcc
	s_or_b64 s[30:31], vcc, s[30:31]
	s_andn2_b64 exec, exec, s[30:31]
	s_cbranch_execz .LBB14_203
.LBB14_199:                             ;   Parent Loop BB14_47 Depth=1
                                        ; =>  This Inner Loop Header: Depth=2
	s_sleep 1
	flat_load_dwordx2 v[56:57], v[42:43] sc0 sc1
	v_and_b32_e32 v8, 64, v0
	v_cmp_eq_u32_e32 vcc, 0, v8
	s_andn2_b64 s[54:55], s[54:55], exec
	s_and_saveexec_b64 s[56:57], vcc
	s_cbranch_execz .LBB14_198
; %bb.200:                              ;   in Loop: Header=BB14_199 Depth=2
	v_add_u32_e32 v8, 1, v7
	v_cmp_lt_i32_e32 vcc, s83, v7
	s_mov_b64 s[60:61], -1
	s_and_saveexec_b64 s[58:59], vcc
	s_cbranch_execz .LBB14_197
; %bb.201:                              ;   in Loop: Header=BB14_199 Depth=2
	s_trap 2
	ds_read_b64 v[8:9], v0
	s_waitcnt vmcnt(0) lgkmcnt(0)
	flat_load_dword v7, v[8:9] sc0 sc1
	s_waitcnt vmcnt(0) lgkmcnt(0)
	buffer_inv sc0 sc1
	v_cmp_ne_u32_e32 vcc, 0, v7
	s_and_saveexec_b64 s[62:63], vcc
	s_cbranch_execz .LBB14_196
; %bb.202:                              ;   in Loop: Header=BB14_199 Depth=2
	v_or_b32_e32 v0, 64, v0
	s_xor_b64 s[60:61], exec, -1
	ds_write_b32 v0, v7
	s_trap 2
	s_branch .LBB14_196
.LBB14_203:                             ;   in Loop: Header=BB14_47 Depth=1
	s_or_b64 exec, exec, s[30:31]
	v_and_b32_e32 v7, 8, v0
.LBB14_204:                             ;   in Loop: Header=BB14_47 Depth=1
	s_or_b64 exec, exec, s[26:27]
	v_cmp_eq_u32_e32 vcc, 0, v7
	s_orn2_b64 s[26:27], vcc, exec
	;;#ASMSTART
	s_wakeup
	;;#ASMEND
.LBB14_205:                             ;   in Loop: Header=BB14_47 Depth=1
	s_or_b64 exec, exec, s[24:25]
	v_sub_u32_e32 v1, v1, v2
	s_xor_b64 s[24:25], s[26:27], -1
	v_min_i32_e32 v6, v6, v1
	s_and_saveexec_b64 s[26:27], s[24:25]
	s_cbranch_execz .LBB14_220
; %bb.206:                              ;   in Loop: Header=BB14_47 Depth=1
	v_and_b32_e32 v1, 0x100, v0
	v_cmp_ne_u32_e32 vcc, 0, v1
	v_and_b32_e32 v1, 7, v54
	s_mov_b64 s[24:25], -1
                                        ; implicit-def: $vgpr4_vgpr5
	s_and_saveexec_b64 s[30:31], vcc
	s_cbranch_execz .LBB14_210
; %bb.207:                              ;   in Loop: Header=BB14_47 Depth=1
	v_mad_u64_u32 v[8:9], s[24:25], v1, 24, v[36:37]
	flat_load_dword v2, v[8:9]
	v_ashrrev_i32_e32 v7, 31, v6
	v_lshlrev_b64 v[4:5], 1, v[6:7]
	flat_store_dwordx2 v[8:9], v[4:5] offset:8
                                        ; implicit-def: $vgpr4_vgpr5
	s_waitcnt vmcnt(0) lgkmcnt(0)
	v_cmp_ne_u32_e32 vcc, 1, v2
	v_cmp_eq_u32_e64 s[24:25], 1, v2
	s_and_saveexec_b64 s[54:55], s[24:25]
	s_cbranch_execz .LBB14_209
; %bb.208:                              ;   in Loop: Header=BB14_47 Depth=1
	flat_load_dword v4, v[8:9] offset:4 sc0 sc1
	s_waitcnt vmcnt(0) lgkmcnt(0)
	v_ashrrev_i32_e32 v5, 31, v4
	v_lshrrev_b64 v[4:5], 1, v[4:5]
.LBB14_209:                             ;   in Loop: Header=BB14_47 Depth=1
	s_or_b64 exec, exec, s[54:55]
	s_orn2_b64 s[24:25], vcc, exec
.LBB14_210:                             ;   in Loop: Header=BB14_47 Depth=1
	s_or_b64 exec, exec, s[30:31]
	s_and_saveexec_b64 vcc, s[24:25]
; %bb.211:                              ;   in Loop: Header=BB14_47 Depth=1
	v_mad_i64_i32 v[4:5], s[24:25], v1, v40, 0
; %bb.212:                              ;   in Loop: Header=BB14_47 Depth=1
	s_or_b64 exec, exec, vcc
	v_and_b32_e32 v1, 0x2000, v0
	v_lshl_add_u64 v[4:5], v[4:5], 1, v[48:49]
	v_cmp_ne_u32_e32 vcc, 0, v1
	ds_write_b64 v0, v[4:5] offset:784
	s_and_saveexec_b64 s[24:25], vcc
	s_cbranch_execz .LBB14_214
; %bb.213:                              ;   in Loop: Header=BB14_47 Depth=1
	ds_read_b64 v[4:5], v0 offset:584
	s_waitcnt lgkmcnt(0)
	v_lshl_add_u64 v[4:5], v[4:5], 0, 1
	ds_write_b64 v0, v[4:5] offset:584
.LBB14_214:                             ;   in Loop: Header=BB14_47 Depth=1
	s_or_b64 exec, exec, s[24:25]
	v_lshl_add_u64 v[54:55], v[54:55], 0, 4
	s_or_b64 exec, exec, s[26:27]
	s_and_saveexec_b64 s[24:25], s[6:7]
	s_cbranch_execnz .LBB14_221
.LBB14_215:                             ;   in Loop: Header=BB14_47 Depth=1
	s_or_b64 exec, exec, s[24:25]
                                        ; implicit-def: $vgpr1
	s_and_saveexec_b64 s[24:25], s[22:23]
	s_xor_b64 s[24:25], exec, s[24:25]
	s_cbranch_execz .LBB14_239
.LBB14_216:                             ;   in Loop: Header=BB14_47 Depth=1
	s_trap 2
	ds_read_b32 v2, v0
	v_cmp_lt_i32_e32 vcc, 0, v6
	v_and_b32_e32 v4, 16, v0
	v_and_b32_e32 v1, 16, v0
	s_waitcnt lgkmcnt(0)
	v_readfirstlane_b32 s26, v2
	s_cmp_eq_u32 s26, 0
	s_cselect_b64 s[26:27], -1, 0
	s_and_b64 s[26:27], vcc, s[26:27]
	v_cmp_ne_u32_e32 vcc, 0, v4
	s_and_b64 vcc, vcc, s[26:27]
	s_and_saveexec_b64 s[26:27], vcc
	s_cbranch_execz .LBB14_218
; %bb.217:                              ;   in Loop: Header=BB14_47 Depth=1
	v_mov_b32_e32 v1, 1
	buffer_wbl2 sc1
	s_waitcnt vmcnt(0)
	buffer_inv sc1
.LBB14_218:                             ;   in Loop: Header=BB14_47 Depth=1
	s_or_b64 exec, exec, s[26:27]
	s_andn2_saveexec_b64 s[24:25], s[24:25]
	s_cbranch_execnz .LBB14_240
.LBB14_219:                             ;   in Loop: Header=BB14_47 Depth=1
	s_or_b64 exec, exec, s[24:25]
	v_cmp_ne_u32_e32 vcc, 0, v1
	s_and_saveexec_b64 s[24:25], vcc
	s_cbranch_execnz .LBB14_258
	s_branch .LBB14_261
.LBB14_220:                             ;   in Loop: Header=BB14_47 Depth=1
	s_or_b64 exec, exec, s[26:27]
	s_and_saveexec_b64 s[24:25], s[6:7]
	s_cbranch_execz .LBB14_215
.LBB14_221:                             ;   in Loop: Header=BB14_47 Depth=1
	s_and_saveexec_b64 s[26:27], s[40:41]
	s_xor_b64 s[26:27], exec, s[26:27]
	s_cbranch_execz .LBB14_236
; %bb.222:                              ;   in Loop: Header=BB14_47 Depth=1
	s_and_saveexec_b64 s[30:31], s[14:15]
	s_cbranch_execz .LBB14_235
; %bb.223:                              ;   in Loop: Header=BB14_47 Depth=1
	s_mov_b64 s[56:57], exec
	v_mbcnt_lo_u32_b32 v1, s56, 0
	v_mbcnt_hi_u32_b32 v1, s57, v1
	v_cmp_eq_u32_e32 vcc, 0, v1
	s_waitcnt lgkmcnt(0)
	s_and_saveexec_b64 s[54:55], vcc
	s_cbranch_execz .LBB14_225
; %bb.224:                              ;   in Loop: Header=BB14_47 Depth=1
	s_bcnt1_i32_b64 vcc_lo, s[56:57]
	v_mov_b32_e32 v2, vcc_lo
	ds_add_u64 v0, v[2:3]
	s_trap 2
.LBB14_225:                             ;   in Loop: Header=BB14_47 Depth=1
	s_or_b64 exec, exec, s[54:55]
	s_trap 2
	ds_read_b64 v[4:5], v0
	v_lshl_add_u64 v[38:39], v[38:39], 0, v[52:53]
	s_waitcnt lgkmcnt(0)
	v_cmp_lt_u64_e32 vcc, v[4:5], v[38:39]
	s_and_saveexec_b64 s[54:55], vcc
	s_cbranch_execz .LBB14_234
; %bb.226:                              ;   in Loop: Header=BB14_47 Depth=1
	s_mov_b32 s66, 0
	s_mov_b64 s[56:57], 0
                                        ; implicit-def: $sgpr58_sgpr59
                                        ; implicit-def: $sgpr60_sgpr61
	s_branch .LBB14_228
.LBB14_227:                             ;   in Loop: Header=BB14_228 Depth=2
	s_or_b64 exec, exec, s[64:65]
	s_and_b64 vcc, exec, vcc
	s_or_b64 s[56:57], vcc, s[56:57]
	s_andn2_b64 vcc, s[58:59], exec
	s_and_b64 s[58:59], s[60:61], exec
	s_or_b64 s[58:59], vcc, s[58:59]
	s_andn2_b64 exec, exec, s[56:57]
	s_cbranch_execz .LBB14_232
.LBB14_228:                             ;   Parent Loop BB14_47 Depth=1
                                        ; =>  This Inner Loop Header: Depth=2
	s_add_i32 s66, s66, 1
	s_cmpk_lg_i32 s66, 0x2710
	s_cselect_b64 s[62:63], -1, 0
	s_and_b64 vcc, exec, s[62:63]
                                        ; implicit-def: $sgpr64_sgpr65
	s_cbranch_vccnz .LBB14_230
; %bb.229:                              ;   in Loop: Header=BB14_228 Depth=2
	s_trap 2
	ds_read_b64 v[4:5], v0
	s_andn2_b64 s[62:63], s[62:63], exec
	s_mov_b32 s66, 0
	s_mov_b64 s[64:65], -1
	s_waitcnt vmcnt(0) lgkmcnt(0)
	flat_load_dword v1, v[4:5] sc0 sc1
	s_waitcnt vmcnt(0) lgkmcnt(0)
	buffer_inv sc0 sc1
	v_cmp_eq_u32_e32 vcc, 0, v1
	s_and_b64 vcc, vcc, exec
	s_or_b64 s[62:63], s[62:63], vcc
.LBB14_230:                             ;   in Loop: Header=BB14_228 Depth=2
	s_andn2_b64 s[60:61], s[60:61], exec
	s_and_b64 s[64:65], s[64:65], exec
	s_mov_b64 vcc, -1
	s_or_b64 s[60:61], s[60:61], s[64:65]
	s_and_saveexec_b64 s[64:65], s[62:63]
	s_cbranch_execz .LBB14_227
; %bb.231:                              ;   in Loop: Header=BB14_228 Depth=2
	s_sleep 1
	s_trap 2
	ds_read_b64 v[4:5], v0
	s_andn2_b64 s[60:61], s[60:61], exec
	s_waitcnt lgkmcnt(0)
	v_cmp_ge_u64_e32 vcc, v[4:5], v[38:39]
	s_orn2_b64 vcc, vcc, exec
	s_branch .LBB14_227
.LBB14_232:                             ;   in Loop: Header=BB14_47 Depth=1
	s_or_b64 exec, exec, s[56:57]
	s_and_saveexec_b64 vcc, s[58:59]
	s_xor_b64 vcc, exec, vcc
	s_cbranch_execz .LBB14_234
; %bb.233:                              ;   in Loop: Header=BB14_47 Depth=1
	ds_write_b32 v0, v17
	s_trap 2
.LBB14_234:                             ;   in Loop: Header=BB14_47 Depth=1
	s_or_b64 exec, exec, s[54:55]
	;;#ASMSTART
	s_wakeup
	;;#ASMEND
.LBB14_235:                             ;   in Loop: Header=BB14_47 Depth=1
	s_or_b64 exec, exec, s[30:31]
.LBB14_236:                             ;   in Loop: Header=BB14_47 Depth=1
	s_andn2_saveexec_b64 s[26:27], s[26:27]
	s_cbranch_execz .LBB14_238
; %bb.237:                              ;   in Loop: Header=BB14_47 Depth=1
	s_waitcnt lgkmcnt(0)
	s_barrier
.LBB14_238:                             ;   in Loop: Header=BB14_47 Depth=1
	s_or_b64 exec, exec, s[26:27]
	s_or_b64 exec, exec, s[24:25]
                                        ; implicit-def: $vgpr1
	s_and_saveexec_b64 s[24:25], s[22:23]
	s_xor_b64 s[24:25], exec, s[24:25]
	s_cbranch_execnz .LBB14_216
.LBB14_239:                             ;   in Loop: Header=BB14_47 Depth=1
	s_andn2_saveexec_b64 s[24:25], s[24:25]
	s_cbranch_execz .LBB14_219
.LBB14_240:                             ;   in Loop: Header=BB14_47 Depth=1
	s_and_saveexec_b64 s[26:27], s[40:41]
	s_xor_b64 s[26:27], exec, s[26:27]
	s_cbranch_execz .LBB14_255
; %bb.241:                              ;   in Loop: Header=BB14_47 Depth=1
	s_and_saveexec_b64 s[30:31], s[14:15]
	s_cbranch_execz .LBB14_254
; %bb.242:                              ;   in Loop: Header=BB14_47 Depth=1
	s_mov_b64 s[56:57], exec
	v_mbcnt_lo_u32_b32 v1, s56, 0
	v_mbcnt_hi_u32_b32 v1, s57, v1
	v_cmp_eq_u32_e32 vcc, 0, v1
	;;#ASMSTART
	s_waitcnt lgkmcnt(0) vmcnt(0)
	;;#ASMEND
	s_and_saveexec_b64 s[54:55], vcc
	s_cbranch_execz .LBB14_244
; %bb.243:                              ;   in Loop: Header=BB14_47 Depth=1
	s_bcnt1_i32_b64 vcc_lo, s[56:57]
	v_mov_b32_e32 v2, vcc_lo
	ds_add_u64 v0, v[2:3]
	s_trap 2
.LBB14_244:                             ;   in Loop: Header=BB14_47 Depth=1
	s_or_b64 exec, exec, s[54:55]
	s_trap 2
	ds_read_b64 v[4:5], v0
	v_lshl_add_u64 v[38:39], v[38:39], 0, v[52:53]
	s_waitcnt lgkmcnt(0)
	v_cmp_lt_u64_e32 vcc, v[4:5], v[38:39]
	s_and_saveexec_b64 s[54:55], vcc
	s_cbranch_execz .LBB14_253
; %bb.245:                              ;   in Loop: Header=BB14_47 Depth=1
	s_mov_b32 s66, 0
	s_mov_b64 s[56:57], 0
                                        ; implicit-def: $sgpr58_sgpr59
                                        ; implicit-def: $sgpr60_sgpr61
	s_branch .LBB14_247
.LBB14_246:                             ;   in Loop: Header=BB14_247 Depth=2
	s_or_b64 exec, exec, s[64:65]
	s_and_b64 vcc, exec, vcc
	s_or_b64 s[56:57], vcc, s[56:57]
	s_andn2_b64 vcc, s[58:59], exec
	s_and_b64 s[58:59], s[60:61], exec
	s_or_b64 s[58:59], vcc, s[58:59]
	s_andn2_b64 exec, exec, s[56:57]
	s_cbranch_execz .LBB14_251
.LBB14_247:                             ;   Parent Loop BB14_47 Depth=1
                                        ; =>  This Inner Loop Header: Depth=2
	s_add_i32 s66, s66, 1
	s_cmpk_lg_i32 s66, 0x2710
	s_cselect_b64 s[62:63], -1, 0
	s_and_b64 vcc, exec, s[62:63]
                                        ; implicit-def: $sgpr64_sgpr65
	s_cbranch_vccnz .LBB14_249
; %bb.248:                              ;   in Loop: Header=BB14_247 Depth=2
	s_trap 2
	ds_read_b64 v[4:5], v0
	s_andn2_b64 s[62:63], s[62:63], exec
	s_mov_b32 s66, 0
	s_mov_b64 s[64:65], -1
	s_waitcnt vmcnt(0) lgkmcnt(0)
	flat_load_dword v1, v[4:5] sc0 sc1
	s_waitcnt vmcnt(0) lgkmcnt(0)
	buffer_inv sc0 sc1
	v_cmp_eq_u32_e32 vcc, 0, v1
	s_and_b64 vcc, vcc, exec
	s_or_b64 s[62:63], s[62:63], vcc
.LBB14_249:                             ;   in Loop: Header=BB14_247 Depth=2
	s_andn2_b64 s[60:61], s[60:61], exec
	s_and_b64 s[64:65], s[64:65], exec
	s_mov_b64 vcc, -1
	s_or_b64 s[60:61], s[60:61], s[64:65]
	s_and_saveexec_b64 s[64:65], s[62:63]
	s_cbranch_execz .LBB14_246
; %bb.250:                              ;   in Loop: Header=BB14_247 Depth=2
	s_sleep 1
	s_trap 2
	ds_read_b64 v[4:5], v0
	s_andn2_b64 s[60:61], s[60:61], exec
	s_waitcnt lgkmcnt(0)
	v_cmp_ge_u64_e32 vcc, v[4:5], v[38:39]
	s_orn2_b64 vcc, vcc, exec
	s_branch .LBB14_246
.LBB14_251:                             ;   in Loop: Header=BB14_47 Depth=1
	s_or_b64 exec, exec, s[56:57]
	s_and_saveexec_b64 vcc, s[58:59]
	s_xor_b64 vcc, exec, vcc
	s_cbranch_execz .LBB14_253
; %bb.252:                              ;   in Loop: Header=BB14_47 Depth=1
	ds_write_b32 v0, v17
	s_trap 2
.LBB14_253:                             ;   in Loop: Header=BB14_47 Depth=1
	s_or_b64 exec, exec, s[54:55]
	;;#ASMSTART
	s_wakeup
	;;#ASMEND
.LBB14_254:                             ;   in Loop: Header=BB14_47 Depth=1
	s_or_b64 exec, exec, s[30:31]
.LBB14_255:                             ;   in Loop: Header=BB14_47 Depth=1
	s_andn2_saveexec_b64 s[26:27], s[26:27]
	s_cbranch_execz .LBB14_257
; %bb.256:                              ;   in Loop: Header=BB14_47 Depth=1
	;;#ASMSTART
	s_waitcnt lgkmcnt(0) vmcnt(0)
	;;#ASMEND
	s_barrier
.LBB14_257:                             ;   in Loop: Header=BB14_47 Depth=1
	s_or_b64 exec, exec, s[26:27]
	v_and_b32_e32 v1, 16, v0
	s_or_b64 exec, exec, s[24:25]
	v_cmp_ne_u32_e32 vcc, 0, v1
	s_and_saveexec_b64 s[24:25], vcc
	s_cbranch_execz .LBB14_261
.LBB14_258:                             ;   in Loop: Header=BB14_47 Depth=1
	s_and_saveexec_b64 s[26:27], s[12:13]
	s_cbranch_execz .LBB14_260
; %bb.259:                              ;   in Loop: Header=BB14_47 Depth=1
	flat_store_dword v[50:51], v17 sc0 sc1
.LBB14_260:                             ;   in Loop: Header=BB14_47 Depth=1
	s_or_b64 exec, exec, s[26:27]
	v_lshl_add_u64 v[54:55], v[54:55], 0, 4
	flat_store_dwordx2 v[42:43], v[54:55] sc0 sc1
.LBB14_261:                             ;   in Loop: Header=BB14_47 Depth=1
	s_or_b64 exec, exec, s[24:25]
.LBB14_262:                             ;   in Loop: Header=BB14_47 Depth=1
	s_or_b64 exec, exec, s[28:29]
	v_cndmask_b32_e64 v1, 0, 1, s[48:49]
	v_cmp_ne_u32_e64 s[24:25], 1, v1
	s_andn2_b64 vcc, exec, s[48:49]
	s_cbranch_vccnz .LBB14_478
; %bb.263:                              ;   in Loop: Header=BB14_47 Depth=1
	s_mov_b32 s95, 2
	s_branch .LBB14_266
.LBB14_264:                             ;   in Loop: Header=BB14_266 Depth=2
	s_or_b64 exec, exec, s[26:27]
.LBB14_265:                             ;   in Loop: Header=BB14_266 Depth=2
	s_or_b64 exec, exec, s[30:31]
	s_add_i32 s95, s95, 1
	s_cmp_eq_u32 s95, s72
	s_cbranch_scc1 .LBB14_478
.LBB14_266:                             ;   Parent Loop BB14_47 Depth=1
                                        ; =>  This Loop Header: Depth=2
                                        ;       Child Loop BB14_275 Depth 3
                                        ;       Child Loop BB14_301 Depth 3
	;; [unrolled: 1-line block ×12, first 2 shown]
	s_sub_i32 s26, s76, s95
	s_cmp_le_i32 s72, s26
	s_cselect_b32 s27, s72, 0
	s_sub_i32 s26, s26, s27
	s_ashr_i32 s27, s26, 31
	v_mul_lo_u32 v1, v46, s27
	v_mul_lo_u32 v2, v47, s26
	v_mad_u64_u32 v[4:5], s[26:27], v46, s26, 0
	v_add3_u32 v5, v5, v1, v2
	v_sub_co_u32_e32 v6, vcc, v20, v4
	s_nop 1
	v_subb_co_u32_e32 v7, vcc, v21, v5, vcc
	v_cmp_lt_i64_e32 vcc, v[46:47], v[6:7]
	s_nop 1
	v_cndmask_b32_e32 v2, v6, v46, vcc
	v_max_i32_e32 v58, 0, v2
	v_add_u32_e32 v6, 15, v58
	v_ashrrev_i32_e32 v7, 31, v6
	v_lshrrev_b32_e32 v7, 28, v7
	v_add_u32_e32 v6, v6, v7
	v_cmp_gt_i32_e32 vcc, 1, v2
	v_and_b32_e32 v6, -16, v6
	s_or_b64 s[28:29], s[2:3], vcc
	v_max_i32_e32 v6, s79, v6
	s_xor_b64 s[26:27], s[28:29], -1
	v_mov_b32_e32 v7, 0
	s_and_saveexec_b64 s[30:31], s[26:27]
	s_cbranch_execz .LBB14_407
; %bb.267:                              ;   in Loop: Header=BB14_266 Depth=2
	s_and_saveexec_b64 s[26:27], s[0:1]
	s_cbranch_execz .LBB14_269
; %bb.268:                              ;   in Loop: Header=BB14_266 Depth=2
	s_trap 2
	ds_read_b64 v[8:9], v0
	v_accvgpr_read_b32 v10, a48
	v_accvgpr_read_b32 v11, a49
	v_mov_b32_e32 v2, v3
	s_waitcnt lgkmcnt(0)
	v_lshl_add_u64 v[8:9], v[10:11], 1, v[8:9]
	v_lshl_add_u64 v[4:5], v[4:5], 1, v[8:9]
	ds_write_b64 v0, v[4:5]
	ds_write_b64 v0, v[2:3]
.LBB14_269:                             ;   in Loop: Header=BB14_266 Depth=2
	s_or_b64 exec, exec, s[26:27]
	v_and_b32_e32 v2, 12, v0
	v_cmp_ne_u32_e32 vcc, 0, v2
	s_mov_b64 s[54:55], -1
	s_and_saveexec_b64 s[26:27], vcc
	s_cbranch_execz .LBB14_281
; %bb.270:                              ;   in Loop: Header=BB14_266 Depth=2
	v_and_b32_e32 v2, 8, v0
	v_lshl_add_u64 v[8:9], v[56:57], 0, v[2:3]
	v_lshl_add_u64 v[4:5], v[54:55], 0, 4
	v_cmp_lt_u64_e32 vcc, v[8:9], v[4:5]
	v_mov_b32_e32 v7, 1
	s_and_saveexec_b64 s[54:55], vcc
	s_cbranch_execz .LBB14_280
; %bb.271:                              ;   in Loop: Header=BB14_266 Depth=2
	s_mov_b64 s[56:57], 0
	v_mov_b32_e32 v7, 0
                                        ; implicit-def: $sgpr58_sgpr59
	s_branch .LBB14_275
.LBB14_272:                             ;   in Loop: Header=BB14_275 Depth=3
	s_or_b64 exec, exec, s[66:67]
	v_mov_b32_e32 v8, 0
	s_orn2_b64 s[64:65], s[64:65], exec
.LBB14_273:                             ;   in Loop: Header=BB14_275 Depth=3
	s_or_b64 exec, exec, s[62:63]
	s_andn2_b64 vcc, s[58:59], exec
	s_and_b64 s[58:59], s[64:65], exec
	s_or_b64 s[58:59], vcc, s[58:59]
	v_mov_b32_e32 v7, v8
.LBB14_274:                             ;   in Loop: Header=BB14_275 Depth=3
	s_or_b64 exec, exec, s[60:61]
	s_waitcnt vmcnt(0) lgkmcnt(0)
	v_lshl_add_u64 v[8:9], v[56:57], 0, v[2:3]
	v_cmp_ge_u64_e32 vcc, v[8:9], v[4:5]
	s_xor_b64 s[60:61], s[58:59], -1
	s_or_b64 vcc, s[60:61], vcc
	s_and_b64 vcc, exec, vcc
	s_or_b64 s[56:57], vcc, s[56:57]
	s_andn2_b64 exec, exec, s[56:57]
	s_cbranch_execz .LBB14_279
.LBB14_275:                             ;   Parent Loop BB14_47 Depth=1
                                        ;     Parent Loop BB14_266 Depth=2
                                        ; =>    This Inner Loop Header: Depth=3
	s_sleep 1
	flat_load_dwordx2 v[56:57], v[42:43] sc0 sc1
	v_and_b32_e32 v8, 64, v0
	v_cmp_eq_u32_e32 vcc, 0, v8
	s_andn2_b64 s[58:59], s[58:59], exec
	s_and_saveexec_b64 s[60:61], vcc
	s_cbranch_execz .LBB14_274
; %bb.276:                              ;   in Loop: Header=BB14_275 Depth=3
	v_add_u32_e32 v8, 1, v7
	v_cmp_lt_i32_e32 vcc, s83, v7
	s_mov_b64 s[64:65], -1
	s_and_saveexec_b64 s[62:63], vcc
	s_cbranch_execz .LBB14_273
; %bb.277:                              ;   in Loop: Header=BB14_275 Depth=3
	s_trap 2
	ds_read_b64 v[8:9], v0
	s_waitcnt vmcnt(0) lgkmcnt(0)
	flat_load_dword v7, v[8:9] sc0 sc1
	s_waitcnt vmcnt(0) lgkmcnt(0)
	buffer_inv sc0 sc1
	v_cmp_ne_u32_e32 vcc, 0, v7
	s_and_saveexec_b64 s[66:67], vcc
	s_cbranch_execz .LBB14_272
; %bb.278:                              ;   in Loop: Header=BB14_275 Depth=3
	v_or_b32_e32 v0, 64, v0
	s_xor_b64 s[64:65], exec, -1
	ds_write_b32 v0, v7
	s_trap 2
	s_branch .LBB14_272
.LBB14_279:                             ;   in Loop: Header=BB14_266 Depth=2
	s_or_b64 exec, exec, s[56:57]
	v_and_b32_e32 v7, 12, v0
.LBB14_280:                             ;   in Loop: Header=BB14_266 Depth=2
	s_or_b64 exec, exec, s[54:55]
	v_cmp_eq_u32_e32 vcc, 0, v7
	s_orn2_b64 s[54:55], vcc, exec
	;;#ASMSTART
	s_wakeup
	;;#ASMEND
.LBB14_281:                             ;   in Loop: Header=BB14_266 Depth=2
	s_or_b64 exec, exec, s[26:27]
	s_xor_b64 s[26:27], s[54:55], -1
	v_min_i32_e32 v6, v6, v58
	s_and_saveexec_b64 s[54:55], s[26:27]
	s_cbranch_execz .LBB14_293
; %bb.282:                              ;   in Loop: Header=BB14_266 Depth=2
	v_and_b32_e32 v2, 0x108, v0
	v_cmp_ne_u32_e32 vcc, s84, v2
	v_and_b32_e32 v2, 7, v54
	s_and_saveexec_b64 s[26:27], vcc
	s_xor_b64 s[26:27], exec, s[26:27]
	s_andn2_saveexec_b64 s[26:27], s[26:27]
	s_cbranch_execz .LBB14_284
; %bb.283:                              ;   in Loop: Header=BB14_266 Depth=2
	v_ashrrev_i32_e32 v7, 31, v6
	v_mad_u64_u32 v[4:5], vcc, v2, 24, v[36:37]
	v_lshlrev_b64 v[8:9], 1, v[6:7]
	flat_store_dwordx2 v[4:5], v[8:9] offset:8
.LBB14_284:                             ;   in Loop: Header=BB14_266 Depth=2
	s_or_b64 exec, exec, s[26:27]
	v_and_b32_e32 v4, 0x100, v0
	v_cmp_ne_u32_e32 vcc, 0, v4
	s_mov_b64 s[26:27], -1
                                        ; implicit-def: $vgpr4_vgpr5
	s_and_saveexec_b64 s[56:57], vcc
	s_cbranch_execz .LBB14_288
; %bb.285:                              ;   in Loop: Header=BB14_266 Depth=2
	v_mad_u64_u32 v[8:9], s[26:27], v2, 24, v[36:37]
	v_mov_b32_e32 v4, v9
	v_mad_u64_u32 v[4:5], s[26:27], v3, 24, v[4:5]
	v_mov_b32_e32 v9, v4
	flat_load_dword v4, v[8:9]
	s_waitcnt vmcnt(0) lgkmcnt(0)
	v_cmp_ne_u32_e32 vcc, 1, v4
	v_cmp_eq_u32_e64 s[26:27], 1, v4
                                        ; implicit-def: $vgpr4_vgpr5
	s_and_saveexec_b64 s[58:59], s[26:27]
	s_cbranch_execz .LBB14_287
; %bb.286:                              ;   in Loop: Header=BB14_266 Depth=2
	flat_load_dword v4, v[8:9] offset:4 sc0 sc1
	s_waitcnt vmcnt(0) lgkmcnt(0)
	v_ashrrev_i32_e32 v5, 31, v4
	v_lshrrev_b64 v[4:5], 1, v[4:5]
.LBB14_287:                             ;   in Loop: Header=BB14_266 Depth=2
	s_or_b64 exec, exec, s[58:59]
	s_orn2_b64 s[26:27], vcc, exec
.LBB14_288:                             ;   in Loop: Header=BB14_266 Depth=2
	s_or_b64 exec, exec, s[56:57]
	s_and_saveexec_b64 vcc, s[26:27]
; %bb.289:                              ;   in Loop: Header=BB14_266 Depth=2
	v_mul_lo_u32 v7, v3, v40
	v_mul_lo_u32 v8, v2, v33
	v_mad_u64_u32 v[4:5], s[26:27], v2, v40, 0
	v_add3_u32 v5, v5, v8, v7
; %bb.290:                              ;   in Loop: Header=BB14_266 Depth=2
	s_or_b64 exec, exec, vcc
	v_and_b32_e32 v2, 0x2000, v0
	v_lshl_add_u64 v[4:5], v[4:5], 1, v[48:49]
	v_cmp_ne_u32_e32 vcc, 0, v2
	s_trap 2
	ds_write_b64 v0, v[4:5]
	s_and_saveexec_b64 s[26:27], vcc
	s_cbranch_execz .LBB14_292
; %bb.291:                              ;   in Loop: Header=BB14_266 Depth=2
	ds_read_b64 v[4:5], v0 offset:584
	s_waitcnt lgkmcnt(0)
	v_lshl_add_u64 v[4:5], v[4:5], 0, 1
	ds_write_b64 v0, v[4:5] offset:584
.LBB14_292:                             ;   in Loop: Header=BB14_266 Depth=2
	s_or_b64 exec, exec, s[26:27]
	v_lshl_add_u64 v[54:55], v[54:55], 0, 4
.LBB14_293:                             ;   in Loop: Header=BB14_266 Depth=2
	s_or_b64 exec, exec, s[54:55]
	s_and_saveexec_b64 s[26:27], s[6:7]
	s_cbranch_execz .LBB14_312
; %bb.294:                              ;   in Loop: Header=BB14_266 Depth=2
	s_and_saveexec_b64 vcc, s[40:41]
	s_xor_b64 s[54:55], exec, vcc
	s_cbranch_execz .LBB14_309
; %bb.295:                              ;   in Loop: Header=BB14_266 Depth=2
	s_and_saveexec_b64 s[56:57], s[14:15]
	s_cbranch_execz .LBB14_308
; %bb.296:                              ;   in Loop: Header=BB14_266 Depth=2
	s_mov_b64 s[60:61], exec
	v_mbcnt_lo_u32_b32 v2, s60, 0
	v_mbcnt_hi_u32_b32 v2, s61, v2
	v_cmp_eq_u32_e32 vcc, 0, v2
	s_waitcnt lgkmcnt(0)
	s_and_saveexec_b64 s[58:59], vcc
	s_cbranch_execz .LBB14_298
; %bb.297:                              ;   in Loop: Header=BB14_266 Depth=2
	s_bcnt1_i32_b64 vcc_lo, s[60:61]
	v_mov_b32_e32 v2, vcc_lo
	ds_add_u64 v0, v[2:3]
	s_trap 2
.LBB14_298:                             ;   in Loop: Header=BB14_266 Depth=2
	s_or_b64 exec, exec, s[58:59]
	s_trap 2
	ds_read_b64 v[4:5], v0
	v_lshl_add_u64 v[38:39], v[38:39], 0, v[52:53]
	s_waitcnt lgkmcnt(0)
	v_cmp_lt_u64_e32 vcc, v[4:5], v[38:39]
	s_and_saveexec_b64 s[58:59], vcc
	s_cbranch_execz .LBB14_307
; %bb.299:                              ;   in Loop: Header=BB14_266 Depth=2
	s_mov_b32 s70, 0
	s_mov_b64 s[60:61], 0
                                        ; implicit-def: $sgpr62_sgpr63
                                        ; implicit-def: $sgpr64_sgpr65
	s_branch .LBB14_301
.LBB14_300:                             ;   in Loop: Header=BB14_301 Depth=3
	s_or_b64 exec, exec, s[68:69]
	s_and_b64 vcc, exec, vcc
	s_or_b64 s[60:61], vcc, s[60:61]
	s_andn2_b64 vcc, s[62:63], exec
	s_and_b64 s[62:63], s[64:65], exec
	s_or_b64 s[62:63], vcc, s[62:63]
	s_andn2_b64 exec, exec, s[60:61]
	s_cbranch_execz .LBB14_305
.LBB14_301:                             ;   Parent Loop BB14_47 Depth=1
                                        ;     Parent Loop BB14_266 Depth=2
                                        ; =>    This Inner Loop Header: Depth=3
	s_add_i32 s70, s70, 1
	s_cmpk_lg_i32 s70, 0x2710
	s_cselect_b64 s[66:67], -1, 0
	s_and_b64 vcc, exec, s[66:67]
                                        ; implicit-def: $sgpr68_sgpr69
	s_cbranch_vccnz .LBB14_303
; %bb.302:                              ;   in Loop: Header=BB14_301 Depth=3
	s_trap 2
	ds_read_b64 v[4:5], v0
	s_andn2_b64 s[66:67], s[66:67], exec
	s_mov_b32 s70, 0
	s_mov_b64 s[68:69], -1
	s_waitcnt vmcnt(0) lgkmcnt(0)
	flat_load_dword v2, v[4:5] sc0 sc1
	s_waitcnt vmcnt(0) lgkmcnt(0)
	buffer_inv sc0 sc1
	v_cmp_eq_u32_e32 vcc, 0, v2
	s_and_b64 vcc, vcc, exec
	s_or_b64 s[66:67], s[66:67], vcc
.LBB14_303:                             ;   in Loop: Header=BB14_301 Depth=3
	s_andn2_b64 s[64:65], s[64:65], exec
	s_and_b64 s[68:69], s[68:69], exec
	s_mov_b64 vcc, -1
	s_or_b64 s[64:65], s[64:65], s[68:69]
	s_and_saveexec_b64 s[68:69], s[66:67]
	s_cbranch_execz .LBB14_300
; %bb.304:                              ;   in Loop: Header=BB14_301 Depth=3
	s_sleep 1
	s_trap 2
	ds_read_b64 v[4:5], v0
	s_andn2_b64 s[64:65], s[64:65], exec
	s_waitcnt lgkmcnt(0)
	v_cmp_ge_u64_e32 vcc, v[4:5], v[38:39]
	s_orn2_b64 vcc, vcc, exec
	s_branch .LBB14_300
.LBB14_305:                             ;   in Loop: Header=BB14_266 Depth=2
	s_or_b64 exec, exec, s[60:61]
	s_and_saveexec_b64 vcc, s[62:63]
	s_xor_b64 vcc, exec, vcc
	s_cbranch_execz .LBB14_307
; %bb.306:                              ;   in Loop: Header=BB14_266 Depth=2
	ds_write_b32 v0, v17
	s_trap 2
.LBB14_307:                             ;   in Loop: Header=BB14_266 Depth=2
	s_or_b64 exec, exec, s[58:59]
	;;#ASMSTART
	s_wakeup
	;;#ASMEND
.LBB14_308:                             ;   in Loop: Header=BB14_266 Depth=2
	s_or_b64 exec, exec, s[56:57]
.LBB14_309:                             ;   in Loop: Header=BB14_266 Depth=2
	s_andn2_saveexec_b64 vcc, s[54:55]
	s_cbranch_execz .LBB14_311
; %bb.310:                              ;   in Loop: Header=BB14_266 Depth=2
	s_waitcnt lgkmcnt(0)
	s_barrier
.LBB14_311:                             ;   in Loop: Header=BB14_266 Depth=2
	s_or_b64 exec, exec, vcc
.LBB14_312:                             ;   in Loop: Header=BB14_266 Depth=2
	s_or_b64 exec, exec, s[26:27]
	s_trap 2
	ds_read_b32 v5, v0
	v_and_b32_e32 v2, 0x4000, v0
	v_cmp_ne_u32_e32 vcc, 0, v2
	s_xor_b64 s[26:27], s[4:5], -1
	s_and_b64 vcc, s[26:27], vcc
	s_and_saveexec_b64 s[26:27], vcc
	s_cbranch_execz .LBB14_331
; %bb.313:                              ;   in Loop: Header=BB14_266 Depth=2
	s_and_saveexec_b64 vcc, s[40:41]
	s_xor_b64 s[54:55], exec, vcc
	s_cbranch_execz .LBB14_328
; %bb.314:                              ;   in Loop: Header=BB14_266 Depth=2
	s_and_saveexec_b64 s[56:57], s[14:15]
	s_cbranch_execz .LBB14_327
; %bb.315:                              ;   in Loop: Header=BB14_266 Depth=2
	s_mov_b64 s[60:61], exec
	v_mbcnt_lo_u32_b32 v2, s60, 0
	v_mbcnt_hi_u32_b32 v2, s61, v2
	v_cmp_eq_u32_e32 vcc, 0, v2
	s_waitcnt lgkmcnt(0)
	s_and_saveexec_b64 s[58:59], vcc
	s_cbranch_execz .LBB14_317
; %bb.316:                              ;   in Loop: Header=BB14_266 Depth=2
	s_bcnt1_i32_b64 vcc_lo, s[60:61]
	v_mov_b32_e32 v2, vcc_lo
	ds_add_u64 v0, v[2:3]
	s_trap 2
.LBB14_317:                             ;   in Loop: Header=BB14_266 Depth=2
	s_or_b64 exec, exec, s[58:59]
	s_trap 2
	ds_read_b64 v[8:9], v0
	v_lshl_add_u64 v[38:39], v[38:39], 0, v[52:53]
	s_waitcnt lgkmcnt(0)
	v_cmp_lt_u64_e32 vcc, v[8:9], v[38:39]
	s_and_saveexec_b64 s[58:59], vcc
	s_cbranch_execz .LBB14_326
; %bb.318:                              ;   in Loop: Header=BB14_266 Depth=2
	s_mov_b32 s70, 0
	s_mov_b64 s[60:61], 0
                                        ; implicit-def: $sgpr62_sgpr63
                                        ; implicit-def: $sgpr64_sgpr65
	s_branch .LBB14_320
.LBB14_319:                             ;   in Loop: Header=BB14_320 Depth=3
	s_or_b64 exec, exec, s[68:69]
	s_and_b64 vcc, exec, vcc
	s_or_b64 s[60:61], vcc, s[60:61]
	s_andn2_b64 vcc, s[62:63], exec
	s_and_b64 s[62:63], s[64:65], exec
	s_or_b64 s[62:63], vcc, s[62:63]
	s_andn2_b64 exec, exec, s[60:61]
	s_cbranch_execz .LBB14_324
.LBB14_320:                             ;   Parent Loop BB14_47 Depth=1
                                        ;     Parent Loop BB14_266 Depth=2
                                        ; =>    This Inner Loop Header: Depth=3
	s_add_i32 s70, s70, 1
	s_cmpk_lg_i32 s70, 0x2710
	s_cselect_b64 s[66:67], -1, 0
	s_and_b64 vcc, exec, s[66:67]
                                        ; implicit-def: $sgpr68_sgpr69
	s_cbranch_vccnz .LBB14_322
; %bb.321:                              ;   in Loop: Header=BB14_320 Depth=3
	s_trap 2
	ds_read_b64 v[8:9], v0
	s_andn2_b64 s[66:67], s[66:67], exec
	s_mov_b32 s70, 0
	s_mov_b64 s[68:69], -1
	s_waitcnt vmcnt(0) lgkmcnt(0)
	flat_load_dword v2, v[8:9] sc0 sc1
	s_waitcnt vmcnt(0) lgkmcnt(0)
	buffer_inv sc0 sc1
	v_cmp_eq_u32_e32 vcc, 0, v2
	s_and_b64 vcc, vcc, exec
	s_or_b64 s[66:67], s[66:67], vcc
.LBB14_322:                             ;   in Loop: Header=BB14_320 Depth=3
	s_andn2_b64 s[64:65], s[64:65], exec
	s_and_b64 s[68:69], s[68:69], exec
	s_mov_b64 vcc, -1
	s_or_b64 s[64:65], s[64:65], s[68:69]
	s_and_saveexec_b64 s[68:69], s[66:67]
	s_cbranch_execz .LBB14_319
; %bb.323:                              ;   in Loop: Header=BB14_320 Depth=3
	s_sleep 1
	s_trap 2
	ds_read_b64 v[8:9], v0
	s_andn2_b64 s[64:65], s[64:65], exec
	s_waitcnt lgkmcnt(0)
	v_cmp_ge_u64_e32 vcc, v[8:9], v[38:39]
	s_orn2_b64 vcc, vcc, exec
	s_branch .LBB14_319
.LBB14_324:                             ;   in Loop: Header=BB14_266 Depth=2
	s_or_b64 exec, exec, s[60:61]
	s_and_saveexec_b64 vcc, s[62:63]
	s_xor_b64 vcc, exec, vcc
	s_cbranch_execz .LBB14_326
; %bb.325:                              ;   in Loop: Header=BB14_266 Depth=2
	ds_write_b32 v0, v17
	s_trap 2
.LBB14_326:                             ;   in Loop: Header=BB14_266 Depth=2
	s_or_b64 exec, exec, s[58:59]
	;;#ASMSTART
	s_wakeup
	;;#ASMEND
.LBB14_327:                             ;   in Loop: Header=BB14_266 Depth=2
	s_or_b64 exec, exec, s[56:57]
.LBB14_328:                             ;   in Loop: Header=BB14_266 Depth=2
	s_andn2_saveexec_b64 vcc, s[54:55]
	s_cbranch_execz .LBB14_330
; %bb.329:                              ;   in Loop: Header=BB14_266 Depth=2
	s_waitcnt lgkmcnt(0)
	s_barrier
.LBB14_330:                             ;   in Loop: Header=BB14_266 Depth=2
	s_or_b64 exec, exec, vcc
.LBB14_331:                             ;   in Loop: Header=BB14_266 Depth=2
	s_or_b64 exec, exec, s[26:27]
	s_trap 2
	ds_read_b64 v[8:9], v0
	s_waitcnt lgkmcnt(0)
	v_readfirstlane_b32 s26, v8
	v_readfirstlane_b32 s27, v9
	s_cmp_eq_u64 s[26:27], 0
	s_cselect_b64 s[26:27], -1, 0
	s_or_b64 vcc, s[26:27], s[26:27]
	s_mov_b64 s[26:27], 0
	s_and_b64 vcc, exec, vcc
	s_cbranch_vccnz .LBB14_338
; %bb.332:                              ;   in Loop: Header=BB14_266 Depth=2
	s_mov_b64 s[26:27], -1
	s_and_saveexec_b64 s[54:55], s[20:21]
	s_cbranch_execz .LBB14_334
; %bb.333:                              ;   in Loop: Header=BB14_266 Depth=2
	ds_read_b32 v2, v0 offset:720
	s_waitcnt lgkmcnt(0)
	v_and_b32_e32 v2, 15, v2
	v_cmp_eq_u32_e32 vcc, 0, v2
	s_orn2_b64 s[26:27], vcc, exec
.LBB14_334:                             ;   in Loop: Header=BB14_266 Depth=2
	s_or_b64 exec, exec, s[54:55]
	s_and_saveexec_b64 s[54:55], s[18:19]
	s_cbranch_execz .LBB14_336
; %bb.335:                              ;   in Loop: Header=BB14_266 Depth=2
	ds_read_b32 v2, v0 offset:784
	s_waitcnt lgkmcnt(0)
	v_and_b32_e32 v2, 15, v2
	v_cmp_eq_u32_e32 vcc, 0, v2
	s_and_b64 vcc, s[26:27], vcc
	s_andn2_b64 s[26:27], s[26:27], exec
	s_and_b64 vcc, vcc, exec
	s_or_b64 s[26:27], s[26:27], vcc
.LBB14_336:                             ;   in Loop: Header=BB14_266 Depth=2
	s_or_b64 exec, exec, s[54:55]
	v_cmp_eq_u32_e32 vcc, 0, v5
	s_xor_b64 s[26:27], s[26:27], -1
	v_cndmask_b32_e64 v2, 0, 1, s[26:27]
	v_cndmask_b32_e32 v59, 0, v6, vcc
	v_mov_b32_e32 v4, 0
	v_lshlrev_b32_e32 v7, 1, v59
	s_mov_b64 s[56:57], -1
	;;#ASMSTART
	;;#ASMEND
	s_nop 0
	v_cmp_ne_u32_e32 vcc, 0, v2
	s_cbranch_vccz .LBB14_343
; %bb.337:                              ;   in Loop: Header=BB14_266 Depth=2
	v_mov_b32_e32 v5, v32
	v_mov_b32_e32 v8, v41
	s_and_saveexec_b64 s[26:27], s[56:57]
	s_cbranch_execnz .LBB14_356
	s_branch .LBB14_364
.LBB14_338:                             ;   in Loop: Header=BB14_266 Depth=2
	s_and_saveexec_b64 s[54:55], s[6:7]
	s_cbranch_execnz .LBB14_365
.LBB14_339:                             ;   in Loop: Header=BB14_266 Depth=2
	s_or_b64 exec, exec, s[54:55]
                                        ; implicit-def: $vgpr2
	s_and_saveexec_b64 vcc, s[22:23]
	s_xor_b64 s[54:55], exec, vcc
	s_cbranch_execz .LBB14_383
.LBB14_340:                             ;   in Loop: Header=BB14_266 Depth=2
	v_and_b32_e32 v1, 16, v0
	v_cmp_ne_u32_e32 vcc, 0, v1
	v_and_b32_e32 v2, 16, v0
	s_and_b64 vcc, vcc, s[26:27]
	s_and_saveexec_b64 s[26:27], vcc
	s_cbranch_execz .LBB14_342
; %bb.341:                              ;   in Loop: Header=BB14_266 Depth=2
	v_mov_b32_e32 v2, 1
	buffer_wbl2 sc1
	s_waitcnt vmcnt(0) lgkmcnt(0)
	buffer_inv sc1
.LBB14_342:                             ;   in Loop: Header=BB14_266 Depth=2
	s_or_b64 exec, exec, s[26:27]
	s_andn2_saveexec_b64 s[26:27], s[54:55]
	s_cbranch_execz .LBB14_402
	s_branch .LBB14_384
.LBB14_343:                             ;   in Loop: Header=BB14_266 Depth=2
	v_ashrrev_i32_e32 v2, 31, v7
	v_lshrrev_b32_e32 v2, 20, v2
	v_add_u32_e32 v2, v7, v2
	v_ashrrev_i32_e32 v30, 12, v2
	v_sub_u32_e32 v2, v30, v41
	v_cmp_lt_i32_e32 vcc, 0, v2
	s_and_saveexec_b64 s[26:27], vcc
	s_cbranch_execz .LBB14_347
; %bb.344:                              ;   in Loop: Header=BB14_266 Depth=2
	s_trap 2
	ds_read_b128 v[8:11], v0
	ds_read_b64 v[12:13], v0
	v_accvgpr_read_b32 v14, a40
	v_accvgpr_write_b32 a22, v38
	v_accvgpr_write_b32 a12, v54
	v_accvgpr_read_b32 v15, a41
	v_accvgpr_write_b32 a45, v59
	v_accvgpr_write_b32 a44, v58
	;; [unrolled: 1-line block ×5, first 2 shown]
	s_waitcnt lgkmcnt(0)
	v_lshl_add_u64 v[4:5], v[8:9], 0, v[14:15]
	v_lshl_add_u64 v[28:29], v[10:11], 0, v[14:15]
	;; [unrolled: 1-line block ×3, first 2 shown]
	s_mov_b64 s[54:55], 0
.LBB14_345:                             ;   Parent Loop BB14_47 Depth=1
                                        ;     Parent Loop BB14_266 Depth=2
                                        ; =>    This Inner Loop Header: Depth=3
	global_load_dwordx4 v[36:39], v[28:29], off nt
	global_load_dwordx4 v[48:51], v[4:5], off nt
	global_load_dwordx4 v[24:27], v[4:5], off offset:1024 nt
	global_load_dwordx4 v[32:35], v[28:29], off offset:1024 nt
	global_load_dwordx4 v[16:19], v[28:29], off offset:2048 nt
	global_load_dwordx4 v[20:23], v[4:5], off offset:2048 nt
	global_load_dwordx4 v[8:11], v[4:5], off offset:3072 nt
	global_load_dwordx4 v[12:15], v[28:29], off offset:3072 nt
	scratch_load_dwordx2 v[54:55], off, s33 offset:136 ; 8-byte Folded Reload
	v_sub_u32_e32 v2, v2, v52
	v_cmp_gt_i32_e32 vcc, 1, v2
	s_or_b64 s[54:55], vcc, s[54:55]
	s_waitcnt vmcnt(0)
	v_mul_f16_e32 v31, v48, v36
	v_mul_f16_sdwa v36, v48, v36 dst_sel:WORD_1 dst_unused:UNUSED_PAD src0_sel:WORD_1 src1_sel:WORD_1
	v_mul_f16_e32 v48, v49, v37
	v_mul_f16_sdwa v37, v49, v37 dst_sel:WORD_1 dst_unused:UNUSED_PAD src0_sel:WORD_1 src1_sel:WORD_1
	;; [unrolled: 2-line block ×3, first 2 shown]
	v_mul_f16_e32 v50, v51, v39
	v_lshl_add_u64 v[4:5], v[4:5], 0, v[54:55]
	scratch_load_dwordx2 v[54:55], off, s33 offset:136 ; 8-byte Folded Reload
	v_mul_f16_sdwa v39, v51, v39 dst_sel:WORD_1 dst_unused:UNUSED_PAD src0_sel:WORD_1 src1_sel:WORD_1
	v_mul_f16_e32 v51, v24, v32
	v_mul_f16_sdwa v24, v24, v32 dst_sel:WORD_1 dst_unused:UNUSED_PAD src0_sel:WORD_1 src1_sel:WORD_1
	v_mul_f16_e32 v32, v25, v33
	v_mul_f16_sdwa v25, v25, v33 dst_sel:WORD_1 dst_unused:UNUSED_PAD src0_sel:WORD_1 src1_sel:WORD_1
	v_mul_f16_e32 v33, v26, v34
	v_mul_f16_sdwa v26, v26, v34 dst_sel:WORD_1 dst_unused:UNUSED_PAD src0_sel:WORD_1 src1_sel:WORD_1
	v_mul_f16_e32 v34, v27, v35
	v_mul_f16_sdwa v27, v27, v35 dst_sel:WORD_1 dst_unused:UNUSED_PAD src0_sel:WORD_1 src1_sel:WORD_1
	v_mul_f16_e32 v35, v20, v16
	v_mul_f16_sdwa v16, v20, v16 dst_sel:WORD_1 dst_unused:UNUSED_PAD src0_sel:WORD_1 src1_sel:WORD_1
	v_mul_f16_e32 v20, v21, v17
	v_mul_f16_sdwa v17, v21, v17 dst_sel:WORD_1 dst_unused:UNUSED_PAD src0_sel:WORD_1 src1_sel:WORD_1
	v_mul_f16_e32 v21, v22, v18
	v_mul_f16_sdwa v18, v22, v18 dst_sel:WORD_1 dst_unused:UNUSED_PAD src0_sel:WORD_1 src1_sel:WORD_1
	v_mul_f16_e32 v22, v23, v19
	v_mul_f16_sdwa v19, v23, v19 dst_sel:WORD_1 dst_unused:UNUSED_PAD src0_sel:WORD_1 src1_sel:WORD_1
	v_mul_f16_e32 v23, v8, v12
	v_mul_f16_sdwa v40, v9, v13 dst_sel:WORD_1 dst_unused:UNUSED_PAD src0_sel:WORD_1 src1_sel:WORD_1
	v_mul_f16_e32 v41, v10, v14
	v_mul_f16_sdwa v58, v10, v14 dst_sel:WORD_1 dst_unused:UNUSED_PAD src0_sel:WORD_1 src1_sel:WORD_1
	v_mul_f16_e32 v59, v11, v15
	v_mul_f16_sdwa v1, v11, v15 dst_sel:WORD_1 dst_unused:UNUSED_PAD src0_sel:WORD_1 src1_sel:WORD_1
	v_or_b32_e32 v11, v39, v50
	v_or_b32_e32 v10, v38, v49
	;; [unrolled: 1-line block ×9, first 2 shown]
	s_waitcnt vmcnt(0)
	v_lshl_add_u64 v[28:29], v[28:29], 0, v[54:55]
	v_mul_f16_sdwa v54, v8, v12 dst_sel:WORD_1 dst_unused:UNUSED_PAD src0_sel:WORD_1 src1_sel:WORD_1
	v_mul_f16_e32 v55, v9, v13
	v_or_b32_e32 v9, v37, v48
	v_or_b32_e32 v8, v36, v31
	;; [unrolled: 1-line block ×7, first 2 shown]
	global_store_dwordx4 v[44:45], v[8:11], off nt
	global_store_dwordx4 v[44:45], v[12:15], off offset:1024 nt
	global_store_dwordx4 v[44:45], v[16:19], off offset:2048 nt
	;; [unrolled: 1-line block ×3, first 2 shown]
	scratch_load_dwordx2 v[8:9], off, s33 offset:136 ; 8-byte Folded Reload
	s_waitcnt vmcnt(0)
	v_lshl_add_u64 v[44:45], v[44:45], 0, v[8:9]
	s_andn2_b64 exec, exec, s[54:55]
	s_cbranch_execnz .LBB14_345
; %bb.346:                              ;   in Loop: Header=BB14_266 Depth=2
	s_or_b64 exec, exec, s[54:55]
	scratch_load_dwordx2 v[22:23], off, s33 offset:144 ; 8-byte Folded Reload
	v_accvgpr_read_b32 v55, a13
	v_accvgpr_read_b32 v37, a15
	;; [unrolled: 1-line block ×27, first 2 shown]
	v_mov_b32_e32 v17, 1
	v_accvgpr_read_b32 v21, a47
	v_accvgpr_read_b32 v58, a44
	;; [unrolled: 1-line block ×3, first 2 shown]
.LBB14_347:                             ;   in Loop: Header=BB14_266 Depth=2
	s_or_b64 exec, exec, s[26:27]
	v_lshlrev_b32_e32 v12, 12, v30
	s_mov_b64 s[56:57], 0
	v_mov_b32_e32 v4, 0
	v_cmp_ne_u32_e32 vcc, v7, v12
                                        ; implicit-def: $vgpr5
                                        ; implicit-def: $vgpr8
	s_mov_b64 s[54:55], exec
	v_accvgpr_read_b32 v30, a36
	s_and_b64 s[26:27], s[54:55], vcc
	v_accvgpr_read_b32 v31, a37
	s_mov_b64 exec, s[26:27]
	s_cbranch_execz .LBB14_355
; %bb.348:                              ;   in Loop: Header=BB14_266 Depth=2
	v_lshlrev_b32_e32 v2, 6, v2
	v_accvgpr_read_b32 v4, a33
	v_sub_u32_e32 v2, v4, v2
	v_sub_u32_e32 v1, v7, v12
	v_ashrrev_i32_e32 v4, 31, v2
	v_lshrrev_b32_e32 v4, 26, v4
	v_ashrrev_i32_e32 v8, 31, v1
	v_add_u32_e32 v4, v2, v4
	v_lshrrev_b32_e32 v8, 22, v8
	v_ashrrev_i32_e32 v5, 6, v4
	v_and_b32_e32 v4, 0xffffffc0, v4
	v_add_u32_e32 v8, v1, v8
	v_sub_u32_e32 v2, v2, v4
	v_and_b32_e32 v13, 0xfffffc00, v8
	v_lshlrev_b32_e32 v4, 4, v2
	v_sub_u32_e32 v15, v1, v13
	v_lshl_add_u32 v4, v5, 10, v4
	v_ashrrev_i32_e32 v9, 10, v8
	v_cmp_lt_i32_e32 vcc, 15, v15
	v_sub_u32_e32 v16, v1, v4
	s_nop 0
	v_addc_co_u32_e64 v1, s[26:27], 0, v9, vcc
	v_sub_u32_e32 v14, v1, v5
	v_cmp_lt_i32_e64 s[26:27], 15, v16
	s_and_saveexec_b64 s[56:57], s[26:27]
	s_cbranch_execz .LBB14_352
; %bb.349:                              ;   in Loop: Header=BB14_266 Depth=2
	s_trap 2
	ds_read_b128 v[8:11], v0
	ds_read_b64 v[18:19], v0
	v_add_u32_e32 v20, v4, v12
	v_ashrrev_i32_e32 v21, 31, v20
	s_mov_b64 s[58:59], 0
	s_waitcnt lgkmcnt(0)
	v_lshl_add_u64 v[4:5], v[8:9], 0, v[20:21]
	v_lshl_add_u64 v[8:9], v[10:11], 0, v[20:21]
	;; [unrolled: 1-line block ×3, first 2 shown]
.LBB14_350:                             ;   Parent Loop BB14_47 Depth=1
                                        ;     Parent Loop BB14_266 Depth=2
                                        ; =>    This Inner Loop Header: Depth=3
	global_load_dwordx4 v[18:21], v[4:5], off nt
	global_load_dwordx4 v[22:25], v[8:9], off nt
	v_sub_u32_e32 v16, v16, v44
	v_cmp_gt_i32_e64 s[26:27], 16, v16
	v_lshl_add_u64 v[4:5], v[4:5], 0, v[30:31]
	v_lshl_add_u64 v[8:9], v[8:9], 0, v[30:31]
	v_sub_u32_e32 v14, v14, v52
	s_or_b64 s[58:59], s[26:27], s[58:59]
	s_waitcnt vmcnt(0)
	v_mul_f16_e32 v1, v18, v22
	v_mul_f16_sdwa v17, v18, v22 dst_sel:WORD_1 dst_unused:UNUSED_PAD src0_sel:WORD_1 src1_sel:WORD_1
	v_mul_f16_e32 v18, v19, v23
	v_mul_f16_sdwa v19, v19, v23 dst_sel:WORD_1 dst_unused:UNUSED_PAD src0_sel:WORD_1 src1_sel:WORD_1
	v_mul_f16_e32 v22, v20, v24
	v_mul_f16_sdwa v20, v20, v24 dst_sel:WORD_1 dst_unused:UNUSED_PAD src0_sel:WORD_1 src1_sel:WORD_1
	v_mul_f16_e32 v23, v21, v25
	v_mul_f16_sdwa v21, v21, v25 dst_sel:WORD_1 dst_unused:UNUSED_PAD src0_sel:WORD_1 src1_sel:WORD_1
	v_or_b32_e32 v19, v19, v18
	v_or_b32_e32 v18, v17, v1
	;; [unrolled: 1-line block ×4, first 2 shown]
	global_store_dwordx4 v[10:11], v[18:21], off nt
	v_lshl_add_u64 v[10:11], v[10:11], 0, v[30:31]
	s_andn2_b64 exec, exec, s[58:59]
	s_cbranch_execnz .LBB14_350
; %bb.351:                              ;   in Loop: Header=BB14_266 Depth=2
	s_or_b64 exec, exec, s[58:59]
	scratch_load_dwordx2 v[22:23], off, s33 offset:144 ; 8-byte Folded Reload
	v_accvgpr_read_b32 v24, a38
	v_accvgpr_read_b32 v18, a42
	;; [unrolled: 1-line block ×5, first 2 shown]
	v_mov_b32_e32 v17, 1
	v_accvgpr_read_b32 v21, a47
.LBB14_352:                             ;   in Loop: Header=BB14_266 Depth=2
	s_or_b64 exec, exec, s[56:57]
	v_and_b32_e32 v9, 14, v7
	v_cndmask_b32_e32 v7, v15, v9, vcc
	v_cmp_ne_u32_e64 s[26:27], 0, v7
	s_mov_b64 s[56:57], 0
	v_mov_b32_e32 v4, 0
                                        ; implicit-def: $vgpr5
                                        ; implicit-def: $vgpr8
	s_and_saveexec_b64 s[58:59], s[26:27]
	s_cbranch_execz .LBB14_354
; %bb.353:                              ;   in Loop: Header=BB14_266 Depth=2
	v_sub_u32_e32 v1, v15, v9
	v_cndmask_b32_e32 v1, 0, v1, vcc
	v_cmp_lt_i32_e32 vcc, 0, v14
	v_add3_u32 v4, v13, v12, v1
	s_mov_b64 s[56:57], exec
	v_cndmask_b32_e32 v1, 0, v52, vcc
	v_sub_u32_e32 v1, v1, v14
	v_lshl_add_u32 v5, v1, 6, v2
	v_ashrrev_i32_e32 v1, 31, v5
	v_lshrrev_b32_e32 v1, 26, v1
	v_add_u32_e32 v1, v5, v1
	v_ashrrev_i32_e32 v8, 6, v1
.LBB14_354:                             ;   in Loop: Header=BB14_266 Depth=2
	s_or_b64 exec, exec, s[58:59]
	s_and_b64 s[56:57], s[56:57], exec
.LBB14_355:                             ;   in Loop: Header=BB14_266 Depth=2
	s_or_b64 exec, exec, s[54:55]
	s_and_saveexec_b64 s[26:27], s[56:57]
	s_cbranch_execz .LBB14_364
.LBB14_356:                             ;   in Loop: Header=BB14_266 Depth=2
	v_ashrrev_i32_e32 v1, 31, v7
	v_lshrrev_b32_e32 v1, 21, v1
	v_add_u32_e32 v1, v7, v1
	v_ashrrev_i32_e32 v16, 11, v1
	v_sub_u32_e32 v14, v16, v8
	v_ashrrev_i32_e32 v1, 31, v5
	v_cmp_lt_i32_e32 vcc, 0, v14
	v_lshrrev_b32_e32 v15, 26, v1
	s_and_saveexec_b64 s[54:55], vcc
	s_cbranch_execz .LBB14_360
; %bb.357:                              ;   in Loop: Header=BB14_266 Depth=2
	v_add_u32_e32 v1, v5, v15
	s_trap 2
	v_and_b32_e32 v1, 0x7fffffc0, v1
	ds_read_b128 v[10:13], v0
	ds_read_b64 v[18:19], v0
	v_sub_u32_e32 v1, v5, v1
	v_lshlrev_b32_e32 v1, 1, v1
	v_lshlrev_b32_e32 v2, 11, v8
	v_add3_u32 v20, v1, v4, v2
	v_ashrrev_i32_e32 v21, 31, v20
	v_accvgpr_write_b32 a22, v38
	v_accvgpr_write_b32 a12, v54
	s_waitcnt lgkmcnt(0)
	v_lshl_add_u64 v[8:9], v[10:11], 0, v[20:21]
	v_lshl_add_u64 v[10:11], v[12:13], 0, v[20:21]
	;; [unrolled: 1-line block ×3, first 2 shown]
	v_accvgpr_write_b32 a3, v32
	v_accvgpr_write_b32 a23, v39
	;; [unrolled: 1-line block ×3, first 2 shown]
	v_lshl_add_u64 v[12:13], v[12:13], 0, v[20:21]
	s_mov_b64 s[56:57], 0
.LBB14_358:                             ;   Parent Loop BB14_47 Depth=1
                                        ;     Parent Loop BB14_266 Depth=2
                                        ; =>    This Inner Loop Header: Depth=3
	flat_load_ushort v1, v[8:9] nt
	flat_load_ushort v2, v[8:9] offset:128 nt
	flat_load_ushort v17, v[8:9] offset:256 nt
	;; [unrolled: 1-line block ×6, first 2 shown]
	s_waitcnt vmcnt(0)
	flat_load_ushort v22, v[8:9] offset:896 nt
	flat_load_ushort v23, v[8:9] offset:1024 nt
	;; [unrolled: 1-line block ×9, first 2 shown]
	flat_load_ushort v24, v[10:11] nt
	flat_load_ushort v32, v[10:11] offset:128 nt
	flat_load_ushort v33, v[10:11] offset:256 nt
	;; [unrolled: 1-line block ×15, first 2 shown]
	v_sub_u32_e32 v14, v14, v52
	v_lshl_add_u64 v[8:9], v[8:9], 0, v[60:61]
	v_lshl_add_u64 v[10:11], v[10:11], 0, v[60:61]
	s_waitcnt vmcnt(0) lgkmcnt(0)
	v_mul_f16_e32 v1, v1, v24
	v_mul_f16_e32 v32, v2, v32
	;; [unrolled: 1-line block ×11, first 2 shown]
	v_add_co_u32_e32 v26, vcc, s85, v12
	v_mul_f16_e32 v20, v27, v50
	s_nop 0
	v_addc_co_u32_e32 v27, vcc, -1, v13, vcc
	flat_store_short v[26:27], v1 nt
	v_add_co_u32_e32 v26, vcc, s86, v12
	v_mul_f16_e32 v19, v28, v51
	s_nop 0
	v_addc_co_u32_e32 v27, vcc, -1, v13, vcc
	flat_store_short v[26:27], v32 nt
	;; [unrolled: 5-line block ×5, first 2 shown]
	v_add_co_u32_e32 v26, vcc, s90, v12
	s_nop 1
	v_addc_co_u32_e32 v27, vcc, -1, v13, vcc
	flat_store_short v[26:27], v36 nt
	v_add_co_u32_e32 v26, vcc, s91, v12
	s_nop 1
	v_addc_co_u32_e32 v27, vcc, -1, v13, vcc
	flat_store_short v[26:27], v37 nt
	;; [unrolled: 4-line block ×9, first 2 shown]
	v_add_co_u32_e32 v18, vcc, 0xffffff80, v12
	s_nop 1
	v_addc_co_u32_e32 v19, vcc, -1, v13, vcc
	v_cmp_gt_i32_e32 vcc, 1, v14
	flat_store_short v[18:19], v2 nt
	flat_store_short v[12:13], v17 nt
	v_lshl_add_u64 v[12:13], v[12:13], 0, v[60:61]
	s_or_b64 s[56:57], vcc, s[56:57]
	s_andn2_b64 exec, exec, s[56:57]
	s_cbranch_execnz .LBB14_358
; %bb.359:                              ;   in Loop: Header=BB14_266 Depth=2
	s_or_b64 exec, exec, s[56:57]
	scratch_load_dwordx2 v[22:23], off, s33 offset:144 ; 8-byte Folded Reload
	v_accvgpr_read_b32 v55, a13
	v_accvgpr_read_b32 v37, a15
	;; [unrolled: 1-line block ×26, first 2 shown]
	v_mov_b32_e32 v17, 1
	v_accvgpr_read_b32 v21, a47
.LBB14_360:                             ;   in Loop: Header=BB14_266 Depth=2
	s_or_b64 exec, exec, s[54:55]
	v_lshlrev_b32_e32 v2, 11, v16
	v_cmp_ne_u32_e32 vcc, v7, v2
	s_and_b64 exec, exec, vcc
	s_cbranch_execz .LBB14_364
; %bb.361:                              ;   in Loop: Header=BB14_266 Depth=2
	v_add_u32_e32 v1, v5, v15
	v_and_b32_e32 v1, 0xffffffc0, v1
	v_sub_u32_e32 v1, v5, v1
	v_lshlrev_b32_e32 v5, 6, v14
	v_sub_u32_e32 v1, v1, v5
	v_ashrrev_i32_e32 v5, 31, v1
	v_lshrrev_b32_e32 v5, 26, v5
	v_add_u32_e32 v5, v1, v5
	v_and_b32_e32 v8, 0x7fffffc0, v5
	v_sub_u32_e32 v1, v1, v8
	v_lshlrev_b32_e32 v5, 1, v5
	v_and_b32_e32 v5, 0xffffff80, v5
	v_lshlrev_b32_e32 v1, 1, v1
	v_add3_u32 v5, v5, v1, v2
	v_sub_u32_e32 v2, v7, v5
	v_cmp_lt_i32_e32 vcc, 1, v2
	s_and_b64 exec, exec, vcc
	s_cbranch_execz .LBB14_364
; %bb.362:                              ;   in Loop: Header=BB14_266 Depth=2
	s_trap 2
	ds_read_b128 v[8:11], v0
	ds_read_b64 v[12:13], v0
	v_add_u32_e32 v14, v5, v4
	v_ashrrev_i32_e32 v15, 31, v14
	s_mov_b64 s[54:55], 0
	s_waitcnt lgkmcnt(0)
	v_lshl_add_u64 v[4:5], v[8:9], 0, v[14:15]
	v_lshl_add_u64 v[8:9], v[10:11], 0, v[14:15]
	v_lshl_add_u64 v[10:11], v[12:13], 0, v[14:15]
.LBB14_363:                             ;   Parent Loop BB14_47 Depth=1
                                        ;     Parent Loop BB14_266 Depth=2
                                        ; =>    This Inner Loop Header: Depth=3
	flat_load_ushort v1, v[4:5] nt
	flat_load_ushort v7, v[8:9] nt
	v_sub_u32_e32 v2, v2, v45
	v_cmp_gt_i32_e32 vcc, 2, v2
	v_lshl_add_u64 v[4:5], v[4:5], 0, v[24:25]
	v_lshl_add_u64 v[8:9], v[8:9], 0, v[24:25]
	s_or_b64 s[54:55], vcc, s[54:55]
	s_waitcnt vmcnt(0) lgkmcnt(0)
	v_mul_f16_e32 v1, v1, v7
	flat_store_short v[10:11], v1 nt
	v_lshl_add_u64 v[10:11], v[10:11], 0, v[24:25]
	s_andn2_b64 exec, exec, s[54:55]
	s_cbranch_execnz .LBB14_363
.LBB14_364:                             ;   in Loop: Header=BB14_266 Depth=2
	s_or_b64 exec, exec, s[26:27]
	v_cmp_lt_i32_e64 s[26:27], 0, v59
	s_and_saveexec_b64 s[54:55], s[6:7]
	s_cbranch_execz .LBB14_339
.LBB14_365:                             ;   in Loop: Header=BB14_266 Depth=2
	s_and_saveexec_b64 vcc, s[40:41]
	s_xor_b64 s[56:57], exec, vcc
	s_cbranch_execz .LBB14_380
; %bb.366:                              ;   in Loop: Header=BB14_266 Depth=2
	s_and_saveexec_b64 s[58:59], s[14:15]
	s_cbranch_execz .LBB14_379
; %bb.367:                              ;   in Loop: Header=BB14_266 Depth=2
	s_mov_b64 s[62:63], exec
	v_mbcnt_lo_u32_b32 v1, s62, 0
	v_mbcnt_hi_u32_b32 v1, s63, v1
	v_cmp_eq_u32_e32 vcc, 0, v1
	s_waitcnt lgkmcnt(0)
	s_and_saveexec_b64 s[60:61], vcc
	s_cbranch_execz .LBB14_369
; %bb.368:                              ;   in Loop: Header=BB14_266 Depth=2
	s_bcnt1_i32_b64 vcc_lo, s[62:63]
	v_mov_b32_e32 v2, vcc_lo
	ds_add_u64 v0, v[2:3]
	s_trap 2
.LBB14_369:                             ;   in Loop: Header=BB14_266 Depth=2
	s_or_b64 exec, exec, s[60:61]
	s_trap 2
	ds_read_b64 v[4:5], v0
	v_lshl_add_u64 v[38:39], v[38:39], 0, v[52:53]
	s_waitcnt lgkmcnt(0)
	v_cmp_lt_u64_e32 vcc, v[4:5], v[38:39]
	s_and_saveexec_b64 s[60:61], vcc
	s_cbranch_execz .LBB14_378
; %bb.370:                              ;   in Loop: Header=BB14_266 Depth=2
	s_mov_b32 s96, 0
	s_mov_b64 s[62:63], 0
                                        ; implicit-def: $sgpr64_sgpr65
                                        ; implicit-def: $sgpr66_sgpr67
	s_branch .LBB14_372
.LBB14_371:                             ;   in Loop: Header=BB14_372 Depth=3
	s_or_b64 exec, exec, s[70:71]
	s_and_b64 vcc, exec, vcc
	s_or_b64 s[62:63], vcc, s[62:63]
	s_andn2_b64 vcc, s[64:65], exec
	s_and_b64 s[64:65], s[66:67], exec
	s_or_b64 s[64:65], vcc, s[64:65]
	s_andn2_b64 exec, exec, s[62:63]
	s_cbranch_execz .LBB14_376
.LBB14_372:                             ;   Parent Loop BB14_47 Depth=1
                                        ;     Parent Loop BB14_266 Depth=2
                                        ; =>    This Inner Loop Header: Depth=3
	s_add_i32 s96, s96, 1
	s_cmpk_lg_i32 s96, 0x2710
	s_cselect_b64 s[68:69], -1, 0
	s_and_b64 vcc, exec, s[68:69]
                                        ; implicit-def: $sgpr70_sgpr71
	s_cbranch_vccnz .LBB14_374
; %bb.373:                              ;   in Loop: Header=BB14_372 Depth=3
	s_trap 2
	ds_read_b64 v[4:5], v0
	s_andn2_b64 s[68:69], s[68:69], exec
	s_mov_b32 s96, 0
	s_mov_b64 s[70:71], -1
	s_waitcnt vmcnt(0) lgkmcnt(0)
	flat_load_dword v1, v[4:5] sc0 sc1
	s_waitcnt vmcnt(0) lgkmcnt(0)
	buffer_inv sc0 sc1
	v_cmp_eq_u32_e32 vcc, 0, v1
	s_and_b64 vcc, vcc, exec
	s_or_b64 s[68:69], s[68:69], vcc
.LBB14_374:                             ;   in Loop: Header=BB14_372 Depth=3
	s_andn2_b64 s[66:67], s[66:67], exec
	s_and_b64 s[70:71], s[70:71], exec
	s_mov_b64 vcc, -1
	s_or_b64 s[66:67], s[66:67], s[70:71]
	s_and_saveexec_b64 s[70:71], s[68:69]
	s_cbranch_execz .LBB14_371
; %bb.375:                              ;   in Loop: Header=BB14_372 Depth=3
	s_sleep 1
	s_trap 2
	ds_read_b64 v[4:5], v0
	s_andn2_b64 s[66:67], s[66:67], exec
	s_waitcnt lgkmcnt(0)
	v_cmp_ge_u64_e32 vcc, v[4:5], v[38:39]
	s_orn2_b64 vcc, vcc, exec
	s_branch .LBB14_371
.LBB14_376:                             ;   in Loop: Header=BB14_266 Depth=2
	s_or_b64 exec, exec, s[62:63]
	s_and_saveexec_b64 vcc, s[64:65]
	s_xor_b64 vcc, exec, vcc
	s_cbranch_execz .LBB14_378
; %bb.377:                              ;   in Loop: Header=BB14_266 Depth=2
	ds_write_b32 v0, v17
	s_trap 2
.LBB14_378:                             ;   in Loop: Header=BB14_266 Depth=2
	s_or_b64 exec, exec, s[60:61]
	;;#ASMSTART
	s_wakeup
	;;#ASMEND
.LBB14_379:                             ;   in Loop: Header=BB14_266 Depth=2
	s_or_b64 exec, exec, s[58:59]
.LBB14_380:                             ;   in Loop: Header=BB14_266 Depth=2
	s_andn2_saveexec_b64 vcc, s[56:57]
	s_cbranch_execz .LBB14_382
; %bb.381:                              ;   in Loop: Header=BB14_266 Depth=2
	s_waitcnt lgkmcnt(0)
	s_barrier
.LBB14_382:                             ;   in Loop: Header=BB14_266 Depth=2
	s_or_b64 exec, exec, vcc
	s_or_b64 exec, exec, s[54:55]
                                        ; implicit-def: $vgpr2
	s_and_saveexec_b64 vcc, s[22:23]
	s_xor_b64 s[54:55], exec, vcc
	s_cbranch_execnz .LBB14_340
.LBB14_383:                             ;   in Loop: Header=BB14_266 Depth=2
	s_andn2_saveexec_b64 s[26:27], s[54:55]
	s_cbranch_execz .LBB14_402
.LBB14_384:                             ;   in Loop: Header=BB14_266 Depth=2
	s_and_saveexec_b64 vcc, s[40:41]
	s_xor_b64 s[54:55], exec, vcc
	s_cbranch_execz .LBB14_399
; %bb.385:                              ;   in Loop: Header=BB14_266 Depth=2
	s_and_saveexec_b64 s[56:57], s[14:15]
	s_cbranch_execz .LBB14_398
; %bb.386:                              ;   in Loop: Header=BB14_266 Depth=2
	s_mov_b64 s[60:61], exec
	v_mbcnt_lo_u32_b32 v1, s60, 0
	v_mbcnt_hi_u32_b32 v1, s61, v1
	v_cmp_eq_u32_e32 vcc, 0, v1
	;;#ASMSTART
	s_waitcnt lgkmcnt(0) vmcnt(0)
	;;#ASMEND
	s_and_saveexec_b64 s[58:59], vcc
	s_cbranch_execz .LBB14_388
; %bb.387:                              ;   in Loop: Header=BB14_266 Depth=2
	s_bcnt1_i32_b64 vcc_lo, s[60:61]
	v_mov_b32_e32 v2, vcc_lo
	ds_add_u64 v0, v[2:3]
	s_trap 2
.LBB14_388:                             ;   in Loop: Header=BB14_266 Depth=2
	s_or_b64 exec, exec, s[58:59]
	s_trap 2
	ds_read_b64 v[4:5], v0
	v_lshl_add_u64 v[38:39], v[38:39], 0, v[52:53]
	s_waitcnt lgkmcnt(0)
	v_cmp_lt_u64_e32 vcc, v[4:5], v[38:39]
	s_and_saveexec_b64 s[58:59], vcc
	s_cbranch_execz .LBB14_397
; %bb.389:                              ;   in Loop: Header=BB14_266 Depth=2
	s_mov_b32 s70, 0
	s_mov_b64 s[60:61], 0
                                        ; implicit-def: $sgpr62_sgpr63
                                        ; implicit-def: $sgpr64_sgpr65
	s_branch .LBB14_391
.LBB14_390:                             ;   in Loop: Header=BB14_391 Depth=3
	s_or_b64 exec, exec, s[68:69]
	s_and_b64 vcc, exec, vcc
	s_or_b64 s[60:61], vcc, s[60:61]
	s_andn2_b64 vcc, s[62:63], exec
	s_and_b64 s[62:63], s[64:65], exec
	s_or_b64 s[62:63], vcc, s[62:63]
	s_andn2_b64 exec, exec, s[60:61]
	s_cbranch_execz .LBB14_395
.LBB14_391:                             ;   Parent Loop BB14_47 Depth=1
                                        ;     Parent Loop BB14_266 Depth=2
                                        ; =>    This Inner Loop Header: Depth=3
	s_add_i32 s70, s70, 1
	s_cmpk_lg_i32 s70, 0x2710
	s_cselect_b64 s[66:67], -1, 0
	s_and_b64 vcc, exec, s[66:67]
                                        ; implicit-def: $sgpr68_sgpr69
	s_cbranch_vccnz .LBB14_393
; %bb.392:                              ;   in Loop: Header=BB14_391 Depth=3
	s_trap 2
	ds_read_b64 v[4:5], v0
	s_andn2_b64 s[66:67], s[66:67], exec
	s_mov_b32 s70, 0
	s_mov_b64 s[68:69], -1
	s_waitcnt vmcnt(0) lgkmcnt(0)
	flat_load_dword v1, v[4:5] sc0 sc1
	s_waitcnt vmcnt(0) lgkmcnt(0)
	buffer_inv sc0 sc1
	v_cmp_eq_u32_e32 vcc, 0, v1
	s_and_b64 vcc, vcc, exec
	s_or_b64 s[66:67], s[66:67], vcc
.LBB14_393:                             ;   in Loop: Header=BB14_391 Depth=3
	s_andn2_b64 s[64:65], s[64:65], exec
	s_and_b64 s[68:69], s[68:69], exec
	s_mov_b64 vcc, -1
	s_or_b64 s[64:65], s[64:65], s[68:69]
	s_and_saveexec_b64 s[68:69], s[66:67]
	s_cbranch_execz .LBB14_390
; %bb.394:                              ;   in Loop: Header=BB14_391 Depth=3
	s_sleep 1
	s_trap 2
	ds_read_b64 v[4:5], v0
	s_andn2_b64 s[64:65], s[64:65], exec
	s_waitcnt lgkmcnt(0)
	v_cmp_ge_u64_e32 vcc, v[4:5], v[38:39]
	s_orn2_b64 vcc, vcc, exec
	s_branch .LBB14_390
.LBB14_395:                             ;   in Loop: Header=BB14_266 Depth=2
	s_or_b64 exec, exec, s[60:61]
	s_and_saveexec_b64 vcc, s[62:63]
	s_xor_b64 vcc, exec, vcc
	s_cbranch_execz .LBB14_397
; %bb.396:                              ;   in Loop: Header=BB14_266 Depth=2
	ds_write_b32 v0, v17
	s_trap 2
.LBB14_397:                             ;   in Loop: Header=BB14_266 Depth=2
	s_or_b64 exec, exec, s[58:59]
	;;#ASMSTART
	s_wakeup
	;;#ASMEND
.LBB14_398:                             ;   in Loop: Header=BB14_266 Depth=2
	s_or_b64 exec, exec, s[56:57]
.LBB14_399:                             ;   in Loop: Header=BB14_266 Depth=2
	s_andn2_saveexec_b64 vcc, s[54:55]
	s_cbranch_execz .LBB14_401
; %bb.400:                              ;   in Loop: Header=BB14_266 Depth=2
	;;#ASMSTART
	s_waitcnt lgkmcnt(0) vmcnt(0)
	;;#ASMEND
	s_barrier
.LBB14_401:                             ;   in Loop: Header=BB14_266 Depth=2
	s_or_b64 exec, exec, vcc
	v_and_b32_e32 v2, 16, v0
.LBB14_402:                             ;   in Loop: Header=BB14_266 Depth=2
	s_or_b64 exec, exec, s[26:27]
	v_cmp_ne_u32_e32 vcc, 0, v2
	s_xor_b64 s[26:27], s[10:11], -1
	s_and_b64 vcc, vcc, s[26:27]
	s_and_saveexec_b64 s[26:27], vcc
	s_cbranch_execz .LBB14_404
; %bb.403:                              ;   in Loop: Header=BB14_266 Depth=2
	flat_store_dword v[50:51], v17 sc0 sc1
.LBB14_404:                             ;   in Loop: Header=BB14_266 Depth=2
	s_or_b64 exec, exec, s[26:27]
	v_and_b32_e32 v1, 48, v0
	v_cmp_ne_u32_e32 vcc, 0, v1
	s_and_saveexec_b64 s[26:27], vcc
	s_cbranch_execz .LBB14_406
; %bb.405:                              ;   in Loop: Header=BB14_266 Depth=2
	v_lshl_add_u64 v[54:55], v[54:55], 0, 4
	flat_store_dwordx2 v[42:43], v[54:55] sc0 sc1
.LBB14_406:                             ;   in Loop: Header=BB14_266 Depth=2
	s_or_b64 exec, exec, s[26:27]
	v_mov_b32_e32 v7, v6
.LBB14_407:                             ;   in Loop: Header=BB14_266 Depth=2
	s_or_b64 exec, exec, s[30:31]
	s_and_saveexec_b64 s[30:31], s[28:29]
	s_cbranch_execz .LBB14_265
; %bb.408:                              ;   in Loop: Header=BB14_266 Depth=2
	v_and_b32_e32 v1, 12, v0
	v_cmp_ne_u32_e32 vcc, 0, v1
	s_mov_b64 s[28:29], -1
	s_and_saveexec_b64 s[26:27], vcc
	s_cbranch_execz .LBB14_420
; %bb.409:                              ;   in Loop: Header=BB14_266 Depth=2
	v_and_b32_e32 v2, 8, v0
	v_lshl_add_u64 v[8:9], v[56:57], 0, v[2:3]
	v_lshl_add_u64 v[4:5], v[54:55], 0, 4
	v_cmp_lt_u64_e32 vcc, v[8:9], v[4:5]
	v_mov_b32_e32 v8, 1
	s_and_saveexec_b64 s[28:29], vcc
	s_cbranch_execz .LBB14_419
; %bb.410:                              ;   in Loop: Header=BB14_266 Depth=2
	s_mov_b64 s[54:55], 0
	v_mov_b32_e32 v8, 0
                                        ; implicit-def: $sgpr56_sgpr57
	s_branch .LBB14_414
.LBB14_411:                             ;   in Loop: Header=BB14_414 Depth=3
	s_or_b64 exec, exec, s[64:65]
	v_mov_b32_e32 v9, 0
	s_orn2_b64 s[62:63], s[62:63], exec
.LBB14_412:                             ;   in Loop: Header=BB14_414 Depth=3
	s_or_b64 exec, exec, s[60:61]
	s_andn2_b64 vcc, s[56:57], exec
	s_and_b64 s[56:57], s[62:63], exec
	s_or_b64 s[56:57], vcc, s[56:57]
	v_mov_b32_e32 v8, v9
.LBB14_413:                             ;   in Loop: Header=BB14_414 Depth=3
	s_or_b64 exec, exec, s[58:59]
	s_waitcnt vmcnt(0) lgkmcnt(0)
	v_lshl_add_u64 v[10:11], v[56:57], 0, v[2:3]
	v_cmp_ge_u64_e32 vcc, v[10:11], v[4:5]
	s_xor_b64 s[58:59], s[56:57], -1
	s_or_b64 vcc, s[58:59], vcc
	s_and_b64 vcc, exec, vcc
	s_or_b64 s[54:55], vcc, s[54:55]
	s_andn2_b64 exec, exec, s[54:55]
	s_cbranch_execz .LBB14_418
.LBB14_414:                             ;   Parent Loop BB14_47 Depth=1
                                        ;     Parent Loop BB14_266 Depth=2
                                        ; =>    This Inner Loop Header: Depth=3
	s_sleep 1
	flat_load_dwordx2 v[56:57], v[42:43] sc0 sc1
	v_and_b32_e32 v1, 64, v0
	v_cmp_eq_u32_e32 vcc, 0, v1
	s_andn2_b64 s[56:57], s[56:57], exec
	s_and_saveexec_b64 s[58:59], vcc
	s_cbranch_execz .LBB14_413
; %bb.415:                              ;   in Loop: Header=BB14_414 Depth=3
	v_add_u32_e32 v9, 1, v8
	v_cmp_lt_i32_e32 vcc, s83, v8
	s_mov_b64 s[62:63], -1
	s_and_saveexec_b64 s[60:61], vcc
	s_cbranch_execz .LBB14_412
; %bb.416:                              ;   in Loop: Header=BB14_414 Depth=3
	s_trap 2
	ds_read_b64 v[8:9], v0
	s_waitcnt vmcnt(0) lgkmcnt(0)
	flat_load_dword v8, v[8:9] sc0 sc1
	s_waitcnt vmcnt(0) lgkmcnt(0)
	buffer_inv sc0 sc1
	v_cmp_ne_u32_e32 vcc, 0, v8
	s_and_saveexec_b64 s[64:65], vcc
	s_cbranch_execz .LBB14_411
; %bb.417:                              ;   in Loop: Header=BB14_414 Depth=3
	v_or_b32_e32 v0, 64, v0
	s_xor_b64 s[62:63], exec, -1
	ds_write_b32 v0, v8
	s_trap 2
	s_branch .LBB14_411
.LBB14_418:                             ;   in Loop: Header=BB14_266 Depth=2
	s_or_b64 exec, exec, s[54:55]
	v_and_b32_e32 v8, 12, v0
.LBB14_419:                             ;   in Loop: Header=BB14_266 Depth=2
	s_or_b64 exec, exec, s[28:29]
	v_cmp_eq_u32_e32 vcc, 0, v8
	s_orn2_b64 s[28:29], vcc, exec
	;;#ASMSTART
	s_wakeup
	;;#ASMEND
.LBB14_420:                             ;   in Loop: Header=BB14_266 Depth=2
	s_or_b64 exec, exec, s[26:27]
	v_sub_u32_e32 v1, v58, v7
	s_xor_b64 s[26:27], s[28:29], -1
	v_min_i32_e32 v6, v6, v1
	s_and_saveexec_b64 s[28:29], s[26:27]
	s_cbranch_execz .LBB14_444
; %bb.421:                              ;   in Loop: Header=BB14_266 Depth=2
	v_and_b32_e32 v1, 0x108, v0
	v_cmp_ne_u32_e32 vcc, s84, v1
	v_and_b32_e32 v2, 7, v54
	s_and_saveexec_b64 s[26:27], vcc
	s_xor_b64 s[26:27], exec, s[26:27]
	s_andn2_saveexec_b64 s[26:27], s[26:27]
	s_cbranch_execz .LBB14_423
; %bb.422:                              ;   in Loop: Header=BB14_266 Depth=2
	v_ashrrev_i32_e32 v7, 31, v6
	v_mad_u64_u32 v[4:5], vcc, v2, 24, v[36:37]
	v_lshlrev_b64 v[8:9], 1, v[6:7]
	flat_store_dwordx2 v[4:5], v[8:9] offset:8
.LBB14_423:                             ;   in Loop: Header=BB14_266 Depth=2
	s_or_b64 exec, exec, s[26:27]
	v_and_b32_e32 v1, 0x100, v0
	v_cmp_ne_u32_e32 vcc, 0, v1
	s_mov_b64 s[26:27], -1
                                        ; implicit-def: $vgpr4_vgpr5
	s_and_saveexec_b64 s[54:55], vcc
	s_cbranch_execz .LBB14_427
; %bb.424:                              ;   in Loop: Header=BB14_266 Depth=2
	v_mad_u64_u32 v[8:9], s[26:27], v2, 24, v[36:37]
	v_mov_b32_e32 v4, v9
	v_mad_u64_u32 v[4:5], s[26:27], v3, 24, v[4:5]
	v_mov_b32_e32 v9, v4
	flat_load_dword v1, v[8:9]
                                        ; implicit-def: $vgpr4_vgpr5
	s_waitcnt vmcnt(0) lgkmcnt(0)
	v_cmp_ne_u32_e32 vcc, 1, v1
	v_cmp_eq_u32_e64 s[26:27], 1, v1
	s_and_saveexec_b64 s[56:57], s[26:27]
	s_cbranch_execz .LBB14_426
; %bb.425:                              ;   in Loop: Header=BB14_266 Depth=2
	flat_load_dword v4, v[8:9] offset:4 sc0 sc1
	s_waitcnt vmcnt(0) lgkmcnt(0)
	v_ashrrev_i32_e32 v5, 31, v4
	v_lshrrev_b64 v[4:5], 1, v[4:5]
.LBB14_426:                             ;   in Loop: Header=BB14_266 Depth=2
	s_or_b64 exec, exec, s[56:57]
	s_orn2_b64 s[26:27], vcc, exec
.LBB14_427:                             ;   in Loop: Header=BB14_266 Depth=2
	s_or_b64 exec, exec, s[54:55]
	s_and_saveexec_b64 vcc, s[26:27]
; %bb.428:                              ;   in Loop: Header=BB14_266 Depth=2
	v_mul_lo_u32 v1, v3, v40
	v_mul_lo_u32 v7, v2, v33
	v_mad_u64_u32 v[4:5], s[26:27], v2, v40, 0
	v_add3_u32 v5, v5, v7, v1
; %bb.429:                              ;   in Loop: Header=BB14_266 Depth=2
	s_or_b64 exec, exec, vcc
	v_and_b32_e32 v1, 0x2000, v0
	v_lshl_add_u64 v[4:5], v[4:5], 1, v[48:49]
	v_cmp_ne_u32_e32 vcc, 0, v1
	s_trap 2
	ds_write_b64 v0, v[4:5]
	s_and_saveexec_b64 s[26:27], vcc
	s_cbranch_execz .LBB14_431
; %bb.430:                              ;   in Loop: Header=BB14_266 Depth=2
	ds_read_b64 v[4:5], v0 offset:584
	s_waitcnt lgkmcnt(0)
	v_lshl_add_u64 v[4:5], v[4:5], 0, 1
	ds_write_b64 v0, v[4:5] offset:584
.LBB14_431:                             ;   in Loop: Header=BB14_266 Depth=2
	s_or_b64 exec, exec, s[26:27]
	v_lshl_add_u64 v[54:55], v[54:55], 0, 4
	s_or_b64 exec, exec, s[28:29]
	s_and_saveexec_b64 s[26:27], s[6:7]
	s_cbranch_execnz .LBB14_445
.LBB14_432:                             ;   in Loop: Header=BB14_266 Depth=2
	s_or_b64 exec, exec, s[26:27]
                                        ; implicit-def: $vgpr1
	s_and_saveexec_b64 s[26:27], s[50:51]
	s_xor_b64 s[26:27], exec, s[26:27]
	s_cbranch_execz .LBB14_470
.LBB14_433:                             ;   in Loop: Header=BB14_266 Depth=2
	s_and_saveexec_b64 s[28:29], s[40:41]
	s_xor_b64 s[28:29], exec, s[28:29]
	s_cbranch_execz .LBB14_460
; %bb.434:                              ;   in Loop: Header=BB14_266 Depth=2
	s_and_saveexec_b64 s[54:55], s[14:15]
	s_cbranch_execz .LBB14_459
; %bb.435:                              ;   in Loop: Header=BB14_266 Depth=2
	s_mov_b64 s[58:59], exec
	v_mbcnt_lo_u32_b32 v1, s58, 0
	v_mbcnt_hi_u32_b32 v1, s59, v1
	v_cmp_eq_u32_e32 vcc, 0, v1
	;;#ASMSTART
	s_waitcnt lgkmcnt(0) vmcnt(0)
	;;#ASMEND
	s_and_saveexec_b64 s[56:57], vcc
	s_cbranch_execz .LBB14_437
; %bb.436:                              ;   in Loop: Header=BB14_266 Depth=2
	s_bcnt1_i32_b64 vcc_lo, s[58:59]
	v_mov_b32_e32 v2, vcc_lo
	ds_add_u64 v0, v[2:3]
	s_trap 2
.LBB14_437:                             ;   in Loop: Header=BB14_266 Depth=2
	s_or_b64 exec, exec, s[56:57]
	s_trap 2
	ds_read_b64 v[4:5], v0
	v_lshl_add_u64 v[38:39], v[38:39], 0, v[52:53]
	s_waitcnt lgkmcnt(0)
	v_cmp_lt_u64_e32 vcc, v[4:5], v[38:39]
	s_and_saveexec_b64 s[56:57], vcc
	s_cbranch_execz .LBB14_458
; %bb.438:                              ;   in Loop: Header=BB14_266 Depth=2
	s_mov_b32 s68, 0
	s_mov_b64 s[58:59], 0
                                        ; implicit-def: $sgpr60_sgpr61
                                        ; implicit-def: $sgpr62_sgpr63
	s_branch .LBB14_440
.LBB14_439:                             ;   in Loop: Header=BB14_440 Depth=3
	s_or_b64 exec, exec, s[66:67]
	s_and_b64 vcc, exec, vcc
	s_or_b64 s[58:59], vcc, s[58:59]
	s_andn2_b64 vcc, s[60:61], exec
	s_and_b64 s[60:61], s[62:63], exec
	s_or_b64 s[60:61], vcc, s[60:61]
	s_andn2_b64 exec, exec, s[58:59]
	s_cbranch_execz .LBB14_456
.LBB14_440:                             ;   Parent Loop BB14_47 Depth=1
                                        ;     Parent Loop BB14_266 Depth=2
                                        ; =>    This Inner Loop Header: Depth=3
	s_add_i32 s68, s68, 1
	s_cmpk_lg_i32 s68, 0x2710
	s_cselect_b64 s[64:65], -1, 0
	s_and_b64 vcc, exec, s[64:65]
                                        ; implicit-def: $sgpr66_sgpr67
	s_cbranch_vccnz .LBB14_442
; %bb.441:                              ;   in Loop: Header=BB14_440 Depth=3
	s_trap 2
	ds_read_b64 v[4:5], v0
	s_andn2_b64 s[64:65], s[64:65], exec
	s_mov_b32 s68, 0
	s_mov_b64 s[66:67], -1
	s_waitcnt vmcnt(0) lgkmcnt(0)
	flat_load_dword v1, v[4:5] sc0 sc1
	s_waitcnt vmcnt(0) lgkmcnt(0)
	buffer_inv sc0 sc1
	v_cmp_eq_u32_e32 vcc, 0, v1
	s_and_b64 vcc, vcc, exec
	s_or_b64 s[64:65], s[64:65], vcc
.LBB14_442:                             ;   in Loop: Header=BB14_440 Depth=3
	s_andn2_b64 s[62:63], s[62:63], exec
	s_and_b64 s[66:67], s[66:67], exec
	s_mov_b64 vcc, -1
	s_or_b64 s[62:63], s[62:63], s[66:67]
	s_and_saveexec_b64 s[66:67], s[64:65]
	s_cbranch_execz .LBB14_439
; %bb.443:                              ;   in Loop: Header=BB14_440 Depth=3
	s_sleep 1
	s_trap 2
	ds_read_b64 v[4:5], v0
	s_andn2_b64 s[62:63], s[62:63], exec
	s_waitcnt lgkmcnt(0)
	v_cmp_ge_u64_e32 vcc, v[4:5], v[38:39]
	s_orn2_b64 vcc, vcc, exec
	s_branch .LBB14_439
.LBB14_444:                             ;   in Loop: Header=BB14_266 Depth=2
	s_or_b64 exec, exec, s[28:29]
	s_and_saveexec_b64 s[26:27], s[6:7]
	s_cbranch_execz .LBB14_432
.LBB14_445:                             ;   in Loop: Header=BB14_266 Depth=2
	s_and_saveexec_b64 s[28:29], s[40:41]
	s_xor_b64 s[28:29], exec, s[28:29]
	s_cbranch_execz .LBB14_467
; %bb.446:                              ;   in Loop: Header=BB14_266 Depth=2
	s_and_saveexec_b64 s[54:55], s[14:15]
	s_cbranch_execz .LBB14_466
; %bb.447:                              ;   in Loop: Header=BB14_266 Depth=2
	s_mov_b64 s[58:59], exec
	v_mbcnt_lo_u32_b32 v1, s58, 0
	v_mbcnt_hi_u32_b32 v1, s59, v1
	v_cmp_eq_u32_e32 vcc, 0, v1
	s_waitcnt lgkmcnt(0)
	s_and_saveexec_b64 s[56:57], vcc
	s_cbranch_execz .LBB14_449
; %bb.448:                              ;   in Loop: Header=BB14_266 Depth=2
	s_bcnt1_i32_b64 vcc_lo, s[58:59]
	v_mov_b32_e32 v2, vcc_lo
	ds_add_u64 v0, v[2:3]
	s_trap 2
.LBB14_449:                             ;   in Loop: Header=BB14_266 Depth=2
	s_or_b64 exec, exec, s[56:57]
	s_trap 2
	ds_read_b64 v[4:5], v0
	v_lshl_add_u64 v[38:39], v[38:39], 0, v[52:53]
	s_waitcnt lgkmcnt(0)
	v_cmp_lt_u64_e32 vcc, v[4:5], v[38:39]
	s_and_saveexec_b64 s[56:57], vcc
	s_cbranch_execz .LBB14_465
; %bb.450:                              ;   in Loop: Header=BB14_266 Depth=2
	s_mov_b32 s68, 0
	s_mov_b64 s[58:59], 0
                                        ; implicit-def: $sgpr60_sgpr61
                                        ; implicit-def: $sgpr62_sgpr63
	s_branch .LBB14_452
.LBB14_451:                             ;   in Loop: Header=BB14_452 Depth=3
	s_or_b64 exec, exec, s[66:67]
	s_and_b64 vcc, exec, vcc
	s_or_b64 s[58:59], vcc, s[58:59]
	s_andn2_b64 vcc, s[60:61], exec
	s_and_b64 s[60:61], s[62:63], exec
	s_or_b64 s[60:61], vcc, s[60:61]
	s_andn2_b64 exec, exec, s[58:59]
	s_cbranch_execz .LBB14_463
.LBB14_452:                             ;   Parent Loop BB14_47 Depth=1
                                        ;     Parent Loop BB14_266 Depth=2
                                        ; =>    This Inner Loop Header: Depth=3
	s_add_i32 s68, s68, 1
	s_cmpk_lg_i32 s68, 0x2710
	s_cselect_b64 s[64:65], -1, 0
	s_and_b64 vcc, exec, s[64:65]
                                        ; implicit-def: $sgpr66_sgpr67
	s_cbranch_vccnz .LBB14_454
; %bb.453:                              ;   in Loop: Header=BB14_452 Depth=3
	s_trap 2
	ds_read_b64 v[4:5], v0
	s_andn2_b64 s[64:65], s[64:65], exec
	s_mov_b32 s68, 0
	s_mov_b64 s[66:67], -1
	s_waitcnt vmcnt(0) lgkmcnt(0)
	flat_load_dword v1, v[4:5] sc0 sc1
	s_waitcnt vmcnt(0) lgkmcnt(0)
	buffer_inv sc0 sc1
	v_cmp_eq_u32_e32 vcc, 0, v1
	s_and_b64 vcc, vcc, exec
	s_or_b64 s[64:65], s[64:65], vcc
.LBB14_454:                             ;   in Loop: Header=BB14_452 Depth=3
	s_andn2_b64 s[62:63], s[62:63], exec
	s_and_b64 s[66:67], s[66:67], exec
	s_mov_b64 vcc, -1
	s_or_b64 s[62:63], s[62:63], s[66:67]
	s_and_saveexec_b64 s[66:67], s[64:65]
	s_cbranch_execz .LBB14_451
; %bb.455:                              ;   in Loop: Header=BB14_452 Depth=3
	s_sleep 1
	s_trap 2
	ds_read_b64 v[4:5], v0
	s_andn2_b64 s[62:63], s[62:63], exec
	s_waitcnt lgkmcnt(0)
	v_cmp_ge_u64_e32 vcc, v[4:5], v[38:39]
	s_orn2_b64 vcc, vcc, exec
	s_branch .LBB14_451
.LBB14_456:                             ;   in Loop: Header=BB14_266 Depth=2
	s_or_b64 exec, exec, s[58:59]
	s_and_saveexec_b64 vcc, s[60:61]
	s_xor_b64 vcc, exec, vcc
	s_cbranch_execz .LBB14_458
; %bb.457:                              ;   in Loop: Header=BB14_266 Depth=2
	ds_write_b32 v0, v17
	s_trap 2
.LBB14_458:                             ;   in Loop: Header=BB14_266 Depth=2
	s_or_b64 exec, exec, s[56:57]
	;;#ASMSTART
	s_wakeup
	;;#ASMEND
.LBB14_459:                             ;   in Loop: Header=BB14_266 Depth=2
	s_or_b64 exec, exec, s[54:55]
.LBB14_460:                             ;   in Loop: Header=BB14_266 Depth=2
	s_andn2_saveexec_b64 s[28:29], s[28:29]
	s_cbranch_execz .LBB14_462
; %bb.461:                              ;   in Loop: Header=BB14_266 Depth=2
	;;#ASMSTART
	s_waitcnt lgkmcnt(0) vmcnt(0)
	;;#ASMEND
	s_barrier
.LBB14_462:                             ;   in Loop: Header=BB14_266 Depth=2
	s_or_b64 exec, exec, s[28:29]
	v_and_b32_e32 v1, 16, v0
                                        ; implicit-def: $vgpr6
	s_andn2_saveexec_b64 s[26:27], s[26:27]
	s_cbranch_execz .LBB14_474
	s_branch .LBB14_471
.LBB14_463:                             ;   in Loop: Header=BB14_266 Depth=2
	s_or_b64 exec, exec, s[58:59]
	s_and_saveexec_b64 vcc, s[60:61]
	s_xor_b64 vcc, exec, vcc
	s_cbranch_execz .LBB14_465
; %bb.464:                              ;   in Loop: Header=BB14_266 Depth=2
	ds_write_b32 v0, v17
	s_trap 2
.LBB14_465:                             ;   in Loop: Header=BB14_266 Depth=2
	s_or_b64 exec, exec, s[56:57]
	;;#ASMSTART
	s_wakeup
	;;#ASMEND
.LBB14_466:                             ;   in Loop: Header=BB14_266 Depth=2
	s_or_b64 exec, exec, s[54:55]
.LBB14_467:                             ;   in Loop: Header=BB14_266 Depth=2
	s_andn2_saveexec_b64 s[28:29], s[28:29]
	s_cbranch_execz .LBB14_469
; %bb.468:                              ;   in Loop: Header=BB14_266 Depth=2
	s_waitcnt lgkmcnt(0)
	s_barrier
.LBB14_469:                             ;   in Loop: Header=BB14_266 Depth=2
	s_or_b64 exec, exec, s[28:29]
	s_or_b64 exec, exec, s[26:27]
                                        ; implicit-def: $vgpr1
	s_and_saveexec_b64 s[26:27], s[50:51]
	s_xor_b64 s[26:27], exec, s[26:27]
	s_cbranch_execnz .LBB14_433
.LBB14_470:                             ;   in Loop: Header=BB14_266 Depth=2
	s_andn2_saveexec_b64 s[26:27], s[26:27]
	s_cbranch_execz .LBB14_474
.LBB14_471:                             ;   in Loop: Header=BB14_266 Depth=2
	s_trap 2
	ds_read_b32 v2, v0
	v_cmp_lt_i32_e32 vcc, 0, v6
	v_and_b32_e32 v4, 16, v0
	v_and_b32_e32 v1, 16, v0
	s_waitcnt lgkmcnt(0)
	v_readfirstlane_b32 s28, v2
	s_cmp_eq_u32 s28, 0
	s_cselect_b64 s[28:29], -1, 0
	s_and_b64 s[28:29], vcc, s[28:29]
	v_cmp_ne_u32_e32 vcc, 0, v4
	s_and_b64 vcc, vcc, s[28:29]
	s_and_saveexec_b64 s[28:29], vcc
	s_cbranch_execz .LBB14_473
; %bb.472:                              ;   in Loop: Header=BB14_266 Depth=2
	v_mov_b32_e32 v1, 1
	buffer_wbl2 sc1
	s_waitcnt vmcnt(0)
	buffer_inv sc1
.LBB14_473:                             ;   in Loop: Header=BB14_266 Depth=2
	s_or_b64 exec, exec, s[28:29]
.LBB14_474:                             ;   in Loop: Header=BB14_266 Depth=2
	s_or_b64 exec, exec, s[26:27]
	v_cmp_ne_u32_e32 vcc, 0, v1
	s_xor_b64 s[26:27], s[10:11], -1
	s_and_b64 s[28:29], vcc, s[26:27]
	s_and_saveexec_b64 s[26:27], s[28:29]
	s_cbranch_execz .LBB14_476
; %bb.475:                              ;   in Loop: Header=BB14_266 Depth=2
	flat_store_dword v[50:51], v17 sc0 sc1
.LBB14_476:                             ;   in Loop: Header=BB14_266 Depth=2
	s_or_b64 exec, exec, s[26:27]
	v_and_b32_e32 v1, 48, v0
	v_cmp_ne_u32_e32 vcc, 0, v1
	s_and_saveexec_b64 s[26:27], vcc
	s_cbranch_execz .LBB14_264
; %bb.477:                              ;   in Loop: Header=BB14_266 Depth=2
	v_lshl_add_u64 v[54:55], v[54:55], 0, 4
	flat_store_dwordx2 v[42:43], v[54:55] sc0 sc1
	s_branch .LBB14_264
.LBB14_478:                             ;   in Loop: Header=BB14_47 Depth=1
	v_mul_lo_u32 v1, v47, s72
	v_mul_lo_u32 v2, v46, s73
	v_mad_u64_u32 v[4:5], s[26:27], v46, s72, 0
	v_add3_u32 v5, v5, v2, v1
	v_sub_co_u32_e32 v6, vcc, v20, v4
	s_nop 1
	v_subb_co_u32_e32 v7, vcc, v21, v5, vcc
	v_cmp_lt_i64_e32 vcc, v[46:47], v[6:7]
	s_nop 1
	v_cndmask_b32_e32 v1, v6, v46, vcc
	v_max_i32_e32 v59, 0, v1
	v_add_u32_e32 v2, 15, v59
	v_ashrrev_i32_e32 v6, 31, v2
	v_lshrrev_b32_e32 v6, 28, v6
	v_add_u32_e32 v2, v2, v6
	v_cmp_gt_i32_e32 vcc, 1, v1
	v_and_b32_e32 v2, -16, v2
	s_or_b64 s[54:55], s[2:3], vcc
	v_max_i32_e32 v10, s79, v2
	s_xor_b64 s[26:27], s[54:55], -1
	v_mov_b32_e32 v1, 0
	s_and_saveexec_b64 s[56:57], s[26:27]
	s_cbranch_execz .LBB14_484
; %bb.479:                              ;   in Loop: Header=BB14_47 Depth=1
	s_and_saveexec_b64 s[26:27], s[0:1]
	s_cbranch_execz .LBB14_481
; %bb.480:                              ;   in Loop: Header=BB14_47 Depth=1
	v_mov_b32_e32 v2, v10
	v_accvgpr_read_b32 v10, a48
	s_trap 2
	ds_read2_b64 v[6:9], v0 offset1:1
	v_accvgpr_read_b32 v11, a49
	v_lshl_add_u64 v[4:5], v[4:5], 0, v[10:11]
	ds_read_b64 v[10:11], v0
	v_lshlrev_b64 v[4:5], 1, v[4:5]
	s_waitcnt lgkmcnt(0)
	v_lshl_add_u64 v[6:7], v[6:7], 0, v[4:5]
	ds_write_b64 v0, v[6:7]
	v_lshl_add_u64 v[6:7], v[8:9], 0, v[4:5]
	v_lshl_add_u64 v[4:5], v[10:11], 0, v[4:5]
	v_cmp_ne_u64_e32 vcc, 0, v[10:11]
	v_mov_b32_e32 v10, v2
	ds_write_b64 v0, v[6:7]
	v_cndmask_b32_e32 v5, 0, v5, vcc
	v_cndmask_b32_e32 v4, 0, v4, vcc
	ds_write_b64 v0, v[4:5]
.LBB14_481:                             ;   in Loop: Header=BB14_47 Depth=1
	s_or_b64 exec, exec, s[26:27]
	v_and_b32_e32 v1, 12, v0
	v_cmp_ne_u32_e32 vcc, 0, v1
	s_mov_b64 s[28:29], -1
	s_and_saveexec_b64 s[26:27], vcc
	s_cbranch_execz .LBB14_504
; %bb.482:                              ;   in Loop: Header=BB14_47 Depth=1
	v_and_b32_e32 v2, 8, v0
	v_lshl_add_u64 v[6:7], v[56:57], 0, v[2:3]
	v_lshl_add_u64 v[4:5], v[54:55], 0, 4
	v_cmp_lt_u64_e32 vcc, v[6:7], v[4:5]
	v_mov_b32_e32 v1, 1
	s_and_saveexec_b64 s[28:29], vcc
	s_cbranch_execz .LBB14_503
; %bb.483:                              ;   in Loop: Header=BB14_47 Depth=1
	s_mov_b64 s[30:31], 0
	v_mov_b32_e32 v1, 0
                                        ; implicit-def: $sgpr58_sgpr59
	s_branch .LBB14_491
.LBB14_484:                             ;   in Loop: Header=BB14_47 Depth=1
	s_or_b64 exec, exec, s[56:57]
	s_and_saveexec_b64 s[28:29], s[54:55]
	s_cbranch_execz .LBB14_726
.LBB14_485:                             ;   in Loop: Header=BB14_47 Depth=1
	v_and_b32_e32 v2, 12, v0
	v_cmp_ne_u32_e32 vcc, 0, v2
	s_mov_b64 s[30:31], -1
	s_and_saveexec_b64 s[26:27], vcc
	s_cbranch_execz .LBB14_530
; %bb.486:                              ;   in Loop: Header=BB14_47 Depth=1
	v_and_b32_e32 v2, 8, v0
	v_lshl_add_u64 v[6:7], v[56:57], 0, v[2:3]
	v_lshl_add_u64 v[4:5], v[54:55], 0, 4
	v_cmp_lt_u64_e32 vcc, v[6:7], v[4:5]
	v_mov_b32_e32 v6, 1
	s_and_saveexec_b64 s[30:31], vcc
	s_cbranch_execz .LBB14_529
; %bb.487:                              ;   in Loop: Header=BB14_47 Depth=1
	s_mov_b64 s[54:55], 0
	v_mov_b32_e32 v6, 0
                                        ; implicit-def: $sgpr56_sgpr57
	s_branch .LBB14_498
.LBB14_488:                             ;   in Loop: Header=BB14_491 Depth=2
	s_or_b64 exec, exec, s[66:67]
	v_mov_b32_e32 v6, 0
	s_orn2_b64 s[64:65], s[64:65], exec
.LBB14_489:                             ;   in Loop: Header=BB14_491 Depth=2
	s_or_b64 exec, exec, s[62:63]
	s_andn2_b64 vcc, s[58:59], exec
	s_and_b64 s[58:59], s[64:65], exec
	s_or_b64 s[58:59], vcc, s[58:59]
	v_mov_b32_e32 v1, v6
.LBB14_490:                             ;   in Loop: Header=BB14_491 Depth=2
	s_or_b64 exec, exec, s[60:61]
	s_waitcnt vmcnt(0) lgkmcnt(0)
	v_lshl_add_u64 v[6:7], v[56:57], 0, v[2:3]
	v_cmp_ge_u64_e32 vcc, v[6:7], v[4:5]
	s_xor_b64 s[60:61], s[58:59], -1
	s_or_b64 vcc, s[60:61], vcc
	s_and_b64 vcc, exec, vcc
	s_or_b64 s[30:31], vcc, s[30:31]
	s_andn2_b64 exec, exec, s[30:31]
	s_cbranch_execz .LBB14_502
.LBB14_491:                             ;   Parent Loop BB14_47 Depth=1
                                        ; =>  This Inner Loop Header: Depth=2
	s_sleep 1
	flat_load_dwordx2 v[56:57], v[42:43] sc0 sc1
	v_and_b32_e32 v6, 64, v0
	v_cmp_eq_u32_e32 vcc, 0, v6
	s_andn2_b64 s[58:59], s[58:59], exec
	s_and_saveexec_b64 s[60:61], vcc
	s_cbranch_execz .LBB14_490
; %bb.492:                              ;   in Loop: Header=BB14_491 Depth=2
	v_add_u32_e32 v6, 1, v1
	v_cmp_lt_i32_e32 vcc, s83, v1
	s_mov_b64 s[64:65], -1
	s_and_saveexec_b64 s[62:63], vcc
	s_cbranch_execz .LBB14_489
; %bb.493:                              ;   in Loop: Header=BB14_491 Depth=2
	s_trap 2
	ds_read_b64 v[6:7], v0
	s_waitcnt vmcnt(0) lgkmcnt(0)
	flat_load_dword v1, v[6:7] sc0 sc1
	s_waitcnt vmcnt(0) lgkmcnt(0)
	buffer_inv sc0 sc1
	v_cmp_ne_u32_e32 vcc, 0, v1
	s_and_saveexec_b64 s[66:67], vcc
	s_cbranch_execz .LBB14_488
; %bb.494:                              ;   in Loop: Header=BB14_491 Depth=2
	v_or_b32_e32 v0, 64, v0
	s_xor_b64 s[64:65], exec, -1
	ds_write_b32 v0, v1
	s_trap 2
	s_branch .LBB14_488
.LBB14_495:                             ;   in Loop: Header=BB14_498 Depth=2
	s_or_b64 exec, exec, s[64:65]
	v_mov_b32_e32 v7, 0
	s_orn2_b64 s[62:63], s[62:63], exec
.LBB14_496:                             ;   in Loop: Header=BB14_498 Depth=2
	s_or_b64 exec, exec, s[60:61]
	s_andn2_b64 vcc, s[56:57], exec
	s_and_b64 s[56:57], s[62:63], exec
	s_or_b64 s[56:57], vcc, s[56:57]
	v_mov_b32_e32 v6, v7
.LBB14_497:                             ;   in Loop: Header=BB14_498 Depth=2
	s_or_b64 exec, exec, s[58:59]
	s_waitcnt vmcnt(0) lgkmcnt(0)
	v_lshl_add_u64 v[8:9], v[56:57], 0, v[2:3]
	v_cmp_ge_u64_e32 vcc, v[8:9], v[4:5]
	s_xor_b64 s[58:59], s[56:57], -1
	s_or_b64 vcc, s[58:59], vcc
	s_and_b64 vcc, exec, vcc
	s_or_b64 s[54:55], vcc, s[54:55]
	s_andn2_b64 exec, exec, s[54:55]
	s_cbranch_execz .LBB14_528
.LBB14_498:                             ;   Parent Loop BB14_47 Depth=1
                                        ; =>  This Inner Loop Header: Depth=2
	s_sleep 1
	flat_load_dwordx2 v[56:57], v[42:43] sc0 sc1
	v_and_b32_e32 v7, 64, v0
	v_cmp_eq_u32_e32 vcc, 0, v7
	s_andn2_b64 s[56:57], s[56:57], exec
	s_and_saveexec_b64 s[58:59], vcc
	s_cbranch_execz .LBB14_497
; %bb.499:                              ;   in Loop: Header=BB14_498 Depth=2
	v_add_u32_e32 v7, 1, v6
	v_cmp_lt_i32_e32 vcc, s83, v6
	s_mov_b64 s[62:63], -1
	s_and_saveexec_b64 s[60:61], vcc
	s_cbranch_execz .LBB14_496
; %bb.500:                              ;   in Loop: Header=BB14_498 Depth=2
	s_trap 2
	ds_read_b64 v[6:7], v0
	s_waitcnt vmcnt(0) lgkmcnt(0)
	flat_load_dword v6, v[6:7] sc0 sc1
	s_waitcnt vmcnt(0) lgkmcnt(0)
	buffer_inv sc0 sc1
	v_cmp_ne_u32_e32 vcc, 0, v6
	s_and_saveexec_b64 s[64:65], vcc
	s_cbranch_execz .LBB14_495
; %bb.501:                              ;   in Loop: Header=BB14_498 Depth=2
	v_or_b32_e32 v0, 64, v0
	s_xor_b64 s[62:63], exec, -1
	ds_write_b32 v0, v6
	s_trap 2
	s_branch .LBB14_495
.LBB14_502:                             ;   in Loop: Header=BB14_47 Depth=1
	s_or_b64 exec, exec, s[30:31]
	v_and_b32_e32 v1, 12, v0
.LBB14_503:                             ;   in Loop: Header=BB14_47 Depth=1
	s_or_b64 exec, exec, s[28:29]
	v_cmp_eq_u32_e32 vcc, 0, v1
	s_orn2_b64 s[28:29], vcc, exec
	;;#ASMSTART
	s_wakeup
	;;#ASMEND
.LBB14_504:                             ;   in Loop: Header=BB14_47 Depth=1
	s_or_b64 exec, exec, s[26:27]
	s_xor_b64 s[26:27], s[28:29], -1
	v_min_i32_e32 v10, v10, v59
	s_and_saveexec_b64 s[28:29], s[26:27]
	s_cbranch_execz .LBB14_516
; %bb.505:                              ;   in Loop: Header=BB14_47 Depth=1
	v_and_b32_e32 v1, 0x108, v0
	v_cmp_ne_u32_e32 vcc, s84, v1
	v_and_b32_e32 v2, 7, v54
	s_and_saveexec_b64 s[26:27], vcc
	s_xor_b64 s[26:27], exec, s[26:27]
	s_andn2_saveexec_b64 s[26:27], s[26:27]
	s_cbranch_execz .LBB14_507
; %bb.506:                              ;   in Loop: Header=BB14_47 Depth=1
	v_ashrrev_i32_e32 v11, 31, v10
	v_mad_u64_u32 v[4:5], vcc, v2, 24, v[36:37]
	v_lshlrev_b64 v[6:7], 1, v[10:11]
	flat_store_dwordx2 v[4:5], v[6:7] offset:8
.LBB14_507:                             ;   in Loop: Header=BB14_47 Depth=1
	s_or_b64 exec, exec, s[26:27]
	v_and_b32_e32 v1, 0x100, v0
	v_cmp_ne_u32_e32 vcc, 0, v1
	s_mov_b64 s[26:27], -1
                                        ; implicit-def: $vgpr4_vgpr5
	s_and_saveexec_b64 s[30:31], vcc
	s_cbranch_execz .LBB14_511
; %bb.508:                              ;   in Loop: Header=BB14_47 Depth=1
	v_mad_u64_u32 v[6:7], s[26:27], v2, 24, v[36:37]
	v_mov_b32_e32 v4, v7
	v_mad_u64_u32 v[4:5], s[26:27], v3, 24, v[4:5]
	v_mov_b32_e32 v7, v4
	flat_load_dword v1, v[6:7]
                                        ; implicit-def: $vgpr4_vgpr5
	s_waitcnt vmcnt(0) lgkmcnt(0)
	v_cmp_ne_u32_e32 vcc, 1, v1
	v_cmp_eq_u32_e64 s[26:27], 1, v1
	s_and_saveexec_b64 s[58:59], s[26:27]
	s_cbranch_execz .LBB14_510
; %bb.509:                              ;   in Loop: Header=BB14_47 Depth=1
	flat_load_dword v4, v[6:7] offset:4 sc0 sc1
	s_waitcnt vmcnt(0) lgkmcnt(0)
	v_ashrrev_i32_e32 v5, 31, v4
	v_lshrrev_b64 v[4:5], 1, v[4:5]
.LBB14_510:                             ;   in Loop: Header=BB14_47 Depth=1
	s_or_b64 exec, exec, s[58:59]
	s_orn2_b64 s[26:27], vcc, exec
.LBB14_511:                             ;   in Loop: Header=BB14_47 Depth=1
	s_or_b64 exec, exec, s[30:31]
	s_and_saveexec_b64 vcc, s[26:27]
; %bb.512:                              ;   in Loop: Header=BB14_47 Depth=1
	v_mul_lo_u32 v1, v3, v40
	v_mul_lo_u32 v6, v2, v33
	v_mad_u64_u32 v[4:5], s[26:27], v2, v40, 0
	v_add3_u32 v5, v5, v6, v1
; %bb.513:                              ;   in Loop: Header=BB14_47 Depth=1
	s_or_b64 exec, exec, vcc
	v_and_b32_e32 v1, 0x2000, v0
	v_lshl_add_u64 v[4:5], v[4:5], 1, v[48:49]
	v_cmp_ne_u32_e32 vcc, 0, v1
	s_trap 2
	ds_write_b64 v0, v[4:5]
	s_and_saveexec_b64 s[26:27], vcc
	s_cbranch_execz .LBB14_515
; %bb.514:                              ;   in Loop: Header=BB14_47 Depth=1
	ds_read_b64 v[4:5], v0 offset:584
	s_waitcnt lgkmcnt(0)
	v_lshl_add_u64 v[4:5], v[4:5], 0, 1
	ds_write_b64 v0, v[4:5] offset:584
.LBB14_515:                             ;   in Loop: Header=BB14_47 Depth=1
	s_or_b64 exec, exec, s[26:27]
	v_lshl_add_u64 v[54:55], v[54:55], 0, 4
.LBB14_516:                             ;   in Loop: Header=BB14_47 Depth=1
	s_or_b64 exec, exec, s[28:29]
	s_and_saveexec_b64 s[26:27], s[6:7]
	s_cbranch_execz .LBB14_565
; %bb.517:                              ;   in Loop: Header=BB14_47 Depth=1
	s_and_saveexec_b64 s[28:29], s[40:41]
	s_xor_b64 s[28:29], exec, s[28:29]
	s_cbranch_execz .LBB14_562
; %bb.518:                              ;   in Loop: Header=BB14_47 Depth=1
	s_and_saveexec_b64 s[30:31], s[14:15]
	s_cbranch_execz .LBB14_561
; %bb.519:                              ;   in Loop: Header=BB14_47 Depth=1
	s_mov_b64 s[60:61], exec
	v_mbcnt_lo_u32_b32 v1, s60, 0
	v_mbcnt_hi_u32_b32 v1, s61, v1
	v_cmp_eq_u32_e32 vcc, 0, v1
	s_waitcnt lgkmcnt(0)
	s_and_saveexec_b64 s[58:59], vcc
	s_cbranch_execz .LBB14_521
; %bb.520:                              ;   in Loop: Header=BB14_47 Depth=1
	s_bcnt1_i32_b64 vcc_lo, s[60:61]
	v_mov_b32_e32 v2, vcc_lo
	ds_add_u64 v0, v[2:3]
	s_trap 2
.LBB14_521:                             ;   in Loop: Header=BB14_47 Depth=1
	s_or_b64 exec, exec, s[58:59]
	s_trap 2
	ds_read_b64 v[4:5], v0
	v_lshl_add_u64 v[38:39], v[38:39], 0, v[52:53]
	s_waitcnt lgkmcnt(0)
	v_cmp_lt_u64_e32 vcc, v[4:5], v[38:39]
	s_and_saveexec_b64 s[58:59], vcc
	s_cbranch_execz .LBB14_560
; %bb.522:                              ;   in Loop: Header=BB14_47 Depth=1
	s_mov_b32 s70, 0
	s_mov_b64 s[60:61], 0
                                        ; implicit-def: $sgpr62_sgpr63
                                        ; implicit-def: $sgpr64_sgpr65
	s_branch .LBB14_524
.LBB14_523:                             ;   in Loop: Header=BB14_524 Depth=2
	s_or_b64 exec, exec, s[68:69]
	s_and_b64 vcc, exec, vcc
	s_or_b64 s[60:61], vcc, s[60:61]
	s_andn2_b64 vcc, s[62:63], exec
	s_and_b64 s[62:63], s[64:65], exec
	s_or_b64 s[62:63], vcc, s[62:63]
	s_andn2_b64 exec, exec, s[60:61]
	s_cbranch_execz .LBB14_558
.LBB14_524:                             ;   Parent Loop BB14_47 Depth=1
                                        ; =>  This Inner Loop Header: Depth=2
	s_add_i32 s70, s70, 1
	s_cmpk_lg_i32 s70, 0x2710
	s_cselect_b64 s[66:67], -1, 0
	s_and_b64 vcc, exec, s[66:67]
                                        ; implicit-def: $sgpr68_sgpr69
	s_cbranch_vccnz .LBB14_526
; %bb.525:                              ;   in Loop: Header=BB14_524 Depth=2
	s_trap 2
	ds_read_b64 v[4:5], v0
	s_andn2_b64 s[66:67], s[66:67], exec
	s_mov_b32 s70, 0
	s_mov_b64 s[68:69], -1
	s_waitcnt vmcnt(0) lgkmcnt(0)
	flat_load_dword v1, v[4:5] sc0 sc1
	s_waitcnt vmcnt(0) lgkmcnt(0)
	buffer_inv sc0 sc1
	v_cmp_eq_u32_e32 vcc, 0, v1
	s_and_b64 vcc, vcc, exec
	s_or_b64 s[66:67], s[66:67], vcc
.LBB14_526:                             ;   in Loop: Header=BB14_524 Depth=2
	s_andn2_b64 s[64:65], s[64:65], exec
	s_and_b64 s[68:69], s[68:69], exec
	s_mov_b64 vcc, -1
	s_or_b64 s[64:65], s[64:65], s[68:69]
	s_and_saveexec_b64 s[68:69], s[66:67]
	s_cbranch_execz .LBB14_523
; %bb.527:                              ;   in Loop: Header=BB14_524 Depth=2
	s_sleep 1
	s_trap 2
	ds_read_b64 v[4:5], v0
	s_andn2_b64 s[64:65], s[64:65], exec
	s_waitcnt lgkmcnt(0)
	v_cmp_ge_u64_e32 vcc, v[4:5], v[38:39]
	s_orn2_b64 vcc, vcc, exec
	s_branch .LBB14_523
.LBB14_528:                             ;   in Loop: Header=BB14_47 Depth=1
	s_or_b64 exec, exec, s[54:55]
	v_and_b32_e32 v6, 12, v0
.LBB14_529:                             ;   in Loop: Header=BB14_47 Depth=1
	s_or_b64 exec, exec, s[30:31]
	v_cmp_eq_u32_e32 vcc, 0, v6
	s_orn2_b64 s[30:31], vcc, exec
	;;#ASMSTART
	s_wakeup
	;;#ASMEND
.LBB14_530:                             ;   in Loop: Header=BB14_47 Depth=1
	s_or_b64 exec, exec, s[26:27]
	v_sub_u32_e32 v1, v59, v1
	s_xor_b64 s[26:27], s[30:31], -1
	v_min_i32_e32 v6, v10, v1
	s_and_saveexec_b64 s[30:31], s[26:27]
	s_cbranch_execz .LBB14_546
; %bb.531:                              ;   in Loop: Header=BB14_47 Depth=1
	v_and_b32_e32 v1, 0x108, v0
	v_cmp_ne_u32_e32 vcc, s84, v1
	v_and_b32_e32 v2, 7, v54
	s_and_saveexec_b64 s[26:27], vcc
	s_xor_b64 s[26:27], exec, s[26:27]
	s_andn2_saveexec_b64 s[26:27], s[26:27]
	s_cbranch_execz .LBB14_533
; %bb.532:                              ;   in Loop: Header=BB14_47 Depth=1
	v_ashrrev_i32_e32 v7, 31, v6
	v_mad_u64_u32 v[4:5], vcc, v2, 24, v[36:37]
	v_lshlrev_b64 v[8:9], 1, v[6:7]
	flat_store_dwordx2 v[4:5], v[8:9] offset:8
.LBB14_533:                             ;   in Loop: Header=BB14_47 Depth=1
	s_or_b64 exec, exec, s[26:27]
	v_and_b32_e32 v1, 0x100, v0
	v_cmp_ne_u32_e32 vcc, 0, v1
	s_mov_b64 s[26:27], -1
                                        ; implicit-def: $vgpr4_vgpr5
	s_and_saveexec_b64 s[54:55], vcc
	s_cbranch_execz .LBB14_537
; %bb.534:                              ;   in Loop: Header=BB14_47 Depth=1
	v_mad_u64_u32 v[8:9], s[26:27], v2, 24, v[36:37]
	v_mov_b32_e32 v4, v9
	v_mad_u64_u32 v[4:5], s[26:27], v3, 24, v[4:5]
	v_mov_b32_e32 v9, v4
	flat_load_dword v1, v[8:9]
                                        ; implicit-def: $vgpr4_vgpr5
	s_waitcnt vmcnt(0) lgkmcnt(0)
	v_cmp_ne_u32_e32 vcc, 1, v1
	v_cmp_eq_u32_e64 s[26:27], 1, v1
	s_and_saveexec_b64 s[56:57], s[26:27]
	s_cbranch_execz .LBB14_536
; %bb.535:                              ;   in Loop: Header=BB14_47 Depth=1
	flat_load_dword v4, v[8:9] offset:4 sc0 sc1
	s_waitcnt vmcnt(0) lgkmcnt(0)
	v_ashrrev_i32_e32 v5, 31, v4
	v_lshrrev_b64 v[4:5], 1, v[4:5]
.LBB14_536:                             ;   in Loop: Header=BB14_47 Depth=1
	s_or_b64 exec, exec, s[56:57]
	s_orn2_b64 s[26:27], vcc, exec
.LBB14_537:                             ;   in Loop: Header=BB14_47 Depth=1
	s_or_b64 exec, exec, s[54:55]
	s_and_saveexec_b64 vcc, s[26:27]
; %bb.538:                              ;   in Loop: Header=BB14_47 Depth=1
	v_mul_lo_u32 v1, v3, v40
	v_mul_lo_u32 v7, v2, v33
	v_mad_u64_u32 v[4:5], s[26:27], v2, v40, 0
	v_add3_u32 v5, v5, v7, v1
; %bb.539:                              ;   in Loop: Header=BB14_47 Depth=1
	s_or_b64 exec, exec, vcc
	v_and_b32_e32 v1, 0x2000, v0
	v_lshl_add_u64 v[4:5], v[4:5], 1, v[48:49]
	v_cmp_ne_u32_e32 vcc, 0, v1
	s_trap 2
	ds_write_b64 v0, v[4:5]
	s_and_saveexec_b64 s[26:27], vcc
	s_cbranch_execz .LBB14_541
; %bb.540:                              ;   in Loop: Header=BB14_47 Depth=1
	ds_read_b64 v[4:5], v0 offset:584
	s_waitcnt lgkmcnt(0)
	v_lshl_add_u64 v[4:5], v[4:5], 0, 1
	ds_write_b64 v0, v[4:5] offset:584
.LBB14_541:                             ;   in Loop: Header=BB14_47 Depth=1
	s_or_b64 exec, exec, s[26:27]
	v_lshl_add_u64 v[54:55], v[54:55], 0, 4
	s_or_b64 exec, exec, s[30:31]
	s_and_saveexec_b64 s[26:27], s[6:7]
	s_cbranch_execnz .LBB14_547
.LBB14_542:                             ;   in Loop: Header=BB14_47 Depth=1
	s_or_b64 exec, exec, s[26:27]
                                        ; implicit-def: $vgpr1
	s_and_saveexec_b64 s[26:27], s[22:23]
	s_xor_b64 s[26:27], exec, s[26:27]
	s_cbranch_execz .LBB14_584
.LBB14_543:                             ;   in Loop: Header=BB14_47 Depth=1
	s_trap 2
	ds_read_b32 v2, v0
	v_cmp_lt_i32_e32 vcc, 0, v6
	v_and_b32_e32 v4, 16, v0
	v_and_b32_e32 v1, 16, v0
	s_waitcnt lgkmcnt(0)
	v_readfirstlane_b32 s30, v2
	s_cmp_eq_u32 s30, 0
	s_cselect_b64 s[30:31], -1, 0
	s_and_b64 s[30:31], vcc, s[30:31]
	v_cmp_ne_u32_e32 vcc, 0, v4
	s_and_b64 s[30:31], vcc, s[30:31]
	s_and_saveexec_b64 vcc, s[30:31]
	s_cbranch_execz .LBB14_545
; %bb.544:                              ;   in Loop: Header=BB14_47 Depth=1
	v_mov_b32_e32 v1, 1
	buffer_wbl2 sc1
	s_waitcnt vmcnt(0)
	buffer_inv sc1
.LBB14_545:                             ;   in Loop: Header=BB14_47 Depth=1
	s_or_b64 exec, exec, vcc
	s_andn2_saveexec_b64 s[26:27], s[26:27]
	s_cbranch_execz .LBB14_690
	s_branch .LBB14_585
.LBB14_546:                             ;   in Loop: Header=BB14_47 Depth=1
	s_or_b64 exec, exec, s[30:31]
	s_and_saveexec_b64 s[26:27], s[6:7]
	s_cbranch_execz .LBB14_542
.LBB14_547:                             ;   in Loop: Header=BB14_47 Depth=1
	s_and_saveexec_b64 vcc, s[40:41]
	s_xor_b64 s[30:31], exec, vcc
	s_cbranch_execz .LBB14_581
; %bb.548:                              ;   in Loop: Header=BB14_47 Depth=1
	s_and_saveexec_b64 s[54:55], s[14:15]
	s_cbranch_execz .LBB14_580
; %bb.549:                              ;   in Loop: Header=BB14_47 Depth=1
	s_mov_b64 s[58:59], exec
	v_mbcnt_lo_u32_b32 v1, s58, 0
	v_mbcnt_hi_u32_b32 v1, s59, v1
	v_cmp_eq_u32_e32 vcc, 0, v1
	s_waitcnt lgkmcnt(0)
	s_and_saveexec_b64 s[56:57], vcc
	s_cbranch_execz .LBB14_551
; %bb.550:                              ;   in Loop: Header=BB14_47 Depth=1
	s_bcnt1_i32_b64 vcc_lo, s[58:59]
	v_mov_b32_e32 v2, vcc_lo
	ds_add_u64 v0, v[2:3]
	s_trap 2
.LBB14_551:                             ;   in Loop: Header=BB14_47 Depth=1
	s_or_b64 exec, exec, s[56:57]
	s_trap 2
	ds_read_b64 v[4:5], v0
	v_lshl_add_u64 v[38:39], v[38:39], 0, v[52:53]
	s_waitcnt lgkmcnt(0)
	v_cmp_lt_u64_e32 vcc, v[4:5], v[38:39]
	s_and_saveexec_b64 s[56:57], vcc
	s_cbranch_execz .LBB14_579
; %bb.552:                              ;   in Loop: Header=BB14_47 Depth=1
	s_mov_b32 s68, 0
	s_mov_b64 s[58:59], 0
                                        ; implicit-def: $sgpr60_sgpr61
                                        ; implicit-def: $sgpr62_sgpr63
	s_branch .LBB14_554
.LBB14_553:                             ;   in Loop: Header=BB14_554 Depth=2
	s_or_b64 exec, exec, s[66:67]
	s_and_b64 vcc, exec, vcc
	s_or_b64 s[58:59], vcc, s[58:59]
	s_andn2_b64 vcc, s[60:61], exec
	s_and_b64 s[60:61], s[62:63], exec
	s_or_b64 s[60:61], vcc, s[60:61]
	s_andn2_b64 exec, exec, s[58:59]
	s_cbranch_execz .LBB14_577
.LBB14_554:                             ;   Parent Loop BB14_47 Depth=1
                                        ; =>  This Inner Loop Header: Depth=2
	s_add_i32 s68, s68, 1
	s_cmpk_lg_i32 s68, 0x2710
	s_cselect_b64 s[64:65], -1, 0
	s_and_b64 vcc, exec, s[64:65]
                                        ; implicit-def: $sgpr66_sgpr67
	s_cbranch_vccnz .LBB14_556
; %bb.555:                              ;   in Loop: Header=BB14_554 Depth=2
	s_trap 2
	ds_read_b64 v[4:5], v0
	s_andn2_b64 s[64:65], s[64:65], exec
	s_mov_b32 s68, 0
	s_mov_b64 s[66:67], -1
	s_waitcnt vmcnt(0) lgkmcnt(0)
	flat_load_dword v1, v[4:5] sc0 sc1
	s_waitcnt vmcnt(0) lgkmcnt(0)
	buffer_inv sc0 sc1
	v_cmp_eq_u32_e32 vcc, 0, v1
	s_and_b64 vcc, vcc, exec
	s_or_b64 s[64:65], s[64:65], vcc
.LBB14_556:                             ;   in Loop: Header=BB14_554 Depth=2
	s_andn2_b64 s[62:63], s[62:63], exec
	s_and_b64 s[66:67], s[66:67], exec
	s_mov_b64 vcc, -1
	s_or_b64 s[62:63], s[62:63], s[66:67]
	s_and_saveexec_b64 s[66:67], s[64:65]
	s_cbranch_execz .LBB14_553
; %bb.557:                              ;   in Loop: Header=BB14_554 Depth=2
	s_sleep 1
	s_trap 2
	ds_read_b64 v[4:5], v0
	s_andn2_b64 s[62:63], s[62:63], exec
	s_waitcnt lgkmcnt(0)
	v_cmp_ge_u64_e32 vcc, v[4:5], v[38:39]
	s_orn2_b64 vcc, vcc, exec
	s_branch .LBB14_553
.LBB14_558:                             ;   in Loop: Header=BB14_47 Depth=1
	s_or_b64 exec, exec, s[60:61]
	s_and_saveexec_b64 vcc, s[62:63]
	s_xor_b64 vcc, exec, vcc
	s_cbranch_execz .LBB14_560
; %bb.559:                              ;   in Loop: Header=BB14_47 Depth=1
	ds_write_b32 v0, v17
	s_trap 2
.LBB14_560:                             ;   in Loop: Header=BB14_47 Depth=1
	s_or_b64 exec, exec, s[58:59]
	;;#ASMSTART
	s_wakeup
	;;#ASMEND
.LBB14_561:                             ;   in Loop: Header=BB14_47 Depth=1
	s_or_b64 exec, exec, s[30:31]
.LBB14_562:                             ;   in Loop: Header=BB14_47 Depth=1
	s_andn2_saveexec_b64 s[28:29], s[28:29]
	s_cbranch_execz .LBB14_564
; %bb.563:                              ;   in Loop: Header=BB14_47 Depth=1
	s_waitcnt lgkmcnt(0)
	s_barrier
.LBB14_564:                             ;   in Loop: Header=BB14_47 Depth=1
	s_or_b64 exec, exec, s[28:29]
.LBB14_565:                             ;   in Loop: Header=BB14_47 Depth=1
	s_or_b64 exec, exec, s[26:27]
	s_trap 2
	ds_read_b32 v1, v0
	v_and_b32_e32 v2, 0x4000, v0
	v_cmp_ne_u32_e32 vcc, 0, v2
	s_xor_b64 s[26:27], s[4:5], -1
	s_and_b64 s[28:29], s[26:27], vcc
	s_and_saveexec_b64 s[26:27], s[28:29]
	s_cbranch_execz .LBB14_603
; %bb.566:                              ;   in Loop: Header=BB14_47 Depth=1
	s_and_saveexec_b64 s[28:29], s[40:41]
	s_xor_b64 s[28:29], exec, s[28:29]
	s_cbranch_execz .LBB14_600
; %bb.567:                              ;   in Loop: Header=BB14_47 Depth=1
	s_and_saveexec_b64 s[30:31], s[14:15]
	s_cbranch_execz .LBB14_599
; %bb.568:                              ;   in Loop: Header=BB14_47 Depth=1
	s_mov_b64 s[60:61], exec
	v_mbcnt_lo_u32_b32 v2, s60, 0
	v_mbcnt_hi_u32_b32 v2, s61, v2
	v_cmp_eq_u32_e32 vcc, 0, v2
	s_waitcnt lgkmcnt(0)
	s_and_saveexec_b64 s[58:59], vcc
	s_cbranch_execz .LBB14_570
; %bb.569:                              ;   in Loop: Header=BB14_47 Depth=1
	s_bcnt1_i32_b64 vcc_lo, s[60:61]
	v_mov_b32_e32 v2, vcc_lo
	ds_add_u64 v0, v[2:3]
	s_trap 2
.LBB14_570:                             ;   in Loop: Header=BB14_47 Depth=1
	s_or_b64 exec, exec, s[58:59]
	s_trap 2
	ds_read_b64 v[4:5], v0
	v_lshl_add_u64 v[38:39], v[38:39], 0, v[52:53]
	s_waitcnt lgkmcnt(0)
	v_cmp_lt_u64_e32 vcc, v[4:5], v[38:39]
	s_and_saveexec_b64 s[58:59], vcc
	s_cbranch_execz .LBB14_598
; %bb.571:                              ;   in Loop: Header=BB14_47 Depth=1
	s_mov_b32 s70, 0
	s_mov_b64 s[60:61], 0
                                        ; implicit-def: $sgpr62_sgpr63
                                        ; implicit-def: $sgpr64_sgpr65
	s_branch .LBB14_573
.LBB14_572:                             ;   in Loop: Header=BB14_573 Depth=2
	s_or_b64 exec, exec, s[68:69]
	s_and_b64 vcc, exec, vcc
	s_or_b64 s[60:61], vcc, s[60:61]
	s_andn2_b64 vcc, s[62:63], exec
	s_and_b64 s[62:63], s[64:65], exec
	s_or_b64 s[62:63], vcc, s[62:63]
	s_andn2_b64 exec, exec, s[60:61]
	s_cbranch_execz .LBB14_596
.LBB14_573:                             ;   Parent Loop BB14_47 Depth=1
                                        ; =>  This Inner Loop Header: Depth=2
	s_add_i32 s70, s70, 1
	s_cmpk_lg_i32 s70, 0x2710
	s_cselect_b64 s[66:67], -1, 0
	s_and_b64 vcc, exec, s[66:67]
                                        ; implicit-def: $sgpr68_sgpr69
	s_cbranch_vccnz .LBB14_575
; %bb.574:                              ;   in Loop: Header=BB14_573 Depth=2
	s_trap 2
	ds_read_b64 v[4:5], v0
	s_andn2_b64 s[66:67], s[66:67], exec
	s_mov_b32 s70, 0
	s_mov_b64 s[68:69], -1
	s_waitcnt vmcnt(0) lgkmcnt(0)
	flat_load_dword v2, v[4:5] sc0 sc1
	s_waitcnt vmcnt(0) lgkmcnt(0)
	buffer_inv sc0 sc1
	v_cmp_eq_u32_e32 vcc, 0, v2
	s_and_b64 vcc, vcc, exec
	s_or_b64 s[66:67], s[66:67], vcc
.LBB14_575:                             ;   in Loop: Header=BB14_573 Depth=2
	s_andn2_b64 s[64:65], s[64:65], exec
	s_and_b64 s[68:69], s[68:69], exec
	s_mov_b64 vcc, -1
	s_or_b64 s[64:65], s[64:65], s[68:69]
	s_and_saveexec_b64 s[68:69], s[66:67]
	s_cbranch_execz .LBB14_572
; %bb.576:                              ;   in Loop: Header=BB14_573 Depth=2
	s_sleep 1
	s_trap 2
	ds_read_b64 v[4:5], v0
	s_andn2_b64 s[64:65], s[64:65], exec
	s_waitcnt lgkmcnt(0)
	v_cmp_ge_u64_e32 vcc, v[4:5], v[38:39]
	s_orn2_b64 vcc, vcc, exec
	s_branch .LBB14_572
.LBB14_577:                             ;   in Loop: Header=BB14_47 Depth=1
	s_or_b64 exec, exec, s[58:59]
	s_and_saveexec_b64 vcc, s[60:61]
	s_xor_b64 vcc, exec, vcc
	s_cbranch_execz .LBB14_579
; %bb.578:                              ;   in Loop: Header=BB14_47 Depth=1
	ds_write_b32 v0, v17
	s_trap 2
.LBB14_579:                             ;   in Loop: Header=BB14_47 Depth=1
	s_or_b64 exec, exec, s[56:57]
	;;#ASMSTART
	s_wakeup
	;;#ASMEND
.LBB14_580:                             ;   in Loop: Header=BB14_47 Depth=1
	s_or_b64 exec, exec, s[54:55]
.LBB14_581:                             ;   in Loop: Header=BB14_47 Depth=1
	s_andn2_saveexec_b64 vcc, s[30:31]
	s_cbranch_execz .LBB14_583
; %bb.582:                              ;   in Loop: Header=BB14_47 Depth=1
	s_waitcnt lgkmcnt(0)
	s_barrier
.LBB14_583:                             ;   in Loop: Header=BB14_47 Depth=1
	s_or_b64 exec, exec, vcc
	s_or_b64 exec, exec, s[26:27]
                                        ; implicit-def: $vgpr1
	s_and_saveexec_b64 s[26:27], s[22:23]
	s_xor_b64 s[26:27], exec, s[26:27]
	s_cbranch_execnz .LBB14_543
.LBB14_584:                             ;   in Loop: Header=BB14_47 Depth=1
	s_andn2_saveexec_b64 s[26:27], s[26:27]
	s_cbranch_execz .LBB14_690
.LBB14_585:                             ;   in Loop: Header=BB14_47 Depth=1
	s_and_saveexec_b64 vcc, s[40:41]
	s_xor_b64 s[30:31], exec, vcc
	s_cbranch_execz .LBB14_687
; %bb.586:                              ;   in Loop: Header=BB14_47 Depth=1
	s_and_saveexec_b64 s[54:55], s[14:15]
	s_cbranch_execz .LBB14_686
; %bb.587:                              ;   in Loop: Header=BB14_47 Depth=1
	s_mov_b64 s[58:59], exec
	v_mbcnt_lo_u32_b32 v1, s58, 0
	v_mbcnt_hi_u32_b32 v1, s59, v1
	v_cmp_eq_u32_e32 vcc, 0, v1
	;;#ASMSTART
	s_waitcnt lgkmcnt(0) vmcnt(0)
	;;#ASMEND
	s_and_saveexec_b64 s[56:57], vcc
	s_cbranch_execz .LBB14_589
; %bb.588:                              ;   in Loop: Header=BB14_47 Depth=1
	s_bcnt1_i32_b64 vcc_lo, s[58:59]
	v_mov_b32_e32 v2, vcc_lo
	ds_add_u64 v0, v[2:3]
	s_trap 2
.LBB14_589:                             ;   in Loop: Header=BB14_47 Depth=1
	s_or_b64 exec, exec, s[56:57]
	s_trap 2
	ds_read_b64 v[4:5], v0
	v_lshl_add_u64 v[38:39], v[38:39], 0, v[52:53]
	s_waitcnt lgkmcnt(0)
	v_cmp_lt_u64_e32 vcc, v[4:5], v[38:39]
	s_and_saveexec_b64 s[56:57], vcc
	s_cbranch_execz .LBB14_685
; %bb.590:                              ;   in Loop: Header=BB14_47 Depth=1
	s_mov_b32 s68, 0
	s_mov_b64 s[58:59], 0
                                        ; implicit-def: $sgpr60_sgpr61
                                        ; implicit-def: $sgpr62_sgpr63
	s_branch .LBB14_592
.LBB14_591:                             ;   in Loop: Header=BB14_592 Depth=2
	s_or_b64 exec, exec, s[66:67]
	s_and_b64 vcc, exec, vcc
	s_or_b64 s[58:59], vcc, s[58:59]
	s_andn2_b64 vcc, s[60:61], exec
	s_and_b64 s[60:61], s[62:63], exec
	s_or_b64 s[60:61], vcc, s[60:61]
	s_andn2_b64 exec, exec, s[58:59]
	s_cbranch_execz .LBB14_683
.LBB14_592:                             ;   Parent Loop BB14_47 Depth=1
                                        ; =>  This Inner Loop Header: Depth=2
	s_add_i32 s68, s68, 1
	s_cmpk_lg_i32 s68, 0x2710
	s_cselect_b64 s[64:65], -1, 0
	s_and_b64 vcc, exec, s[64:65]
                                        ; implicit-def: $sgpr66_sgpr67
	s_cbranch_vccnz .LBB14_594
; %bb.593:                              ;   in Loop: Header=BB14_592 Depth=2
	s_trap 2
	ds_read_b64 v[4:5], v0
	s_andn2_b64 s[64:65], s[64:65], exec
	s_mov_b32 s68, 0
	s_mov_b64 s[66:67], -1
	s_waitcnt vmcnt(0) lgkmcnt(0)
	flat_load_dword v1, v[4:5] sc0 sc1
	s_waitcnt vmcnt(0) lgkmcnt(0)
	buffer_inv sc0 sc1
	v_cmp_eq_u32_e32 vcc, 0, v1
	s_and_b64 vcc, vcc, exec
	s_or_b64 s[64:65], s[64:65], vcc
.LBB14_594:                             ;   in Loop: Header=BB14_592 Depth=2
	s_andn2_b64 s[62:63], s[62:63], exec
	s_and_b64 s[66:67], s[66:67], exec
	s_mov_b64 vcc, -1
	s_or_b64 s[62:63], s[62:63], s[66:67]
	s_and_saveexec_b64 s[66:67], s[64:65]
	s_cbranch_execz .LBB14_591
; %bb.595:                              ;   in Loop: Header=BB14_592 Depth=2
	s_sleep 1
	s_trap 2
	ds_read_b64 v[4:5], v0
	s_andn2_b64 s[62:63], s[62:63], exec
	s_waitcnt lgkmcnt(0)
	v_cmp_ge_u64_e32 vcc, v[4:5], v[38:39]
	s_orn2_b64 vcc, vcc, exec
	s_branch .LBB14_591
.LBB14_596:                             ;   in Loop: Header=BB14_47 Depth=1
	s_or_b64 exec, exec, s[60:61]
	s_and_saveexec_b64 vcc, s[62:63]
	s_xor_b64 vcc, exec, vcc
	s_cbranch_execz .LBB14_598
; %bb.597:                              ;   in Loop: Header=BB14_47 Depth=1
	ds_write_b32 v0, v17
	s_trap 2
.LBB14_598:                             ;   in Loop: Header=BB14_47 Depth=1
	s_or_b64 exec, exec, s[58:59]
	;;#ASMSTART
	s_wakeup
	;;#ASMEND
.LBB14_599:                             ;   in Loop: Header=BB14_47 Depth=1
	s_or_b64 exec, exec, s[30:31]
.LBB14_600:                             ;   in Loop: Header=BB14_47 Depth=1
	s_andn2_saveexec_b64 s[28:29], s[28:29]
	s_cbranch_execz .LBB14_602
; %bb.601:                              ;   in Loop: Header=BB14_47 Depth=1
	s_waitcnt lgkmcnt(0)
	s_barrier
.LBB14_602:                             ;   in Loop: Header=BB14_47 Depth=1
	s_or_b64 exec, exec, s[28:29]
.LBB14_603:                             ;   in Loop: Header=BB14_47 Depth=1
	s_or_b64 exec, exec, s[26:27]
	s_trap 2
	ds_read_b64 v[4:5], v0
	s_waitcnt lgkmcnt(0)
	v_readfirstlane_b32 s26, v4
	v_readfirstlane_b32 s27, v5
	s_cmp_eq_u64 s[26:27], 0
	s_cselect_b64 s[26:27], -1, 0
	s_or_b64 s[28:29], s[26:27], s[26:27]
	s_mov_b64 s[26:27], 0
	s_and_b64 vcc, exec, s[28:29]
	s_cbranch_vccnz .LBB14_611
; %bb.604:                              ;   in Loop: Header=BB14_47 Depth=1
	s_trap 2
	ds_read_b64 v[4:5], v0
	v_cmp_eq_u32_e32 vcc, 0, v1
	s_nop 1
	v_cndmask_b32_e32 v16, 0, v10, vcc
	s_waitcnt lgkmcnt(0)
	v_cmp_ne_u64_e32 vcc, 0, v[4:5]
	v_lshlrev_b32_e32 v9, 1, v16
	s_cbranch_vccz .LBB14_616
; %bb.605:                              ;   in Loop: Header=BB14_47 Depth=1
	s_mov_b64 s[28:29], -1
	s_and_saveexec_b64 s[26:27], s[20:21]
	s_cbranch_execz .LBB14_607
; %bb.606:                              ;   in Loop: Header=BB14_47 Depth=1
	ds_read_b32 v1, v0 offset:720
	s_waitcnt lgkmcnt(0)
	v_and_b32_e32 v1, 15, v1
	v_cmp_eq_u32_e32 vcc, 0, v1
	s_orn2_b64 s[28:29], vcc, exec
.LBB14_607:                             ;   in Loop: Header=BB14_47 Depth=1
	s_or_b64 exec, exec, s[26:27]
	s_and_saveexec_b64 s[26:27], s[20:21]
	s_cbranch_execz .LBB14_609
; %bb.608:                              ;   in Loop: Header=BB14_47 Depth=1
	ds_read_b32 v1, v0 offset:784
	s_waitcnt lgkmcnt(0)
	v_and_b32_e32 v1, 15, v1
	v_cmp_eq_u32_e32 vcc, 0, v1
	s_and_b64 vcc, s[28:29], vcc
	s_andn2_b64 s[28:29], s[28:29], exec
	s_and_b64 vcc, vcc, exec
	s_or_b64 s[28:29], s[28:29], vcc
.LBB14_609:                             ;   in Loop: Header=BB14_47 Depth=1
	s_or_b64 exec, exec, s[26:27]
	s_xor_b64 s[28:29], s[28:29], -1
	v_cndmask_b32_e64 v1, 0, 1, s[28:29]
	v_accvgpr_write_b32 a44, v10
	s_mov_b64 s[26:27], -1
	;;#ASMSTART
	;;#ASMEND
	v_mov_b32_e32 v12, 0
	v_cmp_ne_u32_e32 vcc, 0, v1
	v_mov_b32_e32 v13, v9
	v_mov_b32_e32 v14, v32
	;; [unrolled: 1-line block ×3, first 2 shown]
	s_cbranch_vccz .LBB14_617
; %bb.610:                              ;   in Loop: Header=BB14_47 Depth=1
	v_accvgpr_write_b32 a45, v9
	s_and_saveexec_b64 s[30:31], s[26:27]
	s_cbranch_execnz .LBB14_632
	s_branch .LBB14_642
.LBB14_611:                             ;   in Loop: Header=BB14_47 Depth=1
	s_and_saveexec_b64 s[28:29], s[6:7]
	s_cbranch_execnz .LBB14_672
.LBB14_612:                             ;   in Loop: Header=BB14_47 Depth=1
	s_or_b64 exec, exec, s[28:29]
                                        ; implicit-def: $vgpr1
	s_and_saveexec_b64 s[28:29], s[22:23]
	s_xor_b64 s[28:29], exec, s[28:29]
	s_cbranch_execz .LBB14_702
.LBB14_613:                             ;   in Loop: Header=BB14_47 Depth=1
	v_and_b32_e32 v2, 16, v0
	v_cmp_ne_u32_e32 vcc, 0, v2
	v_and_b32_e32 v1, 16, v0
	s_and_b64 vcc, vcc, s[26:27]
	s_and_saveexec_b64 s[26:27], vcc
	s_cbranch_execz .LBB14_615
; %bb.614:                              ;   in Loop: Header=BB14_47 Depth=1
	v_mov_b32_e32 v1, 1
	buffer_wbl2 sc1
	s_waitcnt vmcnt(0) lgkmcnt(0)
	buffer_inv sc1
.LBB14_615:                             ;   in Loop: Header=BB14_47 Depth=1
	s_or_b64 exec, exec, s[26:27]
	s_andn2_saveexec_b64 s[26:27], s[28:29]
	s_cbranch_execz .LBB14_721
	s_branch .LBB14_703
.LBB14_616:                             ;   in Loop: Header=BB14_47 Depth=1
	s_cbranch_execnz .LBB14_643
	s_branch .LBB14_671
.LBB14_617:                             ;   in Loop: Header=BB14_47 Depth=1
	v_ashrrev_i32_e32 v1, 31, v9
	v_lshrrev_b32_e32 v1, 20, v1
	v_add_u32_e32 v1, v9, v1
	v_ashrrev_i32_e32 v2, 12, v1
	v_sub_u32_e32 v1, v2, v41
	v_accvgpr_write_b32 a45, v16
	v_cmp_lt_i32_e32 vcc, 0, v1
	s_and_saveexec_b64 s[26:27], vcc
	s_cbranch_execz .LBB14_621
; %bb.618:                              ;   in Loop: Header=BB14_47 Depth=1
	s_trap 2
	ds_read_b128 v[4:7], v0
	v_accvgpr_write_b32 a50, v9
	v_accvgpr_read_b32 v8, a40
	v_accvgpr_read_b32 v9, a41
	v_accvgpr_write_b32 a22, v38
	v_accvgpr_write_b32 a12, v54
	s_waitcnt lgkmcnt(0)
	v_lshl_add_u64 v[4:5], v[4:5], 0, v[8:9]
	v_lshl_add_u64 v[28:29], v[6:7], 0, v[8:9]
	v_accvgpr_write_b32 a51, v2
	v_accvgpr_write_b32 a3, v32
	;; [unrolled: 1-line block ×4, first 2 shown]
	s_mov_b64 s[28:29], 0
	v_mov_b64_e32 v[6:7], v[4:5]
	v_mov_b64_e32 v[44:45], v[28:29]
.LBB14_619:                             ;   Parent Loop BB14_47 Depth=1
                                        ; =>  This Inner Loop Header: Depth=2
	global_load_dwordx4 v[36:39], v[28:29], off nt
	global_load_dwordx4 v[48:51], v[4:5], off nt
	global_load_dwordx4 v[24:27], v[4:5], off offset:1024 nt
	global_load_dwordx4 v[32:35], v[28:29], off offset:1024 nt
	;; [unrolled: 1-line block ×6, first 2 shown]
	scratch_load_dwordx2 v[30:31], off, s33 offset:136 ; 8-byte Folded Reload
	v_sub_u32_e32 v1, v1, v52
	v_cmp_gt_i32_e32 vcc, 1, v1
	s_or_b64 s[28:29], vcc, s[28:29]
	s_waitcnt vmcnt(0)
	v_mul_f16_e32 v54, v9, v13
	v_lshl_add_u64 v[4:5], v[4:5], 0, v[30:31]
	scratch_load_dwordx2 v[30:31], off, s33 offset:136 ; 8-byte Folded Reload
	v_mul_f16_sdwa v55, v9, v13 dst_sel:WORD_1 dst_unused:UNUSED_PAD src0_sel:WORD_1 src1_sel:WORD_1
	v_mul_f16_e32 v40, v10, v14
	v_mul_f16_sdwa v41, v10, v14 dst_sel:WORD_1 dst_unused:UNUSED_PAD src0_sel:WORD_1 src1_sel:WORD_1
	v_mul_f16_e32 v2, v11, v15
	v_mul_f16_sdwa v58, v11, v15 dst_sel:WORD_1 dst_unused:UNUSED_PAD src0_sel:WORD_1 src1_sel:WORD_1
	s_waitcnt vmcnt(0)
	v_lshl_add_u64 v[28:29], v[28:29], 0, v[30:31]
	v_mul_f16_e32 v30, v48, v36
	v_mul_f16_sdwa v31, v48, v36 dst_sel:WORD_1 dst_unused:UNUSED_PAD src0_sel:WORD_1 src1_sel:WORD_1
	v_mul_f16_e32 v36, v49, v37
	v_mul_f16_sdwa v37, v49, v37 dst_sel:WORD_1 dst_unused:UNUSED_PAD src0_sel:WORD_1 src1_sel:WORD_1
	;; [unrolled: 2-line block ×13, first 2 shown]
	v_or_b32_e32 v9, v37, v36
	v_or_b32_e32 v8, v31, v30
	;; [unrolled: 1-line block ×16, first 2 shown]
	global_store_dwordx4 v[6:7], v[8:11], off nt
	global_store_dwordx4 v[6:7], v[12:15], off offset:1024 nt
	global_store_dwordx4 v[6:7], v[16:19], off offset:2048 nt
	;; [unrolled: 1-line block ×3, first 2 shown]
	global_store_dwordx4 v[44:45], v[8:11], off nt
	global_store_dwordx4 v[44:45], v[12:15], off offset:1024 nt
	global_store_dwordx4 v[44:45], v[16:19], off offset:2048 nt
	scratch_load_dwordx2 v[8:9], off, s33 offset:136 ; 8-byte Folded Reload
	s_waitcnt vmcnt(0)
	v_lshl_add_u64 v[6:7], v[6:7], 0, v[8:9]
	global_store_dwordx4 v[44:45], v[20:23], off offset:3072 nt
	v_lshl_add_u64 v[44:45], v[44:45], 0, v[8:9]
	s_andn2_b64 exec, exec, s[28:29]
	s_cbranch_execnz .LBB14_619
; %bb.620:                              ;   in Loop: Header=BB14_47 Depth=1
	s_or_b64 exec, exec, s[28:29]
	scratch_load_dwordx2 v[22:23], off, s33 offset:144 ; 8-byte Folded Reload
	v_accvgpr_read_b32 v55, a13
	v_accvgpr_read_b32 v37, a15
	v_accvgpr_read_b32 v49, a19
	v_accvgpr_read_b32 v51, a21
	v_accvgpr_read_b32 v39, a23
	v_accvgpr_read_b32 v35, a25
	v_accvgpr_read_b32 v26, a30
	v_accvgpr_read_b32 v28, a34
	v_accvgpr_read_b32 v30, a36
	v_accvgpr_read_b32 v24, a38
	v_accvgpr_read_b32 v18, a42
	v_accvgpr_read_b32 v20, a46
	v_accvgpr_read_b32 v54, a12
	v_accvgpr_read_b32 v36, a14
	v_accvgpr_read_b32 v40, a16
	v_accvgpr_read_b32 v48, a18
	v_accvgpr_read_b32 v50, a20
	v_accvgpr_read_b32 v38, a22
	v_accvgpr_read_b32 v33, a17
	v_accvgpr_read_b32 v34, a24
	v_accvgpr_read_b32 v44, a26
	v_accvgpr_read_b32 v45, a27
	v_accvgpr_read_b32 v27, a31
	v_accvgpr_read_b32 v41, a32
	v_accvgpr_read_b32 v29, a35
	v_accvgpr_read_b32 v32, a3
	v_accvgpr_read_b32 v31, a37
	v_accvgpr_read_b32 v25, a39
	v_accvgpr_read_b32 v19, a43
	v_mov_b32_e32 v17, 1
	v_accvgpr_read_b32 v21, a47
	v_accvgpr_read_b32 v9, a50
	;; [unrolled: 1-line block ×3, first 2 shown]
.LBB14_621:                             ;   in Loop: Header=BB14_47 Depth=1
	s_or_b64 exec, exec, s[26:27]
	v_lshlrev_b32_e32 v16, 12, v2
	v_cmp_ne_u32_e32 vcc, v9, v16
	s_mov_b64 s[26:27], 0
	v_mov_b32_e32 v12, 0
                                        ; implicit-def: $vgpr13
                                        ; implicit-def: $vgpr14
                                        ; implicit-def: $vgpr4
	s_and_saveexec_b64 s[58:59], vcc
	s_cbranch_execz .LBB14_631
; %bb.622:                              ;   in Loop: Header=BB14_47 Depth=1
	v_lshlrev_b32_e32 v1, 6, v1
	v_accvgpr_read_b32 v4, a33
	v_sub_u32_e32 v1, v4, v1
	v_sub_u32_e32 v2, v9, v16
	v_ashrrev_i32_e32 v4, 31, v1
	v_lshrrev_b32_e32 v4, 26, v4
	v_ashrrev_i32_e32 v6, 31, v2
	v_add_u32_e32 v4, v1, v4
	v_lshrrev_b32_e32 v6, 22, v6
	v_ashrrev_i32_e32 v5, 6, v4
	v_and_b32_e32 v4, 0xffffffc0, v4
	v_add_u32_e32 v6, v2, v6
	v_sub_u32_e32 v1, v1, v4
	v_and_b32_e32 v17, 0xfffffc00, v6
	v_lshlrev_b32_e32 v4, 4, v1
	v_sub_u32_e32 v19, v2, v17
	v_lshl_add_u32 v4, v5, 10, v4
	v_ashrrev_i32_e32 v7, 10, v6
	v_cmp_lt_i32_e64 s[26:27], 15, v19
	v_sub_u32_e32 v20, v2, v4
	s_nop 0
	v_addc_co_u32_e64 v2, vcc, 0, v7, s[26:27]
	v_sub_u32_e32 v18, v2, v5
	v_cmp_lt_i32_e32 vcc, 15, v20
	s_and_saveexec_b64 s[60:61], vcc
	s_cbranch_execz .LBB14_628
; %bb.623:                              ;   in Loop: Header=BB14_47 Depth=1
	v_accvgpr_write_b32 a3, v9
	s_trap 2
	ds_read_b128 v[6:9], v0
	v_add_u32_e32 v10, v4, v16
	v_ashrrev_i32_e32 v11, 31, v10
	s_mov_b64 s[62:63], 0
	s_waitcnt lgkmcnt(0)
	v_lshl_add_u64 v[4:5], v[6:7], 0, v[10:11]
	v_lshl_add_u64 v[6:7], v[8:9], 0, v[10:11]
	v_mov_b64_e32 v[12:13], v[4:5]
	v_mov_b64_e32 v[14:15], v[6:7]
.LBB14_624:                             ;   Parent Loop BB14_47 Depth=1
                                        ; =>  This Loop Header: Depth=2
                                        ;       Child Loop BB14_625 Depth 3
	global_load_dwordx4 v[8:11], v[12:13], off nt
	global_load_dwordx4 v[22:25], v[14:15], off nt
	s_mov_b64 s[66:67], -1
	s_mov_b64 s[64:65], 0
	s_waitcnt vmcnt(0)
	v_mul_f16_e32 v2, v8, v22
	v_mul_f16_sdwa v8, v8, v22 dst_sel:WORD_1 dst_unused:UNUSED_PAD src0_sel:WORD_1 src1_sel:WORD_1
	v_mul_f16_e32 v21, v9, v23
	v_mul_f16_sdwa v9, v9, v23 dst_sel:WORD_1 dst_unused:UNUSED_PAD src0_sel:WORD_1 src1_sel:WORD_1
	;; [unrolled: 2-line block ×4, first 2 shown]
	v_or_b32_e32 v9, v9, v21
	v_or_b32_e32 v8, v8, v2
	;; [unrolled: 1-line block ×4, first 2 shown]
.LBB14_625:                             ;   Parent Loop BB14_47 Depth=1
                                        ;     Parent Loop BB14_624 Depth=2
                                        ; =>    This Inner Loop Header: Depth=3
	s_cmp_eq_u32 s64, 0
	s_cselect_b64 s[28:29], -1, 0
	s_cmp_eq_u32 s64, 1
	s_cselect_b64 s[30:31], -1, 0
	v_cndmask_b32_e64 v2, 0, 1, s[66:67]
	v_cndmask_b32_e64 v23, v5, v7, s[30:31]
	;; [unrolled: 1-line block ×3, first 2 shown]
	v_cmp_ne_u32_e32 vcc, 1, v2
	global_store_dwordx4 v[22:23], v[8:11], off nt
	v_lshl_add_u64 v[22:23], v[22:23], 0, s[42:43]
	s_mov_b64 s[66:67], 0
	s_mov_b64 s[64:65], 1
	s_and_b64 vcc, exec, vcc
	v_cndmask_b32_e64 v7, v7, v23, s[30:31]
	v_cndmask_b32_e64 v6, v6, v22, s[30:31]
	;; [unrolled: 1-line block ×4, first 2 shown]
	s_cbranch_vccz .LBB14_625
; %bb.626:                              ;   in Loop: Header=BB14_624 Depth=2
	v_accvgpr_read_b32 v8, a28
	v_sub_u32_e32 v20, v20, v44
	v_accvgpr_read_b32 v9, a29
	v_cmp_gt_i32_e32 vcc, 16, v20
	v_lshl_add_u64 v[12:13], v[12:13], 0, v[30:31]
	v_lshl_add_u64 v[14:15], v[14:15], 0, v[30:31]
	;; [unrolled: 1-line block ×4, first 2 shown]
	s_or_b64 s[62:63], vcc, s[62:63]
	v_sub_u32_e32 v18, v18, v52
	s_andn2_b64 exec, exec, s[62:63]
	s_cbranch_execnz .LBB14_624
; %bb.627:                              ;   in Loop: Header=BB14_47 Depth=1
	s_or_b64 exec, exec, s[62:63]
	scratch_load_dwordx2 v[22:23], off, s33 offset:144 ; 8-byte Folded Reload
	v_accvgpr_read_b32 v24, a38
	v_accvgpr_read_b32 v25, a39
	;; [unrolled: 1-line block ×3, first 2 shown]
.LBB14_628:                             ;   in Loop: Header=BB14_47 Depth=1
	s_or_b64 exec, exec, s[60:61]
	v_and_b32_e32 v5, 14, v9
	v_cndmask_b32_e64 v13, v19, v5, s[26:27]
	s_mov_b64 s[28:29], 0
	v_mov_b32_e32 v12, 0
	v_cmp_ne_u32_e32 vcc, 0, v13
                                        ; implicit-def: $vgpr14
                                        ; implicit-def: $vgpr4
	s_mov_b64 s[30:31], exec
	v_accvgpr_read_b32 v20, a46
	s_and_b64 vcc, s[30:31], vcc
	v_accvgpr_read_b32 v21, a47
	s_mov_b64 exec, vcc
	s_cbranch_execz .LBB14_630
; %bb.629:                              ;   in Loop: Header=BB14_47 Depth=1
	v_sub_u32_e32 v2, v19, v5
	v_cndmask_b32_e64 v2, 0, v2, s[26:27]
	v_cmp_lt_i32_e32 vcc, 0, v18
	v_add3_u32 v12, v17, v16, v2
	s_mov_b64 s[28:29], exec
	v_cndmask_b32_e32 v2, 0, v52, vcc
	v_sub_u32_e32 v2, v2, v18
	v_lshl_add_u32 v14, v2, 6, v1
	v_ashrrev_i32_e32 v1, 31, v14
	v_lshrrev_b32_e32 v1, 26, v1
	v_add_u32_e32 v1, v14, v1
	v_ashrrev_i32_e32 v4, 6, v1
.LBB14_630:                             ;   in Loop: Header=BB14_47 Depth=1
	s_or_b64 exec, exec, s[30:31]
	v_accvgpr_read_b32 v18, a42
	s_and_b64 s[26:27], s[28:29], exec
	v_accvgpr_read_b32 v19, a43
	v_mov_b32_e32 v17, 1
.LBB14_631:                             ;   in Loop: Header=BB14_47 Depth=1
	s_or_b64 exec, exec, s[58:59]
	v_accvgpr_read_b32 v16, a45
	v_accvgpr_write_b32 a45, v9
	s_and_saveexec_b64 s[30:31], s[26:27]
	s_cbranch_execz .LBB14_642
.LBB14_632:                             ;   in Loop: Header=BB14_47 Depth=1
	v_ashrrev_i32_e32 v1, 31, v13
	v_lshrrev_b32_e32 v1, 21, v1
	v_add_u32_e32 v1, v13, v1
	v_mov_b32_e32 v58, v16
	v_ashrrev_i32_e32 v16, 11, v1
	v_sub_u32_e32 v1, v16, v4
	v_ashrrev_i32_e32 v2, 31, v14
	v_cmp_lt_i32_e32 vcc, 0, v1
	v_lshrrev_b32_e32 v15, 26, v2
	s_and_saveexec_b64 s[26:27], vcc
	s_cbranch_execz .LBB14_636
; %bb.633:                              ;   in Loop: Header=BB14_47 Depth=1
	v_add_u32_e32 v2, v14, v15
	s_trap 2
	v_and_b32_e32 v2, 0x7fffffc0, v2
	ds_read_b128 v[6:9], v0
	v_sub_u32_e32 v2, v14, v2
	v_lshlrev_b32_e32 v2, 1, v2
	v_lshlrev_b32_e32 v4, 11, v4
	v_add3_u32 v4, v2, v12, v4
	v_ashrrev_i32_e32 v5, 31, v4
	v_accvgpr_write_b32 a22, v38
	v_accvgpr_write_b32 a12, v54
	s_waitcnt lgkmcnt(0)
	v_lshl_add_u64 v[6:7], v[6:7], 0, v[4:5]
	v_lshl_add_u64 v[4:5], v[8:9], 0, v[4:5]
	v_accvgpr_write_b32 a3, v32
	v_accvgpr_write_b32 a23, v39
	;; [unrolled: 1-line block ×3, first 2 shown]
	s_mov_b64 s[28:29], 0
	v_mov_b64_e32 v[8:9], v[6:7]
	v_mov_b64_e32 v[10:11], v[4:5]
.LBB14_634:                             ;   Parent Loop BB14_47 Depth=1
                                        ; =>  This Inner Loop Header: Depth=2
	flat_load_ushort v2, v[6:7] nt
	flat_load_ushort v17, v[6:7] offset:128 nt
	flat_load_ushort v18, v[6:7] offset:256 nt
	;; [unrolled: 1-line block ×5, first 2 shown]
	s_waitcnt vmcnt(0)
	flat_load_ushort v22, v[6:7] offset:768 nt
	flat_load_ushort v23, v[6:7] offset:896 nt
	flat_load_ushort v24, v[6:7] offset:1024 nt
	flat_load_ushort v25, v[6:7] offset:1152 nt
	flat_load_ushort v26, v[6:7] offset:1280 nt
	flat_load_ushort v27, v[6:7] offset:1408 nt
	flat_load_ushort v28, v[6:7] offset:1536 nt
	flat_load_ushort v29, v[6:7] offset:1664 nt
	flat_load_ushort v30, v[6:7] offset:1792 nt
	flat_load_ushort v31, v[6:7] offset:1920 nt
	flat_load_ushort v32, v[4:5] nt
	flat_load_ushort v33, v[4:5] offset:128 nt
	flat_load_ushort v34, v[4:5] offset:256 nt
	;; [unrolled: 1-line block ×15, first 2 shown]
	v_sub_u32_e32 v1, v1, v52
	v_cmp_gt_i32_e32 vcc, 1, v1
	v_lshl_add_u64 v[6:7], v[6:7], 0, v[60:61]
	v_lshl_add_u64 v[4:5], v[4:5], 0, v[60:61]
	s_or_b64 s[28:29], vcc, s[28:29]
	s_waitcnt vmcnt(0) lgkmcnt(0)
	v_mul_f16_e32 v2, v2, v32
	v_mul_f16_e32 v17, v17, v33
	v_mul_f16_e32 v18, v18, v34
	v_mul_f16_e32 v19, v19, v35
	v_mul_f16_e32 v20, v20, v36
	v_mul_f16_e32 v21, v21, v37
	v_mul_f16_e32 v22, v22, v38
	v_mul_f16_e32 v23, v23, v39
	v_mul_f16_e32 v24, v24, v48
	v_mul_f16_e32 v25, v25, v49
	v_mul_f16_e32 v26, v26, v50
	v_mul_f16_e32 v27, v27, v51
	v_mul_f16_e32 v28, v28, v54
	v_mul_f16_e32 v29, v29, v55
	v_mul_f16_e32 v30, v30, v40
	v_mul_f16_e32 v31, v31, v41
	flat_store_short v[8:9], v2 nt
	flat_store_short v[8:9], v17 offset:128 nt
	flat_store_short v[8:9], v18 offset:256 nt
	;; [unrolled: 1-line block ×15, first 2 shown]
	flat_store_short v[10:11], v2 nt
	flat_store_short v[10:11], v17 offset:128 nt
	flat_store_short v[10:11], v18 offset:256 nt
	;; [unrolled: 1-line block ×15, first 2 shown]
	v_lshl_add_u64 v[8:9], v[8:9], 0, v[60:61]
	v_lshl_add_u64 v[10:11], v[10:11], 0, v[60:61]
	s_andn2_b64 exec, exec, s[28:29]
	s_cbranch_execnz .LBB14_634
; %bb.635:                              ;   in Loop: Header=BB14_47 Depth=1
	s_or_b64 exec, exec, s[28:29]
	scratch_load_dwordx2 v[22:23], off, s33 offset:144 ; 8-byte Folded Reload
	v_accvgpr_read_b32 v55, a13
	v_accvgpr_read_b32 v37, a15
	;; [unrolled: 1-line block ×27, first 2 shown]
	v_mov_b32_e32 v17, 1
	v_accvgpr_read_b32 v21, a47
.LBB14_636:                             ;   in Loop: Header=BB14_47 Depth=1
	s_or_b64 exec, exec, s[26:27]
	v_lshlrev_b32_e32 v4, 11, v16
	v_cmp_ne_u32_e32 vcc, v13, v4
	s_and_b64 s[26:27], exec, vcc
	v_mov_b32_e32 v16, v58
	s_mov_b64 exec, s[26:27]
	s_cbranch_execz .LBB14_642
; %bb.637:                              ;   in Loop: Header=BB14_47 Depth=1
	v_add_u32_e32 v2, v14, v15
	v_and_b32_e32 v2, 0xffffffc0, v2
	v_sub_u32_e32 v2, v14, v2
	v_lshlrev_b32_e32 v1, 6, v1
	v_sub_u32_e32 v1, v2, v1
	v_ashrrev_i32_e32 v2, 31, v1
	v_lshrrev_b32_e32 v2, 26, v2
	v_add_u32_e32 v2, v1, v2
	v_and_b32_e32 v5, 0x7fffffc0, v2
	v_sub_u32_e32 v1, v1, v5
	v_lshlrev_b32_e32 v2, 1, v2
	v_and_b32_e32 v2, 0xffffff80, v2
	v_lshlrev_b32_e32 v1, 1, v1
	v_add3_u32 v4, v2, v1, v4
	v_sub_u32_e32 v1, v13, v4
	v_cmp_lt_i32_e32 vcc, 1, v1
	s_and_b64 exec, exec, vcc
	s_cbranch_execz .LBB14_642
; %bb.638:                              ;   in Loop: Header=BB14_47 Depth=1
	s_trap 2
	ds_read_b128 v[6:9], v0
	v_add_u32_e32 v10, v4, v12
	v_ashrrev_i32_e32 v11, 31, v10
	s_mov_b64 s[58:59], 0
	s_waitcnt lgkmcnt(0)
	v_lshl_add_u64 v[4:5], v[6:7], 0, v[10:11]
	v_lshl_add_u64 v[6:7], v[8:9], 0, v[10:11]
	v_mov_b64_e32 v[8:9], v[4:5]
	v_mov_b64_e32 v[10:11], v[6:7]
.LBB14_639:                             ;   Parent Loop BB14_47 Depth=1
                                        ; =>  This Loop Header: Depth=2
                                        ;       Child Loop BB14_640 Depth 3
	flat_load_ushort v2, v[8:9] nt
	flat_load_ushort v12, v[10:11] nt
	s_mov_b64 s[62:63], -1
	s_mov_b64 s[60:61], 0
	s_waitcnt vmcnt(0) lgkmcnt(0)
	v_mul_f16_e32 v12, v2, v12
.LBB14_640:                             ;   Parent Loop BB14_47 Depth=1
                                        ;     Parent Loop BB14_639 Depth=2
                                        ; =>    This Inner Loop Header: Depth=3
	s_cmp_eq_u32 s60, 0
	s_cselect_b64 s[26:27], -1, 0
	s_cmp_eq_u32 s60, 1
	s_cselect_b64 s[28:29], -1, 0
	v_cndmask_b32_e64 v2, 0, 1, s[62:63]
	v_cndmask_b32_e64 v15, v5, v7, s[28:29]
	;; [unrolled: 1-line block ×3, first 2 shown]
	v_cmp_ne_u32_e32 vcc, 1, v2
	flat_store_short v[14:15], v12 nt
	v_lshl_add_u64 v[14:15], v[14:15], 0, s[44:45]
	s_mov_b64 s[62:63], 0
	s_mov_b64 s[60:61], 1
	s_and_b64 vcc, exec, vcc
	v_cndmask_b32_e64 v7, v7, v15, s[28:29]
	v_cndmask_b32_e64 v6, v6, v14, s[28:29]
	;; [unrolled: 1-line block ×4, first 2 shown]
	s_cbranch_vccz .LBB14_640
; %bb.641:                              ;   in Loop: Header=BB14_639 Depth=2
	v_sub_u32_e32 v1, v1, v45
	v_cmp_gt_i32_e32 vcc, 2, v1
	v_lshl_add_u64 v[8:9], v[8:9], 0, v[24:25]
	v_lshl_add_u64 v[10:11], v[10:11], 0, v[24:25]
	;; [unrolled: 1-line block ×3, first 2 shown]
	s_or_b64 s[58:59], vcc, s[58:59]
	v_lshl_add_u64 v[6:7], v[6:7], 0, v[26:27]
	s_andn2_b64 exec, exec, s[58:59]
	s_cbranch_execnz .LBB14_639
.LBB14_642:                             ;   in Loop: Header=BB14_47 Depth=1
	s_or_b64 exec, exec, s[30:31]
	v_accvgpr_read_b32 v10, a44
	v_accvgpr_read_b32 v9, a45
	s_branch .LBB14_671
.LBB14_643:                             ;   in Loop: Header=BB14_47 Depth=1
	s_mov_b64 s[26:27], -1
	s_and_saveexec_b64 s[28:29], s[20:21]
	s_cbranch_execz .LBB14_645
; %bb.644:                              ;   in Loop: Header=BB14_47 Depth=1
	ds_read_b32 v1, v0 offset:720
	s_waitcnt lgkmcnt(0)
	v_and_b32_e32 v1, 15, v1
	v_cmp_eq_u32_e32 vcc, 0, v1
	s_orn2_b64 s[26:27], vcc, exec
.LBB14_645:                             ;   in Loop: Header=BB14_47 Depth=1
	s_or_b64 exec, exec, s[28:29]
	s_and_saveexec_b64 s[28:29], s[16:17]
	s_cbranch_execz .LBB14_647
; %bb.646:                              ;   in Loop: Header=BB14_47 Depth=1
	ds_read_b32 v1, v0 offset:784
	s_waitcnt lgkmcnt(0)
	v_and_b32_e32 v1, 15, v1
	v_cmp_eq_u32_e32 vcc, 0, v1
	s_and_b64 vcc, s[26:27], vcc
	s_andn2_b64 s[26:27], s[26:27], exec
	s_and_b64 vcc, vcc, exec
	s_or_b64 s[26:27], s[26:27], vcc
.LBB14_647:                             ;   in Loop: Header=BB14_47 Depth=1
	s_or_b64 exec, exec, s[28:29]
	s_xor_b64 s[26:27], s[26:27], -1
	v_cndmask_b32_e64 v1, 0, 1, s[26:27]
	s_mov_b64 s[30:31], -1
	;;#ASMSTART
	;;#ASMEND
	v_mov_b32_e32 v4, 0
	v_cmp_ne_u32_e32 vcc, 0, v1
	s_cbranch_vccz .LBB14_649
; %bb.648:                              ;   in Loop: Header=BB14_47 Depth=1
	v_mov_b32_e32 v58, v10
	v_mov_b32_e32 v5, v32
	;; [unrolled: 1-line block ×3, first 2 shown]
	s_and_saveexec_b64 s[26:27], s[30:31]
	s_cbranch_execnz .LBB14_662
	s_branch .LBB14_670
.LBB14_649:                             ;   in Loop: Header=BB14_47 Depth=1
	v_ashrrev_i32_e32 v1, 31, v9
	v_lshrrev_b32_e32 v1, 20, v1
	v_add_u32_e32 v1, v9, v1
	v_ashrrev_i32_e32 v2, 12, v1
	v_sub_u32_e32 v1, v2, v41
	v_cmp_lt_i32_e32 vcc, 0, v1
	s_and_saveexec_b64 s[26:27], vcc
	s_cbranch_execz .LBB14_653
; %bb.650:                              ;   in Loop: Header=BB14_47 Depth=1
	v_accvgpr_write_b32 a45, v9
	s_trap 2
	ds_read_b128 v[4:7], v0
	ds_read_b64 v[8:9], v0
	v_mov_b32_e32 v58, v10
	v_accvgpr_read_b32 v10, a40
	v_accvgpr_write_b32 a22, v38
	v_accvgpr_write_b32 a12, v54
	v_accvgpr_read_b32 v11, a41
	v_accvgpr_write_b32 a50, v2
	v_accvgpr_write_b32 a44, v16
	;; [unrolled: 1-line block ×3, first 2 shown]
	v_mov_b32_e32 v2, v32
	v_accvgpr_write_b32 a23, v39
	v_accvgpr_write_b32 a13, v55
	s_waitcnt lgkmcnt(0)
	v_lshl_add_u64 v[4:5], v[4:5], 0, v[10:11]
	v_lshl_add_u64 v[6:7], v[6:7], 0, v[10:11]
	;; [unrolled: 1-line block ×3, first 2 shown]
	s_mov_b64 s[28:29], 0
.LBB14_651:                             ;   Parent Loop BB14_47 Depth=1
                                        ; =>  This Inner Loop Header: Depth=2
	global_load_dwordx4 v[36:39], v[6:7], off nt
	global_load_dwordx4 v[48:51], v[4:5], off nt
	global_load_dwordx4 v[24:27], v[4:5], off offset:1024 nt
	global_load_dwordx4 v[32:35], v[6:7], off offset:1024 nt
	;; [unrolled: 1-line block ×6, first 2 shown]
	scratch_load_dwordx2 v[30:31], off, s33 offset:136 ; 8-byte Folded Reload
	v_sub_u32_e32 v1, v1, v52
	v_cmp_gt_i32_e32 vcc, 1, v1
	s_or_b64 s[28:29], vcc, s[28:29]
	s_waitcnt vmcnt(0)
	v_mul_f16_e32 v54, v9, v13
	v_lshl_add_u64 v[4:5], v[4:5], 0, v[30:31]
	scratch_load_dwordx2 v[30:31], off, s33 offset:136 ; 8-byte Folded Reload
	v_mul_f16_sdwa v55, v9, v13 dst_sel:WORD_1 dst_unused:UNUSED_PAD src0_sel:WORD_1 src1_sel:WORD_1
	v_mul_f16_e32 v40, v10, v14
	v_mul_f16_sdwa v41, v10, v14 dst_sel:WORD_1 dst_unused:UNUSED_PAD src0_sel:WORD_1 src1_sel:WORD_1
	v_mul_f16_e32 v45, v11, v15
	v_mul_f16_sdwa v44, v11, v15 dst_sel:WORD_1 dst_unused:UNUSED_PAD src0_sel:WORD_1 src1_sel:WORD_1
	s_waitcnt vmcnt(0)
	v_lshl_add_u64 v[6:7], v[6:7], 0, v[30:31]
	v_mul_f16_e32 v30, v48, v36
	v_mul_f16_sdwa v31, v48, v36 dst_sel:WORD_1 dst_unused:UNUSED_PAD src0_sel:WORD_1 src1_sel:WORD_1
	v_mul_f16_e32 v36, v49, v37
	v_mul_f16_sdwa v37, v49, v37 dst_sel:WORD_1 dst_unused:UNUSED_PAD src0_sel:WORD_1 src1_sel:WORD_1
	;; [unrolled: 2-line block ×13, first 2 shown]
	v_or_b32_e32 v9, v37, v36
	v_or_b32_e32 v8, v31, v30
	;; [unrolled: 1-line block ×16, first 2 shown]
	global_store_dwordx4 v[28:29], v[8:11], off nt
	global_store_dwordx4 v[28:29], v[12:15], off offset:1024 nt
	global_store_dwordx4 v[28:29], v[16:19], off offset:2048 nt
	;; [unrolled: 1-line block ×3, first 2 shown]
	scratch_load_dwordx2 v[8:9], off, s33 offset:136 ; 8-byte Folded Reload
	s_waitcnt vmcnt(0)
	v_lshl_add_u64 v[28:29], v[28:29], 0, v[8:9]
	s_andn2_b64 exec, exec, s[28:29]
	s_cbranch_execnz .LBB14_651
; %bb.652:                              ;   in Loop: Header=BB14_47 Depth=1
	s_or_b64 exec, exec, s[28:29]
	scratch_load_dwordx2 v[22:23], off, s33 offset:144 ; 8-byte Folded Reload
	v_accvgpr_read_b32 v55, a13
	v_accvgpr_read_b32 v37, a15
	;; [unrolled: 1-line block ×24, first 2 shown]
	v_mov_b32_e32 v32, v2
	v_accvgpr_read_b32 v31, a37
	v_accvgpr_read_b32 v25, a39
	;; [unrolled: 1-line block ×3, first 2 shown]
	v_mov_b32_e32 v17, 1
	v_accvgpr_read_b32 v44, a3
	v_accvgpr_read_b32 v21, a47
	v_mov_b32_e32 v10, v58
	v_accvgpr_read_b32 v16, a44
	v_accvgpr_read_b32 v9, a45
	;; [unrolled: 1-line block ×3, first 2 shown]
.LBB14_653:                             ;   in Loop: Header=BB14_47 Depth=1
	s_or_b64 exec, exec, s[26:27]
	v_mov_b32_e32 v58, v10
	v_lshlrev_b32_e32 v10, 12, v2
	v_cmp_ne_u32_e32 vcc, v9, v10
	s_mov_b64 s[30:31], 0
	v_mov_b32_e32 v4, 0
                                        ; implicit-def: $vgpr5
                                        ; implicit-def: $vgpr6
	s_and_saveexec_b64 s[28:29], vcc
	s_cbranch_execz .LBB14_661
; %bb.654:                              ;   in Loop: Header=BB14_47 Depth=1
	v_lshlrev_b32_e32 v1, 6, v1
	v_accvgpr_read_b32 v2, a33
	v_sub_u32_e32 v1, v2, v1
	v_sub_u32_e32 v5, v9, v10
	v_ashrrev_i32_e32 v4, 31, v1
	v_lshrrev_b32_e32 v4, 26, v4
	v_ashrrev_i32_e32 v7, 31, v5
	v_add_u32_e32 v4, v1, v4
	v_lshrrev_b32_e32 v7, 22, v7
	v_ashrrev_i32_e32 v6, 6, v4
	v_and_b32_e32 v4, 0xffffffc0, v4
	v_add_u32_e32 v7, v5, v7
	v_sub_u32_e32 v1, v1, v4
	v_and_b32_e32 v11, 0xfffffc00, v7
	v_lshlrev_b32_e32 v4, 4, v1
	v_sub_u32_e32 v13, v5, v11
	v_lshl_add_u32 v4, v6, 10, v4
	v_ashrrev_i32_e32 v8, 10, v7
	v_cmp_lt_i32_e32 vcc, 15, v13
	v_sub_u32_e32 v14, v5, v4
	s_nop 0
	v_addc_co_u32_e64 v5, s[26:27], 0, v8, vcc
	v_sub_u32_e32 v12, v5, v6
	v_cmp_lt_i32_e64 s[26:27], 15, v14
	s_and_saveexec_b64 s[30:31], s[26:27]
	s_cbranch_execz .LBB14_658
; %bb.655:                              ;   in Loop: Header=BB14_47 Depth=1
	v_accvgpr_write_b32 a3, v9
	v_mov_b32_e32 v2, v16
	s_trap 2
	ds_read_b128 v[6:9], v0
	ds_read_b64 v[16:17], v0
	v_add_u32_e32 v18, v4, v10
	v_ashrrev_i32_e32 v19, 31, v18
	s_mov_b64 s[58:59], 0
	s_waitcnt lgkmcnt(0)
	v_lshl_add_u64 v[4:5], v[6:7], 0, v[18:19]
	v_lshl_add_u64 v[6:7], v[8:9], 0, v[18:19]
	;; [unrolled: 1-line block ×3, first 2 shown]
.LBB14_656:                             ;   Parent Loop BB14_47 Depth=1
                                        ; =>  This Inner Loop Header: Depth=2
	global_load_dwordx4 v[16:19], v[4:5], off nt
	global_load_dwordx4 v[20:23], v[6:7], off nt
	v_sub_u32_e32 v14, v14, v44
	v_cmp_gt_i32_e64 s[26:27], 16, v14
	v_lshl_add_u64 v[4:5], v[4:5], 0, v[30:31]
	v_lshl_add_u64 v[6:7], v[6:7], 0, v[30:31]
	v_sub_u32_e32 v12, v12, v52
	s_or_b64 s[58:59], s[26:27], s[58:59]
	s_waitcnt vmcnt(0)
	v_mul_f16_e32 v15, v16, v20
	v_mul_f16_sdwa v16, v16, v20 dst_sel:WORD_1 dst_unused:UNUSED_PAD src0_sel:WORD_1 src1_sel:WORD_1
	v_mul_f16_e32 v20, v17, v21
	v_mul_f16_sdwa v17, v17, v21 dst_sel:WORD_1 dst_unused:UNUSED_PAD src0_sel:WORD_1 src1_sel:WORD_1
	;; [unrolled: 2-line block ×4, first 2 shown]
	v_or_b32_e32 v17, v17, v20
	v_or_b32_e32 v16, v16, v15
	;; [unrolled: 1-line block ×4, first 2 shown]
	global_store_dwordx4 v[8:9], v[16:19], off nt
	v_lshl_add_u64 v[8:9], v[8:9], 0, v[30:31]
	s_andn2_b64 exec, exec, s[58:59]
	s_cbranch_execnz .LBB14_656
; %bb.657:                              ;   in Loop: Header=BB14_47 Depth=1
	s_or_b64 exec, exec, s[58:59]
	scratch_load_dwordx2 v[22:23], off, s33 offset:144 ; 8-byte Folded Reload
	v_accvgpr_read_b32 v18, a42
	v_accvgpr_read_b32 v20, a46
	;; [unrolled: 1-line block ×3, first 2 shown]
	v_mov_b32_e32 v17, 1
	v_accvgpr_read_b32 v21, a47
	v_mov_b32_e32 v16, v2
	v_accvgpr_read_b32 v9, a3
.LBB14_658:                             ;   in Loop: Header=BB14_47 Depth=1
	s_or_b64 exec, exec, s[30:31]
	v_and_b32_e32 v7, 14, v9
	v_cndmask_b32_e32 v9, v13, v7, vcc
	v_cmp_ne_u32_e64 s[26:27], 0, v9
	s_mov_b64 s[30:31], 0
	v_mov_b32_e32 v4, 0
                                        ; implicit-def: $vgpr5
                                        ; implicit-def: $vgpr6
	s_and_saveexec_b64 s[58:59], s[26:27]
	s_cbranch_execz .LBB14_660
; %bb.659:                              ;   in Loop: Header=BB14_47 Depth=1
	v_sub_u32_e32 v4, v13, v7
	v_cndmask_b32_e32 v4, 0, v4, vcc
	v_cmp_lt_i32_e32 vcc, 0, v12
	s_mov_b64 s[30:31], exec
	v_add3_u32 v4, v11, v10, v4
	v_cndmask_b32_e32 v5, 0, v52, vcc
	v_sub_u32_e32 v5, v5, v12
	v_lshl_add_u32 v5, v5, 6, v1
	v_ashrrev_i32_e32 v1, 31, v5
	v_lshrrev_b32_e32 v1, 26, v1
	v_add_u32_e32 v1, v5, v1
	v_ashrrev_i32_e32 v6, 6, v1
.LBB14_660:                             ;   in Loop: Header=BB14_47 Depth=1
	s_or_b64 exec, exec, s[58:59]
	s_and_b64 s[30:31], s[30:31], exec
.LBB14_661:                             ;   in Loop: Header=BB14_47 Depth=1
	s_or_b64 exec, exec, s[28:29]
	s_and_saveexec_b64 s[26:27], s[30:31]
	s_cbranch_execz .LBB14_670
.LBB14_662:                             ;   in Loop: Header=BB14_47 Depth=1
	v_ashrrev_i32_e32 v1, 31, v9
	v_lshrrev_b32_e32 v1, 21, v1
	v_add_u32_e32 v1, v9, v1
	v_ashrrev_i32_e32 v13, 11, v1
	v_sub_u32_e32 v12, v13, v6
	v_cmp_lt_i32_e32 vcc, 0, v12
	s_and_saveexec_b64 s[28:29], vcc
	s_cbranch_execz .LBB14_666
; %bb.663:                              ;   in Loop: Header=BB14_47 Depth=1
	v_ashrrev_i32_e32 v1, 31, v5
	v_lshrrev_b32_e32 v1, 26, v1
	v_add_u32_e32 v1, v5, v1
	v_accvgpr_write_b32 a44, v9
	s_trap 2
	v_and_b32_e32 v1, 0x7fffffc0, v1
	ds_read_b128 v[8:11], v0
	ds_read_b64 v[14:15], v0
	v_sub_u32_e32 v1, v5, v1
	v_lshlrev_b32_e32 v1, 1, v1
	v_lshlrev_b32_e32 v6, 11, v6
	v_accvgpr_write_b32 a3, v16
	v_add3_u32 v16, v1, v4, v6
	v_ashrrev_i32_e32 v17, 31, v16
	v_accvgpr_write_b32 a22, v38
	v_accvgpr_write_b32 a12, v54
	s_waitcnt lgkmcnt(0)
	v_lshl_add_u64 v[6:7], v[8:9], 0, v[16:17]
	v_lshl_add_u64 v[8:9], v[10:11], 0, v[16:17]
	;; [unrolled: 1-line block ×3, first 2 shown]
	v_mov_b32_e32 v2, v32
	v_accvgpr_write_b32 a23, v39
	v_accvgpr_write_b32 a13, v55
	v_lshl_add_u64 v[10:11], v[10:11], 0, v[16:17]
	s_mov_b64 s[30:31], 0
.LBB14_664:                             ;   Parent Loop BB14_47 Depth=1
                                        ; =>  This Inner Loop Header: Depth=2
	flat_load_ushort v1, v[6:7] nt
	flat_load_ushort v14, v[6:7] offset:128 nt
	flat_load_ushort v15, v[6:7] offset:256 nt
	;; [unrolled: 1-line block ×7, first 2 shown]
	s_waitcnt vmcnt(0)
	flat_load_ushort v22, v[6:7] offset:1024 nt
	flat_load_ushort v23, v[6:7] offset:1152 nt
	;; [unrolled: 1-line block ×8, first 2 shown]
	flat_load_ushort v21, v[8:9] nt
	flat_load_ushort v30, v[8:9] offset:128 nt
	flat_load_ushort v31, v[8:9] offset:256 nt
	;; [unrolled: 1-line block ×15, first 2 shown]
	v_sub_u32_e32 v12, v12, v52
	v_lshl_add_u64 v[6:7], v[6:7], 0, v[60:61]
	v_lshl_add_u64 v[8:9], v[8:9], 0, v[60:61]
	s_waitcnt vmcnt(0) lgkmcnt(0)
	v_mul_f16_e32 v55, v1, v21
	v_mul_f16_e32 v30, v14, v30
	;; [unrolled: 1-line block ×9, first 2 shown]
	v_add_co_u32_e32 v22, vcc, s85, v10
	v_mul_f16_e32 v19, v23, v38
	s_nop 0
	v_addc_co_u32_e32 v23, vcc, -1, v11, vcc
	flat_store_short v[22:23], v55 nt
	v_add_co_u32_e32 v22, vcc, s86, v10
	v_mul_f16_e32 v18, v24, v39
	s_nop 0
	v_addc_co_u32_e32 v23, vcc, -1, v11, vcc
	flat_store_short v[22:23], v30 nt
	;; [unrolled: 5-line block ×7, first 2 shown]
	v_add_co_u32_e32 v22, vcc, s74, v10
	s_nop 1
	v_addc_co_u32_e32 v23, vcc, -1, v11, vcc
	flat_store_short v[22:23], v21 nt
	v_add_co_u32_e32 v22, vcc, s92, v10
	s_nop 1
	v_addc_co_u32_e32 v23, vcc, -1, v11, vcc
	flat_store_short v[22:23], v20 nt
	;; [unrolled: 4-line block ×7, first 2 shown]
	v_add_co_u32_e32 v16, vcc, 0xffffff80, v10
	s_nop 1
	v_addc_co_u32_e32 v17, vcc, -1, v11, vcc
	v_cmp_gt_i32_e32 vcc, 1, v12
	flat_store_short v[16:17], v1 nt
	flat_store_short v[10:11], v14 nt
	v_lshl_add_u64 v[10:11], v[10:11], 0, v[60:61]
	s_or_b64 s[30:31], vcc, s[30:31]
	s_andn2_b64 exec, exec, s[30:31]
	s_cbranch_execnz .LBB14_664
; %bb.665:                              ;   in Loop: Header=BB14_47 Depth=1
	s_or_b64 exec, exec, s[30:31]
	scratch_load_dwordx2 v[22:23], off, s33 offset:144 ; 8-byte Folded Reload
	v_accvgpr_read_b32 v55, a13
	v_accvgpr_read_b32 v37, a15
	;; [unrolled: 1-line block ×21, first 2 shown]
	v_mov_b32_e32 v32, v2
	v_accvgpr_read_b32 v31, a37
	v_accvgpr_read_b32 v25, a39
	;; [unrolled: 1-line block ×3, first 2 shown]
	v_mov_b32_e32 v17, 1
	v_accvgpr_read_b32 v21, a47
	v_accvgpr_read_b32 v16, a3
	;; [unrolled: 1-line block ×3, first 2 shown]
.LBB14_666:                             ;   in Loop: Header=BB14_47 Depth=1
	s_or_b64 exec, exec, s[28:29]
	v_lshlrev_b32_e32 v1, 11, v13
	v_cmp_ne_u32_e32 vcc, v9, v1
	s_and_b64 exec, exec, vcc
	s_cbranch_execz .LBB14_670
; %bb.667:                              ;   in Loop: Header=BB14_47 Depth=1
	v_ashrrev_i32_e32 v6, 31, v5
	v_lshrrev_b32_e32 v6, 26, v6
	v_add_u32_e32 v6, v5, v6
	v_and_b32_e32 v6, 0xffffffc0, v6
	v_sub_u32_e32 v5, v5, v6
	v_lshlrev_b32_e32 v6, 6, v12
	v_sub_u32_e32 v5, v5, v6
	v_ashrrev_i32_e32 v6, 31, v5
	v_lshrrev_b32_e32 v6, 26, v6
	v_add_u32_e32 v6, v5, v6
	v_and_b32_e32 v7, 0x7fffffc0, v6
	v_sub_u32_e32 v5, v5, v7
	v_lshlrev_b32_e32 v6, 1, v6
	v_and_b32_e32 v6, 0xffffff80, v6
	v_lshlrev_b32_e32 v5, 1, v5
	v_add3_u32 v5, v6, v5, v1
	v_sub_u32_e32 v1, v9, v5
	v_cmp_lt_i32_e32 vcc, 1, v1
	s_and_b64 exec, exec, vcc
	s_cbranch_execz .LBB14_670
; %bb.668:                              ;   in Loop: Header=BB14_47 Depth=1
	s_trap 2
	ds_read_b128 v[6:9], v0
	ds_read_b64 v[10:11], v0
	v_add_u32_e32 v12, v5, v4
	v_ashrrev_i32_e32 v13, 31, v12
	s_mov_b64 s[28:29], 0
	s_waitcnt lgkmcnt(0)
	v_lshl_add_u64 v[4:5], v[6:7], 0, v[12:13]
	v_lshl_add_u64 v[6:7], v[8:9], 0, v[12:13]
	;; [unrolled: 1-line block ×3, first 2 shown]
.LBB14_669:                             ;   Parent Loop BB14_47 Depth=1
                                        ; =>  This Inner Loop Header: Depth=2
	flat_load_ushort v2, v[4:5] nt
	flat_load_ushort v10, v[6:7] nt
	v_sub_u32_e32 v1, v1, v45
	v_cmp_gt_i32_e32 vcc, 2, v1
	v_lshl_add_u64 v[4:5], v[4:5], 0, v[24:25]
	v_lshl_add_u64 v[6:7], v[6:7], 0, v[24:25]
	s_or_b64 s[28:29], vcc, s[28:29]
	s_waitcnt vmcnt(0) lgkmcnt(0)
	v_mul_f16_e32 v2, v2, v10
	flat_store_short v[8:9], v2 nt
	v_lshl_add_u64 v[8:9], v[8:9], 0, v[24:25]
	s_andn2_b64 exec, exec, s[28:29]
	s_cbranch_execnz .LBB14_669
.LBB14_670:                             ;   in Loop: Header=BB14_47 Depth=1
	s_or_b64 exec, exec, s[26:27]
	v_mov_b32_e32 v10, v58
.LBB14_671:                             ;   in Loop: Header=BB14_47 Depth=1
	v_cmp_lt_i32_e64 s[26:27], 0, v16
	s_and_saveexec_b64 s[28:29], s[6:7]
	s_cbranch_execz .LBB14_612
.LBB14_672:                             ;   in Loop: Header=BB14_47 Depth=1
	s_and_saveexec_b64 vcc, s[40:41]
	s_xor_b64 s[30:31], exec, vcc
	s_cbranch_execz .LBB14_699
; %bb.673:                              ;   in Loop: Header=BB14_47 Depth=1
	s_and_saveexec_b64 s[58:59], s[14:15]
	s_cbranch_execz .LBB14_698
; %bb.674:                              ;   in Loop: Header=BB14_47 Depth=1
	s_mov_b64 s[62:63], exec
	v_mbcnt_lo_u32_b32 v1, s62, 0
	v_mbcnt_hi_u32_b32 v1, s63, v1
	v_cmp_eq_u32_e32 vcc, 0, v1
	s_waitcnt lgkmcnt(0)
	s_and_saveexec_b64 s[60:61], vcc
	s_cbranch_execz .LBB14_676
; %bb.675:                              ;   in Loop: Header=BB14_47 Depth=1
	s_bcnt1_i32_b64 vcc_lo, s[62:63]
	v_mov_b32_e32 v2, vcc_lo
	ds_add_u64 v0, v[2:3]
	s_trap 2
.LBB14_676:                             ;   in Loop: Header=BB14_47 Depth=1
	s_or_b64 exec, exec, s[60:61]
	s_trap 2
	ds_read_b64 v[4:5], v0
	v_lshl_add_u64 v[38:39], v[38:39], 0, v[52:53]
	s_waitcnt lgkmcnt(0)
	v_cmp_lt_u64_e32 vcc, v[4:5], v[38:39]
	s_and_saveexec_b64 s[60:61], vcc
	s_cbranch_execz .LBB14_697
; %bb.677:                              ;   in Loop: Header=BB14_47 Depth=1
	s_mov_b32 s95, 0
	s_mov_b64 s[62:63], 0
                                        ; implicit-def: $sgpr64_sgpr65
                                        ; implicit-def: $sgpr66_sgpr67
	s_branch .LBB14_679
.LBB14_678:                             ;   in Loop: Header=BB14_679 Depth=2
	s_or_b64 exec, exec, s[70:71]
	s_and_b64 vcc, exec, vcc
	s_or_b64 s[62:63], vcc, s[62:63]
	s_andn2_b64 vcc, s[64:65], exec
	s_and_b64 s[64:65], s[66:67], exec
	s_or_b64 s[64:65], vcc, s[64:65]
	s_andn2_b64 exec, exec, s[62:63]
	s_cbranch_execz .LBB14_695
.LBB14_679:                             ;   Parent Loop BB14_47 Depth=1
                                        ; =>  This Inner Loop Header: Depth=2
	s_add_i32 s95, s95, 1
	s_cmpk_lg_i32 s95, 0x2710
	s_cselect_b64 s[68:69], -1, 0
	s_and_b64 vcc, exec, s[68:69]
                                        ; implicit-def: $sgpr70_sgpr71
	s_cbranch_vccnz .LBB14_681
; %bb.680:                              ;   in Loop: Header=BB14_679 Depth=2
	s_trap 2
	ds_read_b64 v[4:5], v0
	s_andn2_b64 s[68:69], s[68:69], exec
	s_mov_b32 s95, 0
	s_mov_b64 s[70:71], -1
	s_waitcnt vmcnt(0) lgkmcnt(0)
	flat_load_dword v1, v[4:5] sc0 sc1
	s_waitcnt vmcnt(0) lgkmcnt(0)
	buffer_inv sc0 sc1
	v_cmp_eq_u32_e32 vcc, 0, v1
	s_and_b64 vcc, vcc, exec
	s_or_b64 s[68:69], s[68:69], vcc
.LBB14_681:                             ;   in Loop: Header=BB14_679 Depth=2
	s_andn2_b64 s[66:67], s[66:67], exec
	s_and_b64 s[70:71], s[70:71], exec
	s_mov_b64 vcc, -1
	s_or_b64 s[66:67], s[66:67], s[70:71]
	s_and_saveexec_b64 s[70:71], s[68:69]
	s_cbranch_execz .LBB14_678
; %bb.682:                              ;   in Loop: Header=BB14_679 Depth=2
	s_sleep 1
	s_trap 2
	ds_read_b64 v[4:5], v0
	s_andn2_b64 s[66:67], s[66:67], exec
	s_waitcnt lgkmcnt(0)
	v_cmp_ge_u64_e32 vcc, v[4:5], v[38:39]
	s_orn2_b64 vcc, vcc, exec
	s_branch .LBB14_678
.LBB14_683:                             ;   in Loop: Header=BB14_47 Depth=1
	s_or_b64 exec, exec, s[58:59]
	s_and_saveexec_b64 vcc, s[60:61]
	s_xor_b64 vcc, exec, vcc
	s_cbranch_execz .LBB14_685
; %bb.684:                              ;   in Loop: Header=BB14_47 Depth=1
	ds_write_b32 v0, v17
	s_trap 2
.LBB14_685:                             ;   in Loop: Header=BB14_47 Depth=1
	s_or_b64 exec, exec, s[56:57]
	;;#ASMSTART
	s_wakeup
	;;#ASMEND
.LBB14_686:                             ;   in Loop: Header=BB14_47 Depth=1
	s_or_b64 exec, exec, s[54:55]
.LBB14_687:                             ;   in Loop: Header=BB14_47 Depth=1
	s_andn2_saveexec_b64 vcc, s[30:31]
	s_cbranch_execz .LBB14_689
; %bb.688:                              ;   in Loop: Header=BB14_47 Depth=1
	;;#ASMSTART
	s_waitcnt lgkmcnt(0) vmcnt(0)
	;;#ASMEND
	s_barrier
.LBB14_689:                             ;   in Loop: Header=BB14_47 Depth=1
	s_or_b64 exec, exec, vcc
	v_and_b32_e32 v1, 16, v0
.LBB14_690:                             ;   in Loop: Header=BB14_47 Depth=1
	s_or_b64 exec, exec, s[26:27]
	v_cmp_ne_u32_e32 vcc, 0, v1
	s_xor_b64 s[26:27], s[10:11], -1
	s_and_b64 vcc, vcc, s[26:27]
	s_and_saveexec_b64 s[26:27], vcc
	s_cbranch_execz .LBB14_692
; %bb.691:                              ;   in Loop: Header=BB14_47 Depth=1
	flat_store_dword v[50:51], v17 sc0 sc1
.LBB14_692:                             ;   in Loop: Header=BB14_47 Depth=1
	s_or_b64 exec, exec, s[26:27]
	v_and_b32_e32 v1, 48, v0
	v_cmp_ne_u32_e32 vcc, 0, v1
	s_and_saveexec_b64 s[26:27], vcc
	s_cbranch_execz .LBB14_694
; %bb.693:                              ;   in Loop: Header=BB14_47 Depth=1
	v_lshl_add_u64 v[54:55], v[54:55], 0, 4
	flat_store_dwordx2 v[42:43], v[54:55] sc0 sc1
.LBB14_694:                             ;   in Loop: Header=BB14_47 Depth=1
	s_or_b64 exec, exec, s[26:27]
	s_or_b64 exec, exec, s[28:29]
	s_and_b64 vcc, exec, s[24:25]
	v_accvgpr_write_b32 a44, v44
	s_cbranch_vccnz .LBB14_978
	s_branch .LBB14_727
.LBB14_695:                             ;   in Loop: Header=BB14_47 Depth=1
	s_or_b64 exec, exec, s[62:63]
	s_and_saveexec_b64 vcc, s[64:65]
	s_xor_b64 vcc, exec, vcc
	s_cbranch_execz .LBB14_697
; %bb.696:                              ;   in Loop: Header=BB14_47 Depth=1
	ds_write_b32 v0, v17
	s_trap 2
.LBB14_697:                             ;   in Loop: Header=BB14_47 Depth=1
	s_or_b64 exec, exec, s[60:61]
	;;#ASMSTART
	s_wakeup
	;;#ASMEND
.LBB14_698:                             ;   in Loop: Header=BB14_47 Depth=1
	s_or_b64 exec, exec, s[58:59]
.LBB14_699:                             ;   in Loop: Header=BB14_47 Depth=1
	s_andn2_saveexec_b64 vcc, s[30:31]
	s_cbranch_execz .LBB14_701
; %bb.700:                              ;   in Loop: Header=BB14_47 Depth=1
	s_waitcnt lgkmcnt(0)
	s_barrier
.LBB14_701:                             ;   in Loop: Header=BB14_47 Depth=1
	s_or_b64 exec, exec, vcc
	s_or_b64 exec, exec, s[28:29]
                                        ; implicit-def: $vgpr1
	s_and_saveexec_b64 s[28:29], s[22:23]
	s_xor_b64 s[28:29], exec, s[28:29]
	s_cbranch_execnz .LBB14_613
.LBB14_702:                             ;   in Loop: Header=BB14_47 Depth=1
	s_andn2_saveexec_b64 s[26:27], s[28:29]
	s_cbranch_execz .LBB14_721
.LBB14_703:                             ;   in Loop: Header=BB14_47 Depth=1
	s_and_saveexec_b64 s[28:29], s[40:41]
	s_xor_b64 s[28:29], exec, s[28:29]
	s_cbranch_execz .LBB14_718
; %bb.704:                              ;   in Loop: Header=BB14_47 Depth=1
	s_and_saveexec_b64 s[30:31], s[14:15]
	s_cbranch_execz .LBB14_717
; %bb.705:                              ;   in Loop: Header=BB14_47 Depth=1
	s_mov_b64 s[60:61], exec
	v_mbcnt_lo_u32_b32 v1, s60, 0
	v_mbcnt_hi_u32_b32 v1, s61, v1
	v_cmp_eq_u32_e32 vcc, 0, v1
	;;#ASMSTART
	s_waitcnt lgkmcnt(0) vmcnt(0)
	;;#ASMEND
	s_and_saveexec_b64 s[58:59], vcc
	s_cbranch_execz .LBB14_707
; %bb.706:                              ;   in Loop: Header=BB14_47 Depth=1
	s_bcnt1_i32_b64 vcc_lo, s[60:61]
	v_mov_b32_e32 v2, vcc_lo
	ds_add_u64 v0, v[2:3]
	s_trap 2
.LBB14_707:                             ;   in Loop: Header=BB14_47 Depth=1
	s_or_b64 exec, exec, s[58:59]
	s_trap 2
	ds_read_b64 v[4:5], v0
	v_lshl_add_u64 v[38:39], v[38:39], 0, v[52:53]
	s_waitcnt lgkmcnt(0)
	v_cmp_lt_u64_e32 vcc, v[4:5], v[38:39]
	s_and_saveexec_b64 s[58:59], vcc
	s_cbranch_execz .LBB14_716
; %bb.708:                              ;   in Loop: Header=BB14_47 Depth=1
	s_mov_b32 s70, 0
	s_mov_b64 s[60:61], 0
                                        ; implicit-def: $sgpr62_sgpr63
                                        ; implicit-def: $sgpr64_sgpr65
	s_branch .LBB14_710
.LBB14_709:                             ;   in Loop: Header=BB14_710 Depth=2
	s_or_b64 exec, exec, s[68:69]
	s_and_b64 vcc, exec, vcc
	s_or_b64 s[60:61], vcc, s[60:61]
	s_andn2_b64 vcc, s[62:63], exec
	s_and_b64 s[62:63], s[64:65], exec
	s_or_b64 s[62:63], vcc, s[62:63]
	s_andn2_b64 exec, exec, s[60:61]
	s_cbranch_execz .LBB14_714
.LBB14_710:                             ;   Parent Loop BB14_47 Depth=1
                                        ; =>  This Inner Loop Header: Depth=2
	s_add_i32 s70, s70, 1
	s_cmpk_lg_i32 s70, 0x2710
	s_cselect_b64 s[66:67], -1, 0
	s_and_b64 vcc, exec, s[66:67]
                                        ; implicit-def: $sgpr68_sgpr69
	s_cbranch_vccnz .LBB14_712
; %bb.711:                              ;   in Loop: Header=BB14_710 Depth=2
	s_trap 2
	ds_read_b64 v[4:5], v0
	s_andn2_b64 s[66:67], s[66:67], exec
	s_mov_b32 s70, 0
	s_mov_b64 s[68:69], -1
	s_waitcnt vmcnt(0) lgkmcnt(0)
	flat_load_dword v1, v[4:5] sc0 sc1
	s_waitcnt vmcnt(0) lgkmcnt(0)
	buffer_inv sc0 sc1
	v_cmp_eq_u32_e32 vcc, 0, v1
	s_and_b64 vcc, vcc, exec
	s_or_b64 s[66:67], s[66:67], vcc
.LBB14_712:                             ;   in Loop: Header=BB14_710 Depth=2
	s_andn2_b64 s[64:65], s[64:65], exec
	s_and_b64 s[68:69], s[68:69], exec
	s_mov_b64 vcc, -1
	s_or_b64 s[64:65], s[64:65], s[68:69]
	s_and_saveexec_b64 s[68:69], s[66:67]
	s_cbranch_execz .LBB14_709
; %bb.713:                              ;   in Loop: Header=BB14_710 Depth=2
	s_sleep 1
	s_trap 2
	ds_read_b64 v[4:5], v0
	s_andn2_b64 s[64:65], s[64:65], exec
	s_waitcnt lgkmcnt(0)
	v_cmp_ge_u64_e32 vcc, v[4:5], v[38:39]
	s_orn2_b64 vcc, vcc, exec
	s_branch .LBB14_709
.LBB14_714:                             ;   in Loop: Header=BB14_47 Depth=1
	s_or_b64 exec, exec, s[60:61]
	s_and_saveexec_b64 vcc, s[62:63]
	s_xor_b64 vcc, exec, vcc
	s_cbranch_execz .LBB14_716
; %bb.715:                              ;   in Loop: Header=BB14_47 Depth=1
	ds_write_b32 v0, v17
	s_trap 2
.LBB14_716:                             ;   in Loop: Header=BB14_47 Depth=1
	s_or_b64 exec, exec, s[58:59]
	;;#ASMSTART
	s_wakeup
	;;#ASMEND
.LBB14_717:                             ;   in Loop: Header=BB14_47 Depth=1
	s_or_b64 exec, exec, s[30:31]
.LBB14_718:                             ;   in Loop: Header=BB14_47 Depth=1
	s_andn2_saveexec_b64 s[28:29], s[28:29]
	s_cbranch_execz .LBB14_720
; %bb.719:                              ;   in Loop: Header=BB14_47 Depth=1
	;;#ASMSTART
	s_waitcnt lgkmcnt(0) vmcnt(0)
	;;#ASMEND
	s_barrier
.LBB14_720:                             ;   in Loop: Header=BB14_47 Depth=1
	s_or_b64 exec, exec, s[28:29]
	v_and_b32_e32 v1, 16, v0
.LBB14_721:                             ;   in Loop: Header=BB14_47 Depth=1
	s_or_b64 exec, exec, s[26:27]
	v_cmp_ne_u32_e32 vcc, 0, v1
	s_xor_b64 s[26:27], s[10:11], -1
	s_and_b64 s[28:29], vcc, s[26:27]
	s_and_saveexec_b64 s[26:27], s[28:29]
	s_cbranch_execz .LBB14_723
; %bb.722:                              ;   in Loop: Header=BB14_47 Depth=1
	flat_store_dword v[50:51], v17 sc0 sc1
.LBB14_723:                             ;   in Loop: Header=BB14_47 Depth=1
	s_or_b64 exec, exec, s[26:27]
	v_and_b32_e32 v1, 48, v0
	v_cmp_ne_u32_e32 vcc, 0, v1
	s_and_saveexec_b64 s[26:27], vcc
	s_cbranch_execz .LBB14_725
; %bb.724:                              ;   in Loop: Header=BB14_47 Depth=1
	v_lshl_add_u64 v[54:55], v[54:55], 0, 4
	flat_store_dwordx2 v[42:43], v[54:55] sc0 sc1
.LBB14_725:                             ;   in Loop: Header=BB14_47 Depth=1
	s_or_b64 exec, exec, s[26:27]
	v_mov_b32_e32 v1, v10
	s_or_b64 exec, exec, s[56:57]
	s_and_saveexec_b64 s[28:29], s[54:55]
	s_cbranch_execnz .LBB14_485
.LBB14_726:                             ;   in Loop: Header=BB14_47 Depth=1
	s_or_b64 exec, exec, s[28:29]
	s_and_b64 vcc, exec, s[24:25]
	v_accvgpr_write_b32 a44, v44
	s_cbranch_vccnz .LBB14_978
.LBB14_727:                             ;   in Loop: Header=BB14_47 Depth=1
	s_mov_b32 s70, 1
.LBB14_728:                             ;   Parent Loop BB14_47 Depth=1
                                        ; =>  This Loop Header: Depth=2
                                        ;       Child Loop BB14_737 Depth 3
                                        ;       Child Loop BB14_763 Depth 3
	;; [unrolled: 1-line block ×9, first 2 shown]
                                        ;         Child Loop BB14_815 Depth 4
                                        ;       Child Loop BB14_824 Depth 3
                                        ;       Child Loop BB14_829 Depth 3
                                        ;         Child Loop BB14_830 Depth 4
                                        ;       Child Loop BB14_869 Depth 3
                                        ;       Child Loop BB14_888 Depth 3
	;; [unrolled: 1-line block ×5, first 2 shown]
	s_sub_i32 s24, s76, s70
	s_cmp_le_i32 s72, s24
	s_cselect_b32 s25, s72, 0
	s_sub_i32 s24, s24, s25
	s_ashr_i32 s25, s24, 31
	v_mul_lo_u32 v1, v46, s25
	v_mul_lo_u32 v2, v47, s24
	v_mad_u64_u32 v[4:5], s[24:25], v46, s24, 0
	v_add3_u32 v5, v5, v1, v2
	v_sub_co_u32_e32 v6, vcc, v20, v4
	s_nop 1
	v_subb_co_u32_e32 v7, vcc, v21, v5, vcc
	v_cmp_lt_i64_e32 vcc, v[46:47], v[6:7]
	s_nop 1
	v_cndmask_b32_e32 v1, v6, v46, vcc
	v_max_i32_e32 v44, 0, v1
	v_add_u32_e32 v2, 15, v44
	v_ashrrev_i32_e32 v6, 31, v2
	v_lshrrev_b32_e32 v6, 28, v6
	v_add_u32_e32 v2, v2, v6
	v_cmp_gt_i32_e32 vcc, 1, v1
	v_and_b32_e32 v2, -16, v2
	s_or_b64 s[30:31], s[2:3], vcc
	v_max_i32_e32 v12, s79, v2
	s_xor_b64 s[24:25], s[30:31], -1
	v_mov_b32_e32 v1, 0
	s_and_saveexec_b64 s[54:55], s[24:25]
	s_cbranch_execz .LBB14_904
; %bb.729:                              ;   in Loop: Header=BB14_728 Depth=2
	s_and_saveexec_b64 s[24:25], s[0:1]
	s_cbranch_execz .LBB14_731
; %bb.730:                              ;   in Loop: Header=BB14_728 Depth=2
	s_trap 2
	ds_read_b128 v[6:9], v0
	v_accvgpr_read_b32 v10, a48
	v_accvgpr_read_b32 v11, a49
	v_lshl_add_u64 v[4:5], v[4:5], 0, v[10:11]
	v_lshlrev_b64 v[4:5], 1, v[4:5]
	s_waitcnt lgkmcnt(0)
	v_lshl_add_u64 v[6:7], v[6:7], 0, v[4:5]
	v_lshl_add_u64 v[4:5], v[8:9], 0, v[4:5]
	v_cmp_ne_u64_e32 vcc, 0, v[8:9]
	ds_write_b64 v0, v[6:7]
	s_nop 0
	v_cndmask_b32_e32 v5, 0, v5, vcc
	v_cndmask_b32_e32 v4, 0, v4, vcc
	ds_write_b64 v0, v[4:5]
.LBB14_731:                             ;   in Loop: Header=BB14_728 Depth=2
	s_or_b64 exec, exec, s[24:25]
	v_and_b32_e32 v1, 12, v0
	v_cmp_ne_u32_e32 vcc, 0, v1
	s_mov_b64 s[26:27], -1
	s_and_saveexec_b64 s[24:25], vcc
	s_cbranch_execz .LBB14_743
; %bb.732:                              ;   in Loop: Header=BB14_728 Depth=2
	v_and_b32_e32 v2, 8, v0
	v_lshl_add_u64 v[6:7], v[56:57], 0, v[2:3]
	v_lshl_add_u64 v[4:5], v[54:55], 0, 4
	v_cmp_lt_u64_e32 vcc, v[6:7], v[4:5]
	v_mov_b32_e32 v1, 1
	s_and_saveexec_b64 s[26:27], vcc
	s_cbranch_execz .LBB14_742
; %bb.733:                              ;   in Loop: Header=BB14_728 Depth=2
	s_mov_b64 s[28:29], 0
	v_mov_b32_e32 v1, 0
                                        ; implicit-def: $sgpr56_sgpr57
	s_branch .LBB14_737
.LBB14_734:                             ;   in Loop: Header=BB14_737 Depth=3
	s_or_b64 exec, exec, s[64:65]
	v_mov_b32_e32 v6, 0
	s_orn2_b64 s[62:63], s[62:63], exec
.LBB14_735:                             ;   in Loop: Header=BB14_737 Depth=3
	s_or_b64 exec, exec, s[60:61]
	s_andn2_b64 vcc, s[56:57], exec
	s_and_b64 s[56:57], s[62:63], exec
	s_or_b64 s[56:57], vcc, s[56:57]
	v_mov_b32_e32 v1, v6
.LBB14_736:                             ;   in Loop: Header=BB14_737 Depth=3
	s_or_b64 exec, exec, s[58:59]
	s_waitcnt vmcnt(0) lgkmcnt(0)
	v_lshl_add_u64 v[6:7], v[56:57], 0, v[2:3]
	v_cmp_ge_u64_e32 vcc, v[6:7], v[4:5]
	s_xor_b64 s[58:59], s[56:57], -1
	s_or_b64 vcc, s[58:59], vcc
	s_and_b64 vcc, exec, vcc
	s_or_b64 s[28:29], vcc, s[28:29]
	s_andn2_b64 exec, exec, s[28:29]
	s_cbranch_execz .LBB14_741
.LBB14_737:                             ;   Parent Loop BB14_47 Depth=1
                                        ;     Parent Loop BB14_728 Depth=2
                                        ; =>    This Inner Loop Header: Depth=3
	s_sleep 1
	flat_load_dwordx2 v[56:57], v[42:43] sc0 sc1
	v_and_b32_e32 v6, 64, v0
	v_cmp_eq_u32_e32 vcc, 0, v6
	s_andn2_b64 s[56:57], s[56:57], exec
	s_and_saveexec_b64 s[58:59], vcc
	s_cbranch_execz .LBB14_736
; %bb.738:                              ;   in Loop: Header=BB14_737 Depth=3
	v_add_u32_e32 v6, 1, v1
	v_cmp_lt_i32_e32 vcc, s83, v1
	s_mov_b64 s[62:63], -1
	s_and_saveexec_b64 s[60:61], vcc
	s_cbranch_execz .LBB14_735
; %bb.739:                              ;   in Loop: Header=BB14_737 Depth=3
	s_trap 2
	ds_read_b64 v[6:7], v0
	s_waitcnt vmcnt(0) lgkmcnt(0)
	flat_load_dword v1, v[6:7] sc0 sc1
	s_waitcnt vmcnt(0) lgkmcnt(0)
	buffer_inv sc0 sc1
	v_cmp_ne_u32_e32 vcc, 0, v1
	s_and_saveexec_b64 s[64:65], vcc
	s_cbranch_execz .LBB14_734
; %bb.740:                              ;   in Loop: Header=BB14_737 Depth=3
	v_or_b32_e32 v0, 64, v0
	s_xor_b64 s[62:63], exec, -1
	ds_write_b32 v0, v1
	s_trap 2
	s_branch .LBB14_734
.LBB14_741:                             ;   in Loop: Header=BB14_728 Depth=2
	s_or_b64 exec, exec, s[28:29]
	v_and_b32_e32 v1, 12, v0
.LBB14_742:                             ;   in Loop: Header=BB14_728 Depth=2
	s_or_b64 exec, exec, s[26:27]
	v_cmp_eq_u32_e32 vcc, 0, v1
	s_orn2_b64 s[26:27], vcc, exec
	;;#ASMSTART
	s_wakeup
	;;#ASMEND
.LBB14_743:                             ;   in Loop: Header=BB14_728 Depth=2
	s_or_b64 exec, exec, s[24:25]
	s_xor_b64 s[24:25], s[26:27], -1
	v_min_i32_e32 v12, v12, v44
	s_and_saveexec_b64 s[26:27], s[24:25]
	s_cbranch_execz .LBB14_755
; %bb.744:                              ;   in Loop: Header=BB14_728 Depth=2
	v_and_b32_e32 v1, 0x108, v0
	v_cmp_ne_u32_e32 vcc, s84, v1
	v_and_b32_e32 v2, 7, v54
	s_and_saveexec_b64 s[24:25], vcc
	s_xor_b64 s[24:25], exec, s[24:25]
	s_andn2_saveexec_b64 s[24:25], s[24:25]
	s_cbranch_execz .LBB14_746
; %bb.745:                              ;   in Loop: Header=BB14_728 Depth=2
	v_ashrrev_i32_e32 v13, 31, v12
	v_mad_u64_u32 v[4:5], s[28:29], v2, 24, v[36:37]
	v_lshlrev_b64 v[6:7], 1, v[12:13]
	flat_store_dwordx2 v[4:5], v[6:7] offset:8
.LBB14_746:                             ;   in Loop: Header=BB14_728 Depth=2
	s_or_b64 exec, exec, s[24:25]
	v_and_b32_e32 v1, 0x100, v0
	v_cmp_ne_u32_e32 vcc, 0, v1
	s_mov_b64 s[24:25], -1
                                        ; implicit-def: $vgpr4_vgpr5
	s_and_saveexec_b64 s[28:29], vcc
	s_cbranch_execz .LBB14_750
; %bb.747:                              ;   in Loop: Header=BB14_728 Depth=2
	v_mad_u64_u32 v[6:7], s[24:25], v2, 24, v[36:37]
	v_mov_b32_e32 v4, v7
	v_mad_u64_u32 v[4:5], s[24:25], v3, 24, v[4:5]
	v_mov_b32_e32 v7, v4
	flat_load_dword v1, v[6:7]
                                        ; implicit-def: $vgpr4_vgpr5
	s_waitcnt vmcnt(0) lgkmcnt(0)
	v_cmp_ne_u32_e32 vcc, 1, v1
	v_cmp_eq_u32_e64 s[24:25], 1, v1
	s_and_saveexec_b64 s[56:57], s[24:25]
	s_cbranch_execz .LBB14_749
; %bb.748:                              ;   in Loop: Header=BB14_728 Depth=2
	flat_load_dword v4, v[6:7] offset:4 sc0 sc1
	s_waitcnt vmcnt(0) lgkmcnt(0)
	v_ashrrev_i32_e32 v5, 31, v4
	v_lshrrev_b64 v[4:5], 1, v[4:5]
.LBB14_749:                             ;   in Loop: Header=BB14_728 Depth=2
	s_or_b64 exec, exec, s[56:57]
	s_orn2_b64 s[24:25], vcc, exec
.LBB14_750:                             ;   in Loop: Header=BB14_728 Depth=2
	s_or_b64 exec, exec, s[28:29]
	s_and_saveexec_b64 s[28:29], s[24:25]
; %bb.751:                              ;   in Loop: Header=BB14_728 Depth=2
	v_mul_lo_u32 v1, v3, v40
	v_mul_lo_u32 v6, v2, v33
	v_mad_u64_u32 v[4:5], s[24:25], v2, v40, 0
	v_add3_u32 v5, v5, v6, v1
; %bb.752:                              ;   in Loop: Header=BB14_728 Depth=2
	s_or_b64 exec, exec, s[28:29]
	v_and_b32_e32 v1, 0x2000, v0
	v_lshl_add_u64 v[4:5], v[4:5], 1, v[48:49]
	v_cmp_ne_u32_e32 vcc, 0, v1
	s_trap 2
	ds_write_b64 v0, v[4:5]
	s_and_saveexec_b64 s[24:25], vcc
	s_cbranch_execz .LBB14_754
; %bb.753:                              ;   in Loop: Header=BB14_728 Depth=2
	ds_read_b64 v[4:5], v0 offset:584
	s_waitcnt lgkmcnt(0)
	v_lshl_add_u64 v[4:5], v[4:5], 0, 1
	ds_write_b64 v0, v[4:5] offset:584
.LBB14_754:                             ;   in Loop: Header=BB14_728 Depth=2
	s_or_b64 exec, exec, s[24:25]
	v_lshl_add_u64 v[54:55], v[54:55], 0, 4
.LBB14_755:                             ;   in Loop: Header=BB14_728 Depth=2
	s_or_b64 exec, exec, s[26:27]
	s_and_saveexec_b64 s[24:25], s[6:7]
	s_cbranch_execz .LBB14_774
; %bb.756:                              ;   in Loop: Header=BB14_728 Depth=2
	s_and_saveexec_b64 s[26:27], s[40:41]
	s_xor_b64 s[26:27], exec, s[26:27]
	s_cbranch_execz .LBB14_771
; %bb.757:                              ;   in Loop: Header=BB14_728 Depth=2
	s_and_saveexec_b64 s[28:29], s[14:15]
	s_cbranch_execz .LBB14_770
; %bb.758:                              ;   in Loop: Header=BB14_728 Depth=2
	s_mov_b64 s[58:59], exec
	v_mbcnt_lo_u32_b32 v1, s58, 0
	v_mbcnt_hi_u32_b32 v1, s59, v1
	v_cmp_eq_u32_e32 vcc, 0, v1
	s_waitcnt lgkmcnt(0)
	s_and_saveexec_b64 s[56:57], vcc
	s_cbranch_execz .LBB14_760
; %bb.759:                              ;   in Loop: Header=BB14_728 Depth=2
	s_bcnt1_i32_b64 vcc_lo, s[58:59]
	v_mov_b32_e32 v2, vcc_lo
	ds_add_u64 v0, v[2:3]
	s_trap 2
.LBB14_760:                             ;   in Loop: Header=BB14_728 Depth=2
	s_or_b64 exec, exec, s[56:57]
	s_trap 2
	ds_read_b64 v[4:5], v0
	v_lshl_add_u64 v[38:39], v[38:39], 0, v[52:53]
	s_waitcnt lgkmcnt(0)
	v_cmp_lt_u64_e32 vcc, v[4:5], v[38:39]
	s_and_saveexec_b64 s[56:57], vcc
	s_cbranch_execz .LBB14_769
; %bb.761:                              ;   in Loop: Header=BB14_728 Depth=2
	s_mov_b32 s68, 0
	s_mov_b64 s[58:59], 0
                                        ; implicit-def: $sgpr60_sgpr61
                                        ; implicit-def: $sgpr62_sgpr63
	s_branch .LBB14_763
.LBB14_762:                             ;   in Loop: Header=BB14_763 Depth=3
	s_or_b64 exec, exec, s[66:67]
	s_and_b64 vcc, exec, vcc
	s_or_b64 s[58:59], vcc, s[58:59]
	s_andn2_b64 vcc, s[60:61], exec
	s_and_b64 s[60:61], s[62:63], exec
	s_or_b64 s[60:61], vcc, s[60:61]
	s_andn2_b64 exec, exec, s[58:59]
	s_cbranch_execz .LBB14_767
.LBB14_763:                             ;   Parent Loop BB14_47 Depth=1
                                        ;     Parent Loop BB14_728 Depth=2
                                        ; =>    This Inner Loop Header: Depth=3
	s_add_i32 s68, s68, 1
	s_cmpk_lg_i32 s68, 0x2710
	s_cselect_b64 s[64:65], -1, 0
	s_and_b64 vcc, exec, s[64:65]
                                        ; implicit-def: $sgpr66_sgpr67
	s_cbranch_vccnz .LBB14_765
; %bb.764:                              ;   in Loop: Header=BB14_763 Depth=3
	s_trap 2
	ds_read_b64 v[4:5], v0
	s_andn2_b64 s[64:65], s[64:65], exec
	s_mov_b32 s68, 0
	s_mov_b64 s[66:67], -1
	s_waitcnt vmcnt(0) lgkmcnt(0)
	flat_load_dword v1, v[4:5] sc0 sc1
	s_waitcnt vmcnt(0) lgkmcnt(0)
	buffer_inv sc0 sc1
	v_cmp_eq_u32_e32 vcc, 0, v1
	s_and_b64 vcc, vcc, exec
	s_or_b64 s[64:65], s[64:65], vcc
.LBB14_765:                             ;   in Loop: Header=BB14_763 Depth=3
	s_andn2_b64 s[62:63], s[62:63], exec
	s_and_b64 s[66:67], s[66:67], exec
	s_mov_b64 vcc, -1
	s_or_b64 s[62:63], s[62:63], s[66:67]
	s_and_saveexec_b64 s[66:67], s[64:65]
	s_cbranch_execz .LBB14_762
; %bb.766:                              ;   in Loop: Header=BB14_763 Depth=3
	s_sleep 1
	s_trap 2
	ds_read_b64 v[4:5], v0
	s_andn2_b64 s[62:63], s[62:63], exec
	s_waitcnt lgkmcnt(0)
	v_cmp_ge_u64_e32 vcc, v[4:5], v[38:39]
	s_orn2_b64 vcc, vcc, exec
	s_branch .LBB14_762
.LBB14_767:                             ;   in Loop: Header=BB14_728 Depth=2
	s_or_b64 exec, exec, s[58:59]
	s_and_saveexec_b64 vcc, s[60:61]
	s_xor_b64 vcc, exec, vcc
	s_cbranch_execz .LBB14_769
; %bb.768:                              ;   in Loop: Header=BB14_728 Depth=2
	ds_write_b32 v0, v17
	s_trap 2
.LBB14_769:                             ;   in Loop: Header=BB14_728 Depth=2
	s_or_b64 exec, exec, s[56:57]
	;;#ASMSTART
	s_wakeup
	;;#ASMEND
.LBB14_770:                             ;   in Loop: Header=BB14_728 Depth=2
	s_or_b64 exec, exec, s[28:29]
.LBB14_771:                             ;   in Loop: Header=BB14_728 Depth=2
	s_andn2_saveexec_b64 s[26:27], s[26:27]
	s_cbranch_execz .LBB14_773
; %bb.772:                              ;   in Loop: Header=BB14_728 Depth=2
	s_waitcnt lgkmcnt(0)
	s_barrier
.LBB14_773:                             ;   in Loop: Header=BB14_728 Depth=2
	s_or_b64 exec, exec, s[26:27]
.LBB14_774:                             ;   in Loop: Header=BB14_728 Depth=2
	s_or_b64 exec, exec, s[24:25]
	s_trap 2
	ds_read_b32 v1, v0
	v_and_b32_e32 v2, 0x4000, v0
	v_cmp_ne_u32_e32 vcc, 0, v2
	s_xor_b64 s[24:25], s[4:5], -1
	s_and_b64 s[26:27], s[24:25], vcc
	s_and_saveexec_b64 s[24:25], s[26:27]
	s_cbranch_execz .LBB14_793
; %bb.775:                              ;   in Loop: Header=BB14_728 Depth=2
	s_and_saveexec_b64 s[26:27], s[40:41]
	s_xor_b64 s[26:27], exec, s[26:27]
	s_cbranch_execz .LBB14_790
; %bb.776:                              ;   in Loop: Header=BB14_728 Depth=2
	s_and_saveexec_b64 s[28:29], s[14:15]
	s_cbranch_execz .LBB14_789
; %bb.777:                              ;   in Loop: Header=BB14_728 Depth=2
	s_mov_b64 s[58:59], exec
	v_mbcnt_lo_u32_b32 v2, s58, 0
	v_mbcnt_hi_u32_b32 v2, s59, v2
	v_cmp_eq_u32_e32 vcc, 0, v2
	s_waitcnt lgkmcnt(0)
	s_and_saveexec_b64 s[56:57], vcc
	s_cbranch_execz .LBB14_779
; %bb.778:                              ;   in Loop: Header=BB14_728 Depth=2
	s_bcnt1_i32_b64 vcc_lo, s[58:59]
	v_mov_b32_e32 v2, vcc_lo
	ds_add_u64 v0, v[2:3]
	s_trap 2
.LBB14_779:                             ;   in Loop: Header=BB14_728 Depth=2
	s_or_b64 exec, exec, s[56:57]
	s_trap 2
	ds_read_b64 v[4:5], v0
	v_lshl_add_u64 v[38:39], v[38:39], 0, v[52:53]
	s_waitcnt lgkmcnt(0)
	v_cmp_lt_u64_e32 vcc, v[4:5], v[38:39]
	s_and_saveexec_b64 s[56:57], vcc
	s_cbranch_execz .LBB14_788
; %bb.780:                              ;   in Loop: Header=BB14_728 Depth=2
	s_mov_b32 s68, 0
	s_mov_b64 s[58:59], 0
                                        ; implicit-def: $sgpr60_sgpr61
                                        ; implicit-def: $sgpr62_sgpr63
	s_branch .LBB14_782
.LBB14_781:                             ;   in Loop: Header=BB14_782 Depth=3
	s_or_b64 exec, exec, s[66:67]
	s_and_b64 vcc, exec, vcc
	s_or_b64 s[58:59], vcc, s[58:59]
	s_andn2_b64 vcc, s[60:61], exec
	s_and_b64 s[60:61], s[62:63], exec
	s_or_b64 s[60:61], vcc, s[60:61]
	s_andn2_b64 exec, exec, s[58:59]
	s_cbranch_execz .LBB14_786
.LBB14_782:                             ;   Parent Loop BB14_47 Depth=1
                                        ;     Parent Loop BB14_728 Depth=2
                                        ; =>    This Inner Loop Header: Depth=3
	s_add_i32 s68, s68, 1
	s_cmpk_lg_i32 s68, 0x2710
	s_cselect_b64 s[64:65], -1, 0
	s_and_b64 vcc, exec, s[64:65]
                                        ; implicit-def: $sgpr66_sgpr67
	s_cbranch_vccnz .LBB14_784
; %bb.783:                              ;   in Loop: Header=BB14_782 Depth=3
	s_trap 2
	ds_read_b64 v[4:5], v0
	s_andn2_b64 s[64:65], s[64:65], exec
	s_mov_b32 s68, 0
	s_mov_b64 s[66:67], -1
	s_waitcnt vmcnt(0) lgkmcnt(0)
	flat_load_dword v2, v[4:5] sc0 sc1
	s_waitcnt vmcnt(0) lgkmcnt(0)
	buffer_inv sc0 sc1
	v_cmp_eq_u32_e32 vcc, 0, v2
	s_and_b64 vcc, vcc, exec
	s_or_b64 s[64:65], s[64:65], vcc
.LBB14_784:                             ;   in Loop: Header=BB14_782 Depth=3
	s_andn2_b64 s[62:63], s[62:63], exec
	s_and_b64 s[66:67], s[66:67], exec
	s_mov_b64 vcc, -1
	s_or_b64 s[62:63], s[62:63], s[66:67]
	s_and_saveexec_b64 s[66:67], s[64:65]
	s_cbranch_execz .LBB14_781
; %bb.785:                              ;   in Loop: Header=BB14_782 Depth=3
	s_sleep 1
	s_trap 2
	ds_read_b64 v[4:5], v0
	s_andn2_b64 s[62:63], s[62:63], exec
	s_waitcnt lgkmcnt(0)
	v_cmp_ge_u64_e32 vcc, v[4:5], v[38:39]
	s_orn2_b64 vcc, vcc, exec
	s_branch .LBB14_781
.LBB14_786:                             ;   in Loop: Header=BB14_728 Depth=2
	s_or_b64 exec, exec, s[58:59]
	s_and_saveexec_b64 vcc, s[60:61]
	s_xor_b64 vcc, exec, vcc
	s_cbranch_execz .LBB14_788
; %bb.787:                              ;   in Loop: Header=BB14_728 Depth=2
	ds_write_b32 v0, v17
	s_trap 2
.LBB14_788:                             ;   in Loop: Header=BB14_728 Depth=2
	s_or_b64 exec, exec, s[56:57]
	;;#ASMSTART
	s_wakeup
	;;#ASMEND
.LBB14_789:                             ;   in Loop: Header=BB14_728 Depth=2
	s_or_b64 exec, exec, s[28:29]
.LBB14_790:                             ;   in Loop: Header=BB14_728 Depth=2
	s_andn2_saveexec_b64 s[26:27], s[26:27]
	s_cbranch_execz .LBB14_792
; %bb.791:                              ;   in Loop: Header=BB14_728 Depth=2
	s_waitcnt lgkmcnt(0)
	s_barrier
.LBB14_792:                             ;   in Loop: Header=BB14_728 Depth=2
	s_or_b64 exec, exec, s[26:27]
.LBB14_793:                             ;   in Loop: Header=BB14_728 Depth=2
	s_or_b64 exec, exec, s[24:25]
	s_trap 2
	ds_read_b64 v[4:5], v0
	s_waitcnt lgkmcnt(0)
	v_readfirstlane_b32 s24, v4
	v_readfirstlane_b32 s25, v5
	s_cmp_eq_u64 s[24:25], 0
	s_cselect_b64 s[24:25], -1, 0
	s_or_b64 s[26:27], s[24:25], s[24:25]
	s_mov_b64 s[24:25], 0
	s_and_b64 vcc, exec, s[26:27]
	s_cbranch_vccnz .LBB14_801
; %bb.794:                              ;   in Loop: Header=BB14_728 Depth=2
	s_trap 2
	ds_read_b64 v[4:5], v0
	v_cmp_eq_u32_e32 vcc, 0, v1
	s_nop 1
	v_cndmask_b32_e32 v1, 0, v12, vcc
	s_waitcnt lgkmcnt(0)
	v_cmp_ne_u64_e32 vcc, 0, v[4:5]
	v_lshlrev_b32_e32 v2, 1, v1
	s_cbranch_vccz .LBB14_806
; %bb.795:                              ;   in Loop: Header=BB14_728 Depth=2
	s_mov_b64 s[26:27], -1
	s_and_saveexec_b64 s[24:25], s[18:19]
	s_cbranch_execz .LBB14_797
; %bb.796:                              ;   in Loop: Header=BB14_728 Depth=2
	ds_read_b32 v4, v0 offset:720
	s_waitcnt lgkmcnt(0)
	v_and_b32_e32 v4, 15, v4
	v_cmp_eq_u32_e32 vcc, 0, v4
	s_orn2_b64 s[26:27], vcc, exec
.LBB14_797:                             ;   in Loop: Header=BB14_728 Depth=2
	s_or_b64 exec, exec, s[24:25]
	s_and_saveexec_b64 s[24:25], s[20:21]
	s_cbranch_execz .LBB14_799
; %bb.798:                              ;   in Loop: Header=BB14_728 Depth=2
	ds_read_b32 v4, v0 offset:784
	s_waitcnt lgkmcnt(0)
	v_and_b32_e32 v4, 15, v4
	v_cmp_eq_u32_e32 vcc, 0, v4
	s_and_b64 s[28:29], s[26:27], vcc
	s_andn2_b64 s[26:27], s[26:27], exec
	s_and_b64 s[28:29], s[28:29], exec
	s_or_b64 s[26:27], s[26:27], s[28:29]
.LBB14_799:                             ;   in Loop: Header=BB14_728 Depth=2
	s_or_b64 exec, exec, s[24:25]
	s_xor_b64 s[26:27], s[26:27], -1
	v_cndmask_b32_e64 v4, 0, 1, s[26:27]
	;;#ASMSTART
	;;#ASMEND
	s_mov_b64 s[24:25], -1
	v_cmp_ne_u32_e32 vcc, 0, v4
	v_mov_b32_e32 v13, 0
	v_mov_b32_e32 v14, v2
	;; [unrolled: 1-line block ×4, first 2 shown]
	s_cbranch_vccz .LBB14_807
; %bb.800:                              ;   in Loop: Header=BB14_728 Depth=2
	s_and_saveexec_b64 s[28:29], s[24:25]
	s_cbranch_execnz .LBB14_822
	s_branch .LBB14_832
.LBB14_801:                             ;   in Loop: Header=BB14_728 Depth=2
	s_and_saveexec_b64 s[26:27], s[6:7]
	s_cbranch_execnz .LBB14_862
.LBB14_802:                             ;   in Loop: Header=BB14_728 Depth=2
	s_or_b64 exec, exec, s[26:27]
                                        ; implicit-def: $vgpr1
	s_and_saveexec_b64 s[26:27], s[22:23]
	s_xor_b64 s[26:27], exec, s[26:27]
	s_cbranch_execz .LBB14_880
.LBB14_803:                             ;   in Loop: Header=BB14_728 Depth=2
	v_and_b32_e32 v2, 16, v0
	v_cmp_ne_u32_e32 vcc, 0, v2
	v_and_b32_e32 v1, 16, v0
	s_and_b64 s[28:29], vcc, s[24:25]
	s_and_saveexec_b64 s[24:25], s[28:29]
	s_cbranch_execz .LBB14_805
; %bb.804:                              ;   in Loop: Header=BB14_728 Depth=2
	v_mov_b32_e32 v1, 1
	buffer_wbl2 sc1
	s_waitcnt vmcnt(0) lgkmcnt(0)
	buffer_inv sc1
.LBB14_805:                             ;   in Loop: Header=BB14_728 Depth=2
	s_or_b64 exec, exec, s[24:25]
	s_andn2_saveexec_b64 s[24:25], s[26:27]
	s_cbranch_execz .LBB14_899
	s_branch .LBB14_881
.LBB14_806:                             ;   in Loop: Header=BB14_728 Depth=2
	s_cbranch_execnz .LBB14_833
	s_branch .LBB14_861
.LBB14_807:                             ;   in Loop: Header=BB14_728 Depth=2
	v_ashrrev_i32_e32 v4, 31, v2
	v_lshrrev_b32_e32 v4, 20, v4
	v_add_u32_e32 v4, v2, v4
	v_ashrrev_i32_e32 v11, 12, v4
	v_sub_u32_e32 v10, v11, v41
	v_cmp_lt_i32_e32 vcc, 0, v10
	s_and_saveexec_b64 s[24:25], vcc
	s_cbranch_execz .LBB14_811
; %bb.808:                              ;   in Loop: Header=BB14_728 Depth=2
	s_trap 2
	ds_read_b64 v[4:5], v0
	ds_read_b128 v[6:9], v0
	scratch_load_dwordx2 v[58:59], off, s33 offset:136 ; 8-byte Folded Reload
	v_accvgpr_read_b32 v14, a40
	v_accvgpr_read_b32 v15, a41
	s_waitcnt lgkmcnt(0)
	v_lshl_add_u64 v[4:5], v[4:5], 0, v[14:15]
	v_lshl_add_u64 v[6:7], v[6:7], 0, v[14:15]
	;; [unrolled: 1-line block ×3, first 2 shown]
	s_mov_b64 s[26:27], 0
.LBB14_809:                             ;   Parent Loop BB14_47 Depth=1
                                        ;     Parent Loop BB14_728 Depth=2
                                        ; =>    This Inner Loop Header: Depth=3
	global_load_dwordx4 v[14:17], v[4:5], off nt
	global_load_dwordx4 v[18:21], v[4:5], off offset:1024 nt
	global_load_dwordx4 v[22:25], v[4:5], off offset:2048 nt
	;; [unrolled: 1-line block ×3, first 2 shown]
	v_sub_u32_e32 v10, v10, v52
	v_cmp_gt_i32_e32 vcc, 1, v10
	s_waitcnt vmcnt(0)
	v_lshl_add_u64 v[4:5], v[4:5], 0, v[58:59]
	s_or_b64 s[26:27], vcc, s[26:27]
	global_store_dwordx4 v[6:7], v[14:17], off nt
	global_store_dwordx4 v[6:7], v[18:21], off offset:1024 nt
	global_store_dwordx4 v[6:7], v[22:25], off offset:2048 nt
	;; [unrolled: 1-line block ×3, first 2 shown]
	global_store_dwordx4 v[8:9], v[14:17], off nt
	global_store_dwordx4 v[8:9], v[18:21], off offset:1024 nt
	global_store_dwordx4 v[8:9], v[22:25], off offset:2048 nt
	;; [unrolled: 1-line block ×3, first 2 shown]
	v_lshl_add_u64 v[6:7], v[6:7], 0, v[58:59]
	v_lshl_add_u64 v[8:9], v[8:9], 0, v[58:59]
	s_andn2_b64 exec, exec, s[26:27]
	s_cbranch_execnz .LBB14_809
; %bb.810:                              ;   in Loop: Header=BB14_728 Depth=2
	s_or_b64 exec, exec, s[26:27]
	scratch_load_dwordx2 v[22:23], off, s33 offset:144 ; 8-byte Folded Reload
	v_accvgpr_read_b32 v26, a30
	v_accvgpr_read_b32 v28, a34
	;; [unrolled: 1-line block ×8, first 2 shown]
.LBB14_811:                             ;   in Loop: Header=BB14_728 Depth=2
	s_or_b64 exec, exec, s[24:25]
	v_lshlrev_b32_e32 v17, 12, v11
	v_cmp_ne_u32_e32 vcc, v2, v17
	s_mov_b64 s[24:25], 0
	v_mov_b32_e32 v13, 0
                                        ; implicit-def: $vgpr14
                                        ; implicit-def: $vgpr15
                                        ; implicit-def: $vgpr4
	s_and_saveexec_b64 s[56:57], vcc
	s_cbranch_execz .LBB14_821
; %bb.812:                              ;   in Loop: Header=BB14_728 Depth=2
	v_lshlrev_b32_e32 v4, 6, v10
	v_accvgpr_read_b32 v6, a33
	v_sub_u32_e32 v4, v6, v4
	v_ashrrev_i32_e32 v6, 31, v4
	v_lshrrev_b32_e32 v6, 26, v6
	v_add_u32_e32 v6, v4, v6
	v_sub_u32_e32 v5, v2, v17
	v_ashrrev_i32_e32 v7, 6, v6
	v_and_b32_e32 v6, 0xffffffc0, v6
	v_sub_u32_e32 v18, v4, v6
	v_ashrrev_i32_e32 v6, 31, v5
	v_lshrrev_b32_e32 v6, 22, v6
	v_add_u32_e32 v6, v5, v6
	v_and_b32_e32 v19, 0xfffffc00, v6
	v_lshlrev_b32_e32 v4, 4, v18
	v_sub_u32_e32 v21, v5, v19
	v_lshl_add_u32 v4, v7, 10, v4
	v_ashrrev_i32_e32 v8, 10, v6
	v_cmp_lt_i32_e64 s[24:25], 15, v21
	v_sub_u32_e32 v13, v5, v4
	s_nop 0
	v_addc_co_u32_e64 v5, vcc, 0, v8, s[24:25]
	v_sub_u32_e32 v20, v5, v7
	v_cmp_lt_i32_e32 vcc, 15, v13
	s_and_saveexec_b64 s[58:59], vcc
	s_cbranch_execz .LBB14_818
; %bb.813:                              ;   in Loop: Header=BB14_728 Depth=2
	s_trap 2
	ds_read_b64 v[10:11], v0
	ds_read_b128 v[6:9], v0
	v_add_u32_e32 v14, v4, v17
	v_ashrrev_i32_e32 v15, 31, v14
	s_mov_b64 s[60:61], 0
	s_waitcnt lgkmcnt(0)
	v_lshl_add_u64 v[4:5], v[10:11], 0, v[14:15]
	v_lshl_add_u64 v[6:7], v[6:7], 0, v[14:15]
	;; [unrolled: 1-line block ×3, first 2 shown]
.LBB14_814:                             ;   Parent Loop BB14_47 Depth=1
                                        ;     Parent Loop BB14_728 Depth=2
                                        ; =>    This Loop Header: Depth=3
                                        ;         Child Loop BB14_815 Depth 4
	global_load_dwordx4 v[8:11], v[4:5], off nt
	s_mov_b64 s[64:65], -1
	s_mov_b64 s[62:63], 0
	s_waitcnt vmcnt(0)
.LBB14_815:                             ;   Parent Loop BB14_47 Depth=1
                                        ;     Parent Loop BB14_728 Depth=2
                                        ;       Parent Loop BB14_814 Depth=3
                                        ; =>      This Inner Loop Header: Depth=4
	s_cmp_eq_u32 s62, 0
	s_cselect_b64 s[26:27], -1, 0
	s_cmp_eq_u32 s62, 1
	s_cselect_b64 s[28:29], -1, 0
	v_cndmask_b32_e64 v16, 0, 1, s[64:65]
	v_cndmask_b32_e64 v23, v7, v15, s[28:29]
	;; [unrolled: 1-line block ×3, first 2 shown]
	v_cmp_ne_u32_e32 vcc, 1, v16
	global_store_dwordx4 v[22:23], v[8:11], off nt
	v_lshl_add_u64 v[22:23], v[22:23], 0, s[42:43]
	s_mov_b64 s[64:65], 0
	s_mov_b64 s[62:63], 1
	s_and_b64 vcc, exec, vcc
	v_cndmask_b32_e64 v15, v15, v23, s[28:29]
	v_cndmask_b32_e64 v14, v14, v22, s[28:29]
	v_cndmask_b32_e64 v7, v7, v23, s[26:27]
	v_cndmask_b32_e64 v6, v6, v22, s[26:27]
	s_cbranch_vccz .LBB14_815
; %bb.816:                              ;   in Loop: Header=BB14_814 Depth=3
	v_accvgpr_read_b32 v8, a28
	v_accvgpr_read_b32 v9, a29
	v_lshl_add_u64 v[6:7], v[6:7], 0, v[8:9]
	v_lshl_add_u64 v[14:15], v[14:15], 0, v[8:9]
	v_accvgpr_read_b32 v8, a44
	v_sub_u32_e32 v13, v13, v8
	v_cmp_gt_i32_e32 vcc, 16, v13
	v_lshl_add_u64 v[4:5], v[30:31], 0, v[4:5]
	s_or_b64 s[60:61], vcc, s[60:61]
	v_sub_u32_e32 v20, v20, v52
	s_andn2_b64 exec, exec, s[60:61]
	s_cbranch_execnz .LBB14_814
; %bb.817:                              ;   in Loop: Header=BB14_728 Depth=2
	s_or_b64 exec, exec, s[60:61]
	scratch_load_dwordx2 v[22:23], off, s33 offset:144 ; 8-byte Folded Reload
.LBB14_818:                             ;   in Loop: Header=BB14_728 Depth=2
	s_or_b64 exec, exec, s[58:59]
	v_and_b32_e32 v5, 14, v2
	v_cndmask_b32_e64 v14, v21, v5, s[24:25]
	v_cmp_ne_u32_e32 vcc, 0, v14
	s_mov_b64 s[26:27], 0
	v_mov_b32_e32 v13, 0
                                        ; implicit-def: $vgpr15
                                        ; implicit-def: $vgpr4
	s_and_saveexec_b64 s[28:29], vcc
	s_cbranch_execz .LBB14_820
; %bb.819:                              ;   in Loop: Header=BB14_728 Depth=2
	v_sub_u32_e32 v4, v21, v5
	v_cndmask_b32_e64 v4, 0, v4, s[24:25]
	v_cmp_lt_i32_e32 vcc, 0, v20
	v_add3_u32 v13, v19, v17, v4
	s_mov_b64 s[26:27], exec
	v_cndmask_b32_e32 v4, 0, v52, vcc
	v_sub_u32_e32 v4, v4, v20
	v_lshl_add_u32 v15, v4, 6, v18
	v_ashrrev_i32_e32 v4, 31, v15
	v_lshrrev_b32_e32 v4, 26, v4
	v_add_u32_e32 v4, v15, v4
	v_ashrrev_i32_e32 v4, 6, v4
.LBB14_820:                             ;   in Loop: Header=BB14_728 Depth=2
	s_or_b64 exec, exec, s[28:29]
	v_accvgpr_read_b32 v20, a46
	s_and_b64 s[24:25], s[26:27], exec
	v_accvgpr_read_b32 v21, a47
.LBB14_821:                             ;   in Loop: Header=BB14_728 Depth=2
	s_or_b64 exec, exec, s[56:57]
	s_and_saveexec_b64 s[28:29], s[24:25]
	s_cbranch_execz .LBB14_832
.LBB14_822:                             ;   in Loop: Header=BB14_728 Depth=2
	v_ashrrev_i32_e32 v5, 31, v14
	v_lshrrev_b32_e32 v5, 21, v5
	v_add_u32_e32 v5, v14, v5
	v_ashrrev_i32_e32 v19, 11, v5
	v_sub_u32_e32 v17, v19, v4
	v_ashrrev_i32_e32 v5, 31, v15
	v_cmp_lt_i32_e32 vcc, 0, v17
	v_lshrrev_b32_e32 v18, 26, v5
	s_and_saveexec_b64 s[24:25], vcc
	s_cbranch_execz .LBB14_826
; %bb.823:                              ;   in Loop: Header=BB14_728 Depth=2
	v_add_u32_e32 v5, v15, v18
	s_trap 2
	v_and_b32_e32 v5, 0x7fffffc0, v5
	ds_read_b64 v[10:11], v0
	ds_read_b128 v[6:9], v0
	v_sub_u32_e32 v5, v15, v5
	v_lshlrev_b32_e32 v5, 1, v5
	v_lshlrev_b32_e32 v4, 11, v4
	v_add3_u32 v4, v5, v13, v4
	v_ashrrev_i32_e32 v5, 31, v4
	s_waitcnt lgkmcnt(0)
	v_lshl_add_u64 v[10:11], v[10:11], 0, s[52:53]
	v_accvgpr_write_b32 a3, v32
	v_lshl_add_u64 v[6:7], v[6:7], 0, v[4:5]
	v_lshl_add_u64 v[8:9], v[8:9], 0, v[4:5]
	;; [unrolled: 1-line block ×3, first 2 shown]
	s_mov_b64 s[26:27], 0
.LBB14_824:                             ;   Parent Loop BB14_47 Depth=1
                                        ;     Parent Loop BB14_728 Depth=2
                                        ; =>    This Inner Loop Header: Depth=3
	v_add_co_u32_e32 v4, vcc, 0xfffff880, v10
	flat_load_ushort v20, v[10:11] nt
	s_nop 0
	v_addc_co_u32_e32 v5, vcc, -1, v11, vcc
	s_waitcnt vmcnt(0)
	v_add_co_u32_e32 v22, vcc, 0xfffff900, v10
	flat_load_ushort v4, v[4:5] nt
	s_nop 0
	v_addc_co_u32_e32 v23, vcc, -1, v11, vcc
	v_add_co_u32_e32 v24, vcc, 0xfffff980, v10
	flat_load_ushort v5, v[22:23] nt
	s_nop 0
	v_addc_co_u32_e32 v25, vcc, -1, v11, vcc
	;; [unrolled: 4-line block ×14, first 2 shown]
	flat_load_ushort v23, v[24:25] nt
	v_sub_u32_e32 v17, v17, v52
	v_cmp_gt_i32_e32 vcc, 1, v17
	s_or_b64 s[26:27], vcc, s[26:27]
	v_lshl_add_u64 v[10:11], v[10:11], 0, v[60:61]
	s_waitcnt lgkmcnt(0)
	flat_store_short v[6:7], v20 offset:1920 nt
	s_waitcnt vmcnt(0)
	flat_store_short v[6:7], v4 nt
	flat_store_short v[6:7], v5 offset:128 nt
	flat_store_short v[6:7], v16 offset:256 nt
	;; [unrolled: 1-line block ×14, first 2 shown]
	flat_store_short v[8:9], v4 nt
	flat_store_short v[8:9], v5 offset:128 nt
	flat_store_short v[8:9], v16 offset:256 nt
	;; [unrolled: 1-line block ×15, first 2 shown]
	v_lshl_add_u64 v[6:7], v[6:7], 0, v[60:61]
	v_lshl_add_u64 v[8:9], v[8:9], 0, v[60:61]
	s_andn2_b64 exec, exec, s[26:27]
	s_cbranch_execnz .LBB14_824
; %bb.825:                              ;   in Loop: Header=BB14_728 Depth=2
	s_or_b64 exec, exec, s[26:27]
	scratch_load_dwordx2 v[22:23], off, s33 offset:144 ; 8-byte Folded Reload
	v_accvgpr_read_b32 v35, a25
	v_accvgpr_read_b32 v26, a30
	;; [unrolled: 1-line block ×14, first 2 shown]
.LBB14_826:                             ;   in Loop: Header=BB14_728 Depth=2
	s_or_b64 exec, exec, s[24:25]
	v_lshlrev_b32_e32 v4, 11, v19
	v_cmp_ne_u32_e32 vcc, v14, v4
	s_and_b64 exec, exec, vcc
	s_cbranch_execz .LBB14_832
; %bb.827:                              ;   in Loop: Header=BB14_728 Depth=2
	v_add_u32_e32 v5, v15, v18
	v_and_b32_e32 v5, 0xffffffc0, v5
	v_sub_u32_e32 v5, v15, v5
	v_lshlrev_b32_e32 v6, 6, v17
	v_sub_u32_e32 v5, v5, v6
	v_ashrrev_i32_e32 v6, 31, v5
	v_lshrrev_b32_e32 v6, 26, v6
	v_add_u32_e32 v6, v5, v6
	v_and_b32_e32 v7, 0x7fffffc0, v6
	v_sub_u32_e32 v5, v5, v7
	v_lshlrev_b32_e32 v6, 1, v6
	v_and_b32_e32 v6, 0xffffff80, v6
	v_lshlrev_b32_e32 v5, 1, v5
	v_add3_u32 v4, v6, v5, v4
	v_sub_u32_e32 v10, v14, v4
	v_cmp_lt_i32_e32 vcc, 1, v10
	s_and_b64 exec, exec, vcc
	s_cbranch_execz .LBB14_832
; %bb.828:                              ;   in Loop: Header=BB14_728 Depth=2
	s_trap 2
	ds_read_b64 v[14:15], v0
	ds_read_b128 v[6:9], v0
	v_add_u32_e32 v16, v4, v13
	v_ashrrev_i32_e32 v17, 31, v16
	s_mov_b64 s[56:57], 0
	s_waitcnt lgkmcnt(0)
	v_lshl_add_u64 v[4:5], v[14:15], 0, v[16:17]
	v_lshl_add_u64 v[6:7], v[6:7], 0, v[16:17]
	;; [unrolled: 1-line block ×3, first 2 shown]
.LBB14_829:                             ;   Parent Loop BB14_47 Depth=1
                                        ;     Parent Loop BB14_728 Depth=2
                                        ; =>    This Loop Header: Depth=3
                                        ;         Child Loop BB14_830 Depth 4
	flat_load_ushort v11, v[4:5] nt
	s_mov_b64 s[60:61], -1
	s_mov_b64 s[58:59], 0
	s_waitcnt vmcnt(0)
.LBB14_830:                             ;   Parent Loop BB14_47 Depth=1
                                        ;     Parent Loop BB14_728 Depth=2
                                        ;       Parent Loop BB14_829 Depth=3
                                        ; =>      This Inner Loop Header: Depth=4
	s_cmp_eq_u32 s58, 0
	s_cselect_b64 s[24:25], -1, 0
	s_cmp_eq_u32 s58, 1
	s_cselect_b64 s[26:27], -1, 0
	v_cndmask_b32_e64 v13, 0, 1, s[60:61]
	v_cndmask_b32_e64 v15, v7, v9, s[26:27]
	;; [unrolled: 1-line block ×3, first 2 shown]
	v_cmp_ne_u32_e32 vcc, 1, v13
	s_waitcnt lgkmcnt(0)
	flat_store_short v[14:15], v11 nt
	v_lshl_add_u64 v[14:15], v[14:15], 0, s[44:45]
	s_mov_b64 s[60:61], 0
	s_mov_b64 s[58:59], 1
	s_and_b64 vcc, exec, vcc
	v_cndmask_b32_e64 v9, v9, v15, s[26:27]
	v_cndmask_b32_e64 v8, v8, v14, s[26:27]
	;; [unrolled: 1-line block ×4, first 2 shown]
	s_cbranch_vccz .LBB14_830
; %bb.831:                              ;   in Loop: Header=BB14_829 Depth=3
	v_sub_u32_e32 v10, v10, v45
	v_cmp_gt_i32_e32 vcc, 2, v10
	v_lshl_add_u64 v[6:7], v[6:7], 0, v[26:27]
	v_lshl_add_u64 v[8:9], v[8:9], 0, v[26:27]
	s_or_b64 s[56:57], vcc, s[56:57]
	v_lshl_add_u64 v[4:5], v[24:25], 0, v[4:5]
	s_andn2_b64 exec, exec, s[56:57]
	s_cbranch_execnz .LBB14_829
.LBB14_832:                             ;   in Loop: Header=BB14_728 Depth=2
	s_or_b64 exec, exec, s[28:29]
	v_accvgpr_read_b32 v18, a42
	v_accvgpr_read_b32 v19, a43
	v_mov_b32_e32 v17, 1
	s_branch .LBB14_861
.LBB14_833:                             ;   in Loop: Header=BB14_728 Depth=2
	s_mov_b64 s[24:25], -1
	s_and_saveexec_b64 s[26:27], s[18:19]
	s_cbranch_execz .LBB14_835
; %bb.834:                              ;   in Loop: Header=BB14_728 Depth=2
	ds_read_b32 v4, v0 offset:720
	s_waitcnt lgkmcnt(0)
	v_and_b32_e32 v4, 15, v4
	v_cmp_eq_u32_e32 vcc, 0, v4
	s_orn2_b64 s[24:25], vcc, exec
.LBB14_835:                             ;   in Loop: Header=BB14_728 Depth=2
	s_or_b64 exec, exec, s[26:27]
	s_and_saveexec_b64 s[26:27], s[16:17]
	s_cbranch_execz .LBB14_837
; %bb.836:                              ;   in Loop: Header=BB14_728 Depth=2
	ds_read_b32 v4, v0 offset:784
	s_waitcnt lgkmcnt(0)
	v_and_b32_e32 v4, 15, v4
	v_cmp_eq_u32_e32 vcc, 0, v4
	s_and_b64 s[28:29], s[24:25], vcc
	s_andn2_b64 s[24:25], s[24:25], exec
	s_and_b64 s[28:29], s[28:29], exec
	s_or_b64 s[24:25], s[24:25], s[28:29]
.LBB14_837:                             ;   in Loop: Header=BB14_728 Depth=2
	s_or_b64 exec, exec, s[26:27]
	s_xor_b64 s[24:25], s[24:25], -1
	v_cndmask_b32_e64 v4, 0, 1, s[24:25]
	s_mov_b64 s[28:29], -1
	;;#ASMSTART
	;;#ASMEND
	v_mov_b32_e32 v10, 0
	v_cmp_ne_u32_e32 vcc, 0, v4
	s_cbranch_vccz .LBB14_839
; %bb.838:                              ;   in Loop: Header=BB14_728 Depth=2
	v_mov_b32_e32 v11, v32
	v_mov_b32_e32 v6, v41
	s_and_saveexec_b64 s[24:25], s[28:29]
	s_cbranch_execnz .LBB14_852
	s_branch .LBB14_860
.LBB14_839:                             ;   in Loop: Header=BB14_728 Depth=2
	v_ashrrev_i32_e32 v4, 31, v2
	v_lshrrev_b32_e32 v4, 19, v4
	v_add_u32_e32 v4, v2, v4
	v_ashrrev_i32_e32 v8, 13, v4
	v_sub_u32_e32 v9, v8, v41
	v_cmp_lt_i32_e32 vcc, 0, v9
	s_and_saveexec_b64 s[26:27], vcc
	s_cbranch_execz .LBB14_843
; %bb.840:                              ;   in Loop: Header=BB14_728 Depth=2
	s_trap 2
	ds_read_b64 v[4:5], v0
	v_accvgpr_write_b32 a22, v38
	v_accvgpr_write_b32 a12, v54
	v_mov_b32_e32 v13, v32
	v_accvgpr_write_b32 a23, v39
	v_accvgpr_write_b32 a13, v55
	s_mov_b64 s[28:29], 0
	s_waitcnt lgkmcnt(0)
	v_mov_b64_e32 v[6:7], v[4:5]
	v_mov_b64_e32 v[58:59], v[28:29]
.LBB14_841:                             ;   Parent Loop BB14_47 Depth=1
                                        ;     Parent Loop BB14_728 Depth=2
                                        ; =>    This Inner Loop Header: Depth=3
	s_waitcnt vmcnt(0)
	v_lshl_add_u64 v[10:11], v[22:23], 0, v[6:7]
	global_load_dwordx4 v[18:21], v[10:11], off nt
	global_load_dwordx4 v[22:25], v[10:11], off offset:1024 nt
	global_load_dwordx4 v[26:29], v[10:11], off offset:2048 nt
	;; [unrolled: 1-line block ×3, first 2 shown]
	v_add_co_u32_e32 v10, vcc, 0x1000, v10
	v_sub_u32_e32 v9, v9, v52
	s_nop 0
	v_addc_co_u32_e32 v11, vcc, 0, v11, vcc
	global_load_dwordx4 v[34:37], v[10:11], off nt
	global_load_dwordx4 v[48:51], v[10:11], off offset:1024 nt
	global_load_dwordx4 v[38:41], v[10:11], off offset:2048 nt
	;; [unrolled: 1-line block ×3, first 2 shown]
	s_nop 0
	scratch_load_dwordx2 v[10:11], off, s33 offset:144 ; 8-byte Folded Reload
	v_cmp_gt_i32_e64 s[24:25], 1, v9
	v_lshl_add_u64 v[6:7], v[6:7], 0, v[58:59]
	s_or_b64 s[28:29], s[24:25], s[28:29]
	s_waitcnt vmcnt(0)
	v_lshl_add_u64 v[10:11], v[10:11], 0, v[4:5]
	global_store_dwordx4 v[10:11], v[18:21], off nt
	global_store_dwordx4 v[10:11], v[22:25], off offset:1024 nt
	scratch_load_dwordx2 v[22:23], off, s33 offset:144 ; 8-byte Folded Reload
	v_lshl_add_u64 v[4:5], v[4:5], 0, v[58:59]
	v_add_co_u32_e32 v54, vcc, 0x1000, v10
	s_nop 1
	v_addc_co_u32_e32 v55, vcc, 0, v11, vcc
	global_store_dwordx4 v[10:11], v[26:29], off offset:2048 nt
	global_store_dwordx4 v[10:11], v[30:33], off offset:3072 nt
	global_store_dwordx4 v[54:55], v[34:37], off nt
	global_store_dwordx4 v[54:55], v[48:51], off offset:1024 nt
	global_store_dwordx4 v[54:55], v[38:41], off offset:2048 nt
	;; [unrolled: 1-line block ×3, first 2 shown]
	s_andn2_b64 exec, exec, s[28:29]
	s_cbranch_execnz .LBB14_841
; %bb.842:                              ;   in Loop: Header=BB14_728 Depth=2
	s_or_b64 exec, exec, s[28:29]
	v_accvgpr_read_b32 v55, a13
	v_accvgpr_read_b32 v37, a15
	;; [unrolled: 1-line block ×21, first 2 shown]
	v_mov_b64_e32 v[28:29], v[58:59]
	v_mov_b32_e32 v32, v13
	v_accvgpr_read_b32 v31, a37
	v_accvgpr_read_b32 v25, a39
	;; [unrolled: 1-line block ×3, first 2 shown]
	v_mov_b32_e32 v17, 1
	v_accvgpr_read_b32 v21, a47
.LBB14_843:                             ;   in Loop: Header=BB14_728 Depth=2
	s_or_b64 exec, exec, s[26:27]
	v_lshlrev_b32_e32 v8, 13, v8
	v_cmp_ne_u32_e32 vcc, v2, v8
	s_mov_b64 s[28:29], 0
	v_mov_b32_e32 v10, 0
                                        ; implicit-def: $vgpr11
                                        ; implicit-def: $vgpr6
	s_and_saveexec_b64 s[26:27], vcc
	s_cbranch_execz .LBB14_851
; %bb.844:                              ;   in Loop: Header=BB14_728 Depth=2
	v_lshlrev_b32_e32 v5, 6, v9
	v_accvgpr_read_b32 v6, a33
	v_sub_u32_e32 v5, v6, v5
	v_ashrrev_i32_e32 v6, 31, v5
	v_lshrrev_b32_e32 v6, 26, v6
	v_add_u32_e32 v6, v5, v6
	v_ashrrev_i32_e32 v7, 6, v6
	v_and_b32_e32 v6, 0xffffffc0, v6
	v_sub_u32_e32 v9, v5, v6
	v_sub_u32_e32 v4, v2, v8
	v_lshlrev_b32_e32 v5, 4, v9
	v_lshl_add_u32 v6, v7, 10, v5
	v_ashrrev_i32_e32 v5, 31, v4
	v_lshrrev_b32_e32 v5, 22, v5
	v_add_u32_e32 v5, v4, v5
	v_and_b32_e32 v13, 0xfffffc00, v5
	v_sub_u32_e32 v15, v4, v13
	v_ashrrev_i32_e32 v11, 10, v5
	v_cmp_lt_i32_e32 vcc, 15, v15
	v_sub_u32_e32 v10, v4, v6
	s_nop 0
	v_addc_co_u32_e64 v4, s[24:25], 0, v11, vcc
	v_sub_u32_e32 v14, v4, v7
	v_cmp_lt_i32_e64 s[24:25], 15, v10
	s_and_saveexec_b64 s[28:29], s[24:25]
	s_cbranch_execz .LBB14_848
; %bb.845:                              ;   in Loop: Header=BB14_728 Depth=2
	s_trap 2
	ds_read_b64 v[4:5], v0
	v_add_u32_e32 v6, v6, v8
	v_ashrrev_i32_e32 v7, 31, v6
	s_mov_b64 s[56:57], 0
	v_accvgpr_read_b32 v11, a44
.LBB14_846:                             ;   Parent Loop BB14_47 Depth=1
                                        ;     Parent Loop BB14_728 Depth=2
                                        ; =>    This Inner Loop Header: Depth=3
	s_waitcnt lgkmcnt(0)
	v_lshl_add_u64 v[20:21], v[4:5], 0, v[6:7]
	global_load_dwordx4 v[16:19], v[20:21], off nt
	v_sub_u32_e32 v10, v10, v11
	v_cmp_gt_i32_e64 s[24:25], 16, v10
	v_sub_u32_e32 v14, v14, v52
	v_lshl_add_u64 v[6:7], v[6:7], 0, v[30:31]
	s_or_b64 s[56:57], s[24:25], s[56:57]
	s_waitcnt vmcnt(0)
	global_store_dwordx4 v[20:21], v[16:19], off nt
	s_andn2_b64 exec, exec, s[56:57]
	s_cbranch_execnz .LBB14_846
; %bb.847:                              ;   in Loop: Header=BB14_728 Depth=2
	s_or_b64 exec, exec, s[56:57]
	v_accvgpr_read_b32 v18, a42
	v_accvgpr_read_b32 v20, a46
	;; [unrolled: 1-line block ×3, first 2 shown]
	v_mov_b32_e32 v17, 1
	v_accvgpr_read_b32 v21, a47
.LBB14_848:                             ;   in Loop: Header=BB14_728 Depth=2
	s_or_b64 exec, exec, s[28:29]
	v_and_b32_e32 v4, 14, v2
	v_cndmask_b32_e32 v2, v15, v4, vcc
	v_cmp_ne_u32_e64 s[24:25], 0, v2
	s_mov_b64 s[28:29], 0
	v_mov_b32_e32 v10, 0
                                        ; implicit-def: $vgpr11
                                        ; implicit-def: $vgpr6
	s_and_saveexec_b64 s[56:57], s[24:25]
	s_cbranch_execz .LBB14_850
; %bb.849:                              ;   in Loop: Header=BB14_728 Depth=2
	v_sub_u32_e32 v4, v15, v4
	v_cndmask_b32_e32 v4, 0, v4, vcc
	v_cmp_lt_i32_e32 vcc, 0, v14
	v_add3_u32 v10, v13, v8, v4
	s_mov_b64 s[28:29], exec
	v_cndmask_b32_e32 v4, 0, v52, vcc
	v_sub_u32_e32 v4, v4, v14
	v_lshl_add_u32 v11, v4, 6, v9
	v_ashrrev_i32_e32 v4, 31, v11
	v_lshrrev_b32_e32 v4, 26, v4
	v_add_u32_e32 v4, v11, v4
	v_ashrrev_i32_e32 v6, 6, v4
.LBB14_850:                             ;   in Loop: Header=BB14_728 Depth=2
	s_or_b64 exec, exec, s[56:57]
	s_and_b64 s[28:29], s[28:29], exec
.LBB14_851:                             ;   in Loop: Header=BB14_728 Depth=2
	s_or_b64 exec, exec, s[26:27]
	s_and_saveexec_b64 s[24:25], s[28:29]
	s_cbranch_execz .LBB14_860
.LBB14_852:                             ;   in Loop: Header=BB14_728 Depth=2
	v_ashrrev_i32_e32 v4, 31, v2
	v_lshrrev_b32_e32 v4, 21, v4
	v_add_u32_e32 v4, v2, v4
	v_ashrrev_i32_e32 v14, 11, v4
	v_sub_u32_e32 v13, v14, v6
	v_cmp_lt_i32_e32 vcc, 0, v13
	s_and_saveexec_b64 s[26:27], vcc
	s_cbranch_execz .LBB14_856
; %bb.853:                              ;   in Loop: Header=BB14_728 Depth=2
	v_ashrrev_i32_e32 v7, 31, v11
	v_lshrrev_b32_e32 v7, 26, v7
	s_trap 2
	ds_read_b64 v[4:5], v0
	v_add_u32_e32 v7, v11, v7
	v_and_b32_e32 v7, 0x7fffffc0, v7
	v_sub_u32_e32 v7, v11, v7
	v_lshlrev_b32_e32 v7, 1, v7
	v_lshlrev_b32_e32 v6, 11, v6
	v_add3_u32 v6, v7, v10, v6
	v_accvgpr_write_b32 a3, v32
	v_ashrrev_i32_e32 v7, 31, v6
	s_mov_b64 s[28:29], 0
	s_waitcnt lgkmcnt(0)
	v_mov_b64_e32 v[8:9], v[4:5]
.LBB14_854:                             ;   Parent Loop BB14_47 Depth=1
                                        ;     Parent Loop BB14_728 Depth=2
                                        ; =>    This Inner Loop Header: Depth=3
	v_lshl_add_u64 v[16:17], v[6:7], 0, v[8:9]
	flat_load_ushort v15, v[16:17] nt
	flat_load_ushort v18, v[16:17] offset:128 nt
	flat_load_ushort v19, v[16:17] offset:256 nt
	;; [unrolled: 1-line block ×4, first 2 shown]
	s_waitcnt vmcnt(0)
	flat_load_ushort v22, v[16:17] offset:640 nt
	flat_load_ushort v23, v[16:17] offset:768 nt
	;; [unrolled: 1-line block ×11, first 2 shown]
	v_sub_u32_e32 v13, v13, v52
	v_cmp_gt_i32_e32 vcc, 1, v13
	v_lshl_add_u64 v[16:17], v[6:7], 0, v[4:5]
	v_lshl_add_u64 v[8:9], v[8:9], 0, v[60:61]
	;; [unrolled: 1-line block ×3, first 2 shown]
	s_or_b64 s[28:29], vcc, s[28:29]
	s_waitcnt lgkmcnt(0)
	flat_store_short v[16:17], v15 nt
	flat_store_short v[16:17], v18 offset:128 nt
	flat_store_short v[16:17], v19 offset:256 nt
	;; [unrolled: 1-line block ×4, first 2 shown]
	s_waitcnt vmcnt(0)
	flat_store_short v[16:17], v22 offset:640 nt
	flat_store_short v[16:17], v23 offset:768 nt
	;; [unrolled: 1-line block ×11, first 2 shown]
	s_andn2_b64 exec, exec, s[28:29]
	s_cbranch_execnz .LBB14_854
; %bb.855:                              ;   in Loop: Header=BB14_728 Depth=2
	s_or_b64 exec, exec, s[28:29]
	scratch_load_dwordx2 v[22:23], off, s33 offset:144 ; 8-byte Folded Reload
	v_accvgpr_read_b32 v26, a30
	v_accvgpr_read_b32 v28, a34
	;; [unrolled: 1-line block ×12, first 2 shown]
	v_mov_b32_e32 v17, 1
	v_accvgpr_read_b32 v21, a47
.LBB14_856:                             ;   in Loop: Header=BB14_728 Depth=2
	s_or_b64 exec, exec, s[26:27]
	v_lshlrev_b32_e32 v4, 11, v14
	v_cmp_ne_u32_e32 vcc, v2, v4
	s_and_b64 exec, exec, vcc
	s_cbranch_execz .LBB14_860
; %bb.857:                              ;   in Loop: Header=BB14_728 Depth=2
	v_ashrrev_i32_e32 v5, 31, v11
	v_lshrrev_b32_e32 v5, 26, v5
	v_add_u32_e32 v5, v11, v5
	v_and_b32_e32 v5, 0xffffffc0, v5
	v_sub_u32_e32 v5, v11, v5
	v_lshlrev_b32_e32 v6, 6, v13
	v_sub_u32_e32 v5, v5, v6
	v_ashrrev_i32_e32 v6, 31, v5
	v_lshrrev_b32_e32 v6, 26, v6
	v_add_u32_e32 v6, v5, v6
	v_and_b32_e32 v7, 0x7fffffc0, v6
	v_sub_u32_e32 v5, v5, v7
	v_lshlrev_b32_e32 v6, 1, v6
	v_and_b32_e32 v6, 0xffffff80, v6
	v_lshlrev_b32_e32 v5, 1, v5
	v_add3_u32 v6, v6, v5, v4
	v_sub_u32_e32 v2, v2, v6
	v_cmp_lt_i32_e32 vcc, 1, v2
	s_and_b64 exec, exec, vcc
	s_cbranch_execz .LBB14_860
; %bb.858:                              ;   in Loop: Header=BB14_728 Depth=2
	s_trap 2
	ds_read_b64 v[4:5], v0
	v_add_u32_e32 v6, v6, v10
	v_ashrrev_i32_e32 v7, 31, v6
	s_mov_b64 s[26:27], 0
.LBB14_859:                             ;   Parent Loop BB14_47 Depth=1
                                        ;     Parent Loop BB14_728 Depth=2
                                        ; =>    This Inner Loop Header: Depth=3
	s_waitcnt lgkmcnt(0)
	v_lshl_add_u64 v[8:9], v[4:5], 0, v[6:7]
	flat_load_ushort v10, v[8:9] nt
	v_sub_u32_e32 v2, v2, v45
	v_cmp_gt_i32_e32 vcc, 2, v2
	v_lshl_add_u64 v[6:7], v[6:7], 0, v[24:25]
	s_or_b64 s[26:27], vcc, s[26:27]
	s_waitcnt vmcnt(0) lgkmcnt(0)
	flat_store_short v[8:9], v10 nt
	s_andn2_b64 exec, exec, s[26:27]
	s_cbranch_execnz .LBB14_859
.LBB14_860:                             ;   in Loop: Header=BB14_728 Depth=2
	s_or_b64 exec, exec, s[24:25]
.LBB14_861:                             ;   in Loop: Header=BB14_728 Depth=2
	v_cmp_lt_i32_e64 s[24:25], 0, v1
	s_and_saveexec_b64 s[26:27], s[6:7]
	s_cbranch_execz .LBB14_802
.LBB14_862:                             ;   in Loop: Header=BB14_728 Depth=2
	s_and_saveexec_b64 s[28:29], s[40:41]
	s_xor_b64 s[28:29], exec, s[28:29]
	s_cbranch_execz .LBB14_877
; %bb.863:                              ;   in Loop: Header=BB14_728 Depth=2
	s_and_saveexec_b64 s[56:57], s[14:15]
	s_cbranch_execz .LBB14_876
; %bb.864:                              ;   in Loop: Header=BB14_728 Depth=2
	s_mov_b64 s[60:61], exec
	v_mbcnt_lo_u32_b32 v1, s60, 0
	v_mbcnt_hi_u32_b32 v1, s61, v1
	v_cmp_eq_u32_e32 vcc, 0, v1
	s_waitcnt lgkmcnt(0)
	s_and_saveexec_b64 s[58:59], vcc
	s_cbranch_execz .LBB14_866
; %bb.865:                              ;   in Loop: Header=BB14_728 Depth=2
	s_bcnt1_i32_b64 vcc_lo, s[60:61]
	v_mov_b32_e32 v2, vcc_lo
	ds_add_u64 v0, v[2:3]
	s_trap 2
.LBB14_866:                             ;   in Loop: Header=BB14_728 Depth=2
	s_or_b64 exec, exec, s[58:59]
	s_trap 2
	ds_read_b64 v[4:5], v0
	v_lshl_add_u64 v[38:39], v[38:39], 0, v[52:53]
	s_waitcnt lgkmcnt(0)
	v_cmp_lt_u64_e32 vcc, v[4:5], v[38:39]
	s_and_saveexec_b64 s[58:59], vcc
	s_cbranch_execz .LBB14_875
; %bb.867:                              ;   in Loop: Header=BB14_728 Depth=2
	s_mov_b32 s71, 0
	s_mov_b64 s[60:61], 0
                                        ; implicit-def: $sgpr62_sgpr63
                                        ; implicit-def: $sgpr64_sgpr65
	s_branch .LBB14_869
.LBB14_868:                             ;   in Loop: Header=BB14_869 Depth=3
	s_or_b64 exec, exec, s[68:69]
	s_and_b64 vcc, exec, vcc
	s_or_b64 s[60:61], vcc, s[60:61]
	s_andn2_b64 vcc, s[62:63], exec
	s_and_b64 s[62:63], s[64:65], exec
	s_or_b64 s[62:63], vcc, s[62:63]
	s_andn2_b64 exec, exec, s[60:61]
	s_cbranch_execz .LBB14_873
.LBB14_869:                             ;   Parent Loop BB14_47 Depth=1
                                        ;     Parent Loop BB14_728 Depth=2
                                        ; =>    This Inner Loop Header: Depth=3
	s_add_i32 s71, s71, 1
	s_cmpk_lg_i32 s71, 0x2710
	s_cselect_b64 s[66:67], -1, 0
	s_and_b64 vcc, exec, s[66:67]
                                        ; implicit-def: $sgpr68_sgpr69
	s_cbranch_vccnz .LBB14_871
; %bb.870:                              ;   in Loop: Header=BB14_869 Depth=3
	s_trap 2
	ds_read_b64 v[4:5], v0
	s_andn2_b64 s[66:67], s[66:67], exec
	s_mov_b32 s71, 0
	s_mov_b64 s[68:69], -1
	s_waitcnt vmcnt(0) lgkmcnt(0)
	flat_load_dword v1, v[4:5] sc0 sc1
	s_waitcnt vmcnt(0) lgkmcnt(0)
	buffer_inv sc0 sc1
	v_cmp_eq_u32_e32 vcc, 0, v1
	s_and_b64 vcc, vcc, exec
	s_or_b64 s[66:67], s[66:67], vcc
.LBB14_871:                             ;   in Loop: Header=BB14_869 Depth=3
	s_andn2_b64 s[64:65], s[64:65], exec
	s_and_b64 s[68:69], s[68:69], exec
	s_mov_b64 vcc, -1
	s_or_b64 s[64:65], s[64:65], s[68:69]
	s_and_saveexec_b64 s[68:69], s[66:67]
	s_cbranch_execz .LBB14_868
; %bb.872:                              ;   in Loop: Header=BB14_869 Depth=3
	s_sleep 1
	s_trap 2
	ds_read_b64 v[4:5], v0
	s_andn2_b64 s[64:65], s[64:65], exec
	s_waitcnt lgkmcnt(0)
	v_cmp_ge_u64_e32 vcc, v[4:5], v[38:39]
	s_orn2_b64 vcc, vcc, exec
	s_branch .LBB14_868
.LBB14_873:                             ;   in Loop: Header=BB14_728 Depth=2
	s_or_b64 exec, exec, s[60:61]
	s_and_saveexec_b64 vcc, s[62:63]
	s_xor_b64 vcc, exec, vcc
	s_cbranch_execz .LBB14_875
; %bb.874:                              ;   in Loop: Header=BB14_728 Depth=2
	ds_write_b32 v0, v17
	s_trap 2
.LBB14_875:                             ;   in Loop: Header=BB14_728 Depth=2
	s_or_b64 exec, exec, s[58:59]
	;;#ASMSTART
	s_wakeup
	;;#ASMEND
.LBB14_876:                             ;   in Loop: Header=BB14_728 Depth=2
	s_or_b64 exec, exec, s[56:57]
.LBB14_877:                             ;   in Loop: Header=BB14_728 Depth=2
	s_andn2_saveexec_b64 s[28:29], s[28:29]
	s_cbranch_execz .LBB14_879
; %bb.878:                              ;   in Loop: Header=BB14_728 Depth=2
	s_waitcnt lgkmcnt(0)
	s_barrier
.LBB14_879:                             ;   in Loop: Header=BB14_728 Depth=2
	s_or_b64 exec, exec, s[28:29]
	s_or_b64 exec, exec, s[26:27]
                                        ; implicit-def: $vgpr1
	s_and_saveexec_b64 s[26:27], s[22:23]
	s_xor_b64 s[26:27], exec, s[26:27]
	s_cbranch_execnz .LBB14_803
.LBB14_880:                             ;   in Loop: Header=BB14_728 Depth=2
	s_andn2_saveexec_b64 s[24:25], s[26:27]
	s_cbranch_execz .LBB14_899
.LBB14_881:                             ;   in Loop: Header=BB14_728 Depth=2
	s_and_saveexec_b64 s[26:27], s[40:41]
	s_xor_b64 s[26:27], exec, s[26:27]
	s_cbranch_execz .LBB14_896
; %bb.882:                              ;   in Loop: Header=BB14_728 Depth=2
	s_and_saveexec_b64 s[28:29], s[14:15]
	s_cbranch_execz .LBB14_895
; %bb.883:                              ;   in Loop: Header=BB14_728 Depth=2
	s_mov_b64 s[58:59], exec
	v_mbcnt_lo_u32_b32 v1, s58, 0
	v_mbcnt_hi_u32_b32 v1, s59, v1
	v_cmp_eq_u32_e32 vcc, 0, v1
	;;#ASMSTART
	s_waitcnt lgkmcnt(0) vmcnt(0)
	;;#ASMEND
	s_and_saveexec_b64 s[56:57], vcc
	s_cbranch_execz .LBB14_885
; %bb.884:                              ;   in Loop: Header=BB14_728 Depth=2
	s_bcnt1_i32_b64 vcc_lo, s[58:59]
	v_mov_b32_e32 v2, vcc_lo
	ds_add_u64 v0, v[2:3]
	s_trap 2
.LBB14_885:                             ;   in Loop: Header=BB14_728 Depth=2
	s_or_b64 exec, exec, s[56:57]
	s_trap 2
	ds_read_b64 v[4:5], v0
	v_lshl_add_u64 v[38:39], v[38:39], 0, v[52:53]
	s_waitcnt lgkmcnt(0)
	v_cmp_lt_u64_e32 vcc, v[4:5], v[38:39]
	s_and_saveexec_b64 s[56:57], vcc
	s_cbranch_execz .LBB14_894
; %bb.886:                              ;   in Loop: Header=BB14_728 Depth=2
	s_mov_b32 s68, 0
	s_mov_b64 s[58:59], 0
                                        ; implicit-def: $sgpr60_sgpr61
                                        ; implicit-def: $sgpr62_sgpr63
	s_branch .LBB14_888
.LBB14_887:                             ;   in Loop: Header=BB14_888 Depth=3
	s_or_b64 exec, exec, s[66:67]
	s_and_b64 vcc, exec, vcc
	s_or_b64 s[58:59], vcc, s[58:59]
	s_andn2_b64 vcc, s[60:61], exec
	s_and_b64 s[60:61], s[62:63], exec
	s_or_b64 s[60:61], vcc, s[60:61]
	s_andn2_b64 exec, exec, s[58:59]
	s_cbranch_execz .LBB14_892
.LBB14_888:                             ;   Parent Loop BB14_47 Depth=1
                                        ;     Parent Loop BB14_728 Depth=2
                                        ; =>    This Inner Loop Header: Depth=3
	s_add_i32 s68, s68, 1
	s_cmpk_lg_i32 s68, 0x2710
	s_cselect_b64 s[64:65], -1, 0
	s_and_b64 vcc, exec, s[64:65]
                                        ; implicit-def: $sgpr66_sgpr67
	s_cbranch_vccnz .LBB14_890
; %bb.889:                              ;   in Loop: Header=BB14_888 Depth=3
	s_trap 2
	ds_read_b64 v[4:5], v0
	s_andn2_b64 s[64:65], s[64:65], exec
	s_mov_b32 s68, 0
	s_mov_b64 s[66:67], -1
	s_waitcnt vmcnt(0) lgkmcnt(0)
	flat_load_dword v1, v[4:5] sc0 sc1
	s_waitcnt vmcnt(0) lgkmcnt(0)
	buffer_inv sc0 sc1
	v_cmp_eq_u32_e32 vcc, 0, v1
	s_and_b64 vcc, vcc, exec
	s_or_b64 s[64:65], s[64:65], vcc
.LBB14_890:                             ;   in Loop: Header=BB14_888 Depth=3
	s_andn2_b64 s[62:63], s[62:63], exec
	s_and_b64 s[66:67], s[66:67], exec
	s_mov_b64 vcc, -1
	s_or_b64 s[62:63], s[62:63], s[66:67]
	s_and_saveexec_b64 s[66:67], s[64:65]
	s_cbranch_execz .LBB14_887
; %bb.891:                              ;   in Loop: Header=BB14_888 Depth=3
	s_sleep 1
	s_trap 2
	ds_read_b64 v[4:5], v0
	s_andn2_b64 s[62:63], s[62:63], exec
	s_waitcnt lgkmcnt(0)
	v_cmp_ge_u64_e32 vcc, v[4:5], v[38:39]
	s_orn2_b64 vcc, vcc, exec
	s_branch .LBB14_887
.LBB14_892:                             ;   in Loop: Header=BB14_728 Depth=2
	s_or_b64 exec, exec, s[58:59]
	s_and_saveexec_b64 vcc, s[60:61]
	s_xor_b64 vcc, exec, vcc
	s_cbranch_execz .LBB14_894
; %bb.893:                              ;   in Loop: Header=BB14_728 Depth=2
	ds_write_b32 v0, v17
	s_trap 2
.LBB14_894:                             ;   in Loop: Header=BB14_728 Depth=2
	s_or_b64 exec, exec, s[56:57]
	;;#ASMSTART
	s_wakeup
	;;#ASMEND
.LBB14_895:                             ;   in Loop: Header=BB14_728 Depth=2
	s_or_b64 exec, exec, s[28:29]
.LBB14_896:                             ;   in Loop: Header=BB14_728 Depth=2
	s_andn2_saveexec_b64 s[26:27], s[26:27]
	s_cbranch_execz .LBB14_898
; %bb.897:                              ;   in Loop: Header=BB14_728 Depth=2
	;;#ASMSTART
	s_waitcnt lgkmcnt(0) vmcnt(0)
	;;#ASMEND
	s_barrier
.LBB14_898:                             ;   in Loop: Header=BB14_728 Depth=2
	s_or_b64 exec, exec, s[26:27]
	v_and_b32_e32 v1, 16, v0
.LBB14_899:                             ;   in Loop: Header=BB14_728 Depth=2
	s_or_b64 exec, exec, s[24:25]
	v_cmp_ne_u32_e32 vcc, 0, v1
	s_xor_b64 s[24:25], s[10:11], -1
	s_and_b64 s[26:27], vcc, s[24:25]
	s_and_saveexec_b64 s[24:25], s[26:27]
	s_cbranch_execz .LBB14_901
; %bb.900:                              ;   in Loop: Header=BB14_728 Depth=2
	flat_store_dword v[50:51], v17 sc0 sc1
.LBB14_901:                             ;   in Loop: Header=BB14_728 Depth=2
	s_or_b64 exec, exec, s[24:25]
	v_and_b32_e32 v1, 48, v0
	v_cmp_ne_u32_e32 vcc, 0, v1
	s_and_saveexec_b64 s[24:25], vcc
	s_cbranch_execz .LBB14_903
; %bb.902:                              ;   in Loop: Header=BB14_728 Depth=2
	v_lshl_add_u64 v[54:55], v[54:55], 0, 4
	flat_store_dwordx2 v[42:43], v[54:55] sc0 sc1
.LBB14_903:                             ;   in Loop: Header=BB14_728 Depth=2
	s_or_b64 exec, exec, s[24:25]
	v_mov_b32_e32 v1, v12
.LBB14_904:                             ;   in Loop: Header=BB14_728 Depth=2
	s_or_b64 exec, exec, s[54:55]
	s_and_saveexec_b64 s[26:27], s[30:31]
	s_cbranch_execz .LBB14_976
; %bb.905:                              ;   in Loop: Header=BB14_728 Depth=2
	v_and_b32_e32 v2, 12, v0
	v_cmp_ne_u32_e32 vcc, 0, v2
	s_mov_b64 s[28:29], -1
	s_and_saveexec_b64 s[24:25], vcc
	s_cbranch_execz .LBB14_917
; %bb.906:                              ;   in Loop: Header=BB14_728 Depth=2
	v_and_b32_e32 v2, 8, v0
	v_lshl_add_u64 v[6:7], v[56:57], 0, v[2:3]
	v_lshl_add_u64 v[4:5], v[54:55], 0, 4
	v_cmp_lt_u64_e32 vcc, v[6:7], v[4:5]
	v_mov_b32_e32 v6, 1
	s_and_saveexec_b64 s[28:29], vcc
	s_cbranch_execz .LBB14_916
; %bb.907:                              ;   in Loop: Header=BB14_728 Depth=2
	s_mov_b64 s[30:31], 0
	v_mov_b32_e32 v6, 0
                                        ; implicit-def: $sgpr54_sgpr55
	s_branch .LBB14_911
.LBB14_908:                             ;   in Loop: Header=BB14_911 Depth=3
	s_or_b64 exec, exec, s[62:63]
	v_mov_b32_e32 v7, 0
	s_orn2_b64 s[60:61], s[60:61], exec
.LBB14_909:                             ;   in Loop: Header=BB14_911 Depth=3
	s_or_b64 exec, exec, s[58:59]
	s_andn2_b64 vcc, s[54:55], exec
	s_and_b64 s[54:55], s[60:61], exec
	s_or_b64 s[54:55], vcc, s[54:55]
	v_mov_b32_e32 v6, v7
.LBB14_910:                             ;   in Loop: Header=BB14_911 Depth=3
	s_or_b64 exec, exec, s[56:57]
	s_waitcnt vmcnt(0) lgkmcnt(0)
	v_lshl_add_u64 v[8:9], v[56:57], 0, v[2:3]
	v_cmp_ge_u64_e32 vcc, v[8:9], v[4:5]
	s_xor_b64 s[56:57], s[54:55], -1
	s_or_b64 vcc, s[56:57], vcc
	s_and_b64 vcc, exec, vcc
	s_or_b64 s[30:31], vcc, s[30:31]
	s_andn2_b64 exec, exec, s[30:31]
	s_cbranch_execz .LBB14_915
.LBB14_911:                             ;   Parent Loop BB14_47 Depth=1
                                        ;     Parent Loop BB14_728 Depth=2
                                        ; =>    This Inner Loop Header: Depth=3
	s_sleep 1
	flat_load_dwordx2 v[56:57], v[42:43] sc0 sc1
	v_and_b32_e32 v7, 64, v0
	v_cmp_eq_u32_e32 vcc, 0, v7
	s_andn2_b64 s[54:55], s[54:55], exec
	s_and_saveexec_b64 s[56:57], vcc
	s_cbranch_execz .LBB14_910
; %bb.912:                              ;   in Loop: Header=BB14_911 Depth=3
	v_add_u32_e32 v7, 1, v6
	v_cmp_lt_i32_e32 vcc, s83, v6
	s_mov_b64 s[60:61], -1
	s_and_saveexec_b64 s[58:59], vcc
	s_cbranch_execz .LBB14_909
; %bb.913:                              ;   in Loop: Header=BB14_911 Depth=3
	s_trap 2
	ds_read_b64 v[6:7], v0
	s_waitcnt vmcnt(0) lgkmcnt(0)
	flat_load_dword v6, v[6:7] sc0 sc1
	s_waitcnt vmcnt(0) lgkmcnt(0)
	buffer_inv sc0 sc1
	v_cmp_ne_u32_e32 vcc, 0, v6
	s_and_saveexec_b64 s[62:63], vcc
	s_cbranch_execz .LBB14_908
; %bb.914:                              ;   in Loop: Header=BB14_911 Depth=3
	v_or_b32_e32 v0, 64, v0
	s_xor_b64 s[60:61], exec, -1
	ds_write_b32 v0, v6
	s_trap 2
	s_branch .LBB14_908
.LBB14_915:                             ;   in Loop: Header=BB14_728 Depth=2
	s_or_b64 exec, exec, s[30:31]
	v_and_b32_e32 v6, 12, v0
.LBB14_916:                             ;   in Loop: Header=BB14_728 Depth=2
	s_or_b64 exec, exec, s[28:29]
	v_cmp_eq_u32_e32 vcc, 0, v6
	s_orn2_b64 s[28:29], vcc, exec
	;;#ASMSTART
	s_wakeup
	;;#ASMEND
.LBB14_917:                             ;   in Loop: Header=BB14_728 Depth=2
	s_or_b64 exec, exec, s[24:25]
	v_sub_u32_e32 v1, v44, v1
	s_xor_b64 s[24:25], s[28:29], -1
	v_min_i32_e32 v6, v12, v1
	s_and_saveexec_b64 s[28:29], s[24:25]
	s_cbranch_execz .LBB14_933
; %bb.918:                              ;   in Loop: Header=BB14_728 Depth=2
	v_and_b32_e32 v1, 0x108, v0
	v_cmp_ne_u32_e32 vcc, s84, v1
	v_and_b32_e32 v2, 7, v54
	s_and_saveexec_b64 s[24:25], vcc
	s_xor_b64 s[24:25], exec, s[24:25]
	s_andn2_saveexec_b64 s[24:25], s[24:25]
	s_cbranch_execz .LBB14_920
; %bb.919:                              ;   in Loop: Header=BB14_728 Depth=2
	v_ashrrev_i32_e32 v7, 31, v6
	v_mad_u64_u32 v[4:5], vcc, v2, 24, v[36:37]
	v_lshlrev_b64 v[8:9], 1, v[6:7]
	flat_store_dwordx2 v[4:5], v[8:9] offset:8
.LBB14_920:                             ;   in Loop: Header=BB14_728 Depth=2
	s_or_b64 exec, exec, s[24:25]
	v_and_b32_e32 v1, 0x100, v0
	v_cmp_ne_u32_e32 vcc, 0, v1
	s_mov_b64 s[24:25], -1
                                        ; implicit-def: $vgpr4_vgpr5
	s_and_saveexec_b64 s[30:31], vcc
	s_cbranch_execz .LBB14_924
; %bb.921:                              ;   in Loop: Header=BB14_728 Depth=2
	v_mad_u64_u32 v[8:9], s[24:25], v2, 24, v[36:37]
	v_mov_b32_e32 v4, v9
	v_mad_u64_u32 v[4:5], s[24:25], v3, 24, v[4:5]
	v_mov_b32_e32 v9, v4
	flat_load_dword v1, v[8:9]
                                        ; implicit-def: $vgpr4_vgpr5
	s_waitcnt vmcnt(0) lgkmcnt(0)
	v_cmp_ne_u32_e32 vcc, 1, v1
	v_cmp_eq_u32_e64 s[24:25], 1, v1
	s_and_saveexec_b64 s[54:55], s[24:25]
	s_cbranch_execz .LBB14_923
; %bb.922:                              ;   in Loop: Header=BB14_728 Depth=2
	flat_load_dword v4, v[8:9] offset:4 sc0 sc1
	s_waitcnt vmcnt(0) lgkmcnt(0)
	v_ashrrev_i32_e32 v5, 31, v4
	v_lshrrev_b64 v[4:5], 1, v[4:5]
.LBB14_923:                             ;   in Loop: Header=BB14_728 Depth=2
	s_or_b64 exec, exec, s[54:55]
	s_orn2_b64 s[24:25], vcc, exec
.LBB14_924:                             ;   in Loop: Header=BB14_728 Depth=2
	s_or_b64 exec, exec, s[30:31]
	s_and_saveexec_b64 vcc, s[24:25]
; %bb.925:                              ;   in Loop: Header=BB14_728 Depth=2
	v_mul_lo_u32 v1, v3, v40
	v_mul_lo_u32 v7, v2, v33
	v_mad_u64_u32 v[4:5], s[24:25], v2, v40, 0
	v_add3_u32 v5, v5, v7, v1
; %bb.926:                              ;   in Loop: Header=BB14_728 Depth=2
	s_or_b64 exec, exec, vcc
	v_and_b32_e32 v1, 0x2000, v0
	v_lshl_add_u64 v[4:5], v[4:5], 1, v[48:49]
	v_cmp_ne_u32_e32 vcc, 0, v1
	s_trap 2
	ds_write_b64 v0, v[4:5]
	s_and_saveexec_b64 s[24:25], vcc
	s_cbranch_execz .LBB14_928
; %bb.927:                              ;   in Loop: Header=BB14_728 Depth=2
	ds_read_b64 v[4:5], v0 offset:584
	s_waitcnt lgkmcnt(0)
	v_lshl_add_u64 v[4:5], v[4:5], 0, 1
	ds_write_b64 v0, v[4:5] offset:584
.LBB14_928:                             ;   in Loop: Header=BB14_728 Depth=2
	s_or_b64 exec, exec, s[24:25]
	v_lshl_add_u64 v[54:55], v[54:55], 0, 4
	s_or_b64 exec, exec, s[28:29]
	s_and_saveexec_b64 s[24:25], s[6:7]
	s_cbranch_execnz .LBB14_934
.LBB14_929:                             ;   in Loop: Header=BB14_728 Depth=2
	s_or_b64 exec, exec, s[24:25]
                                        ; implicit-def: $vgpr1
	s_and_saveexec_b64 s[24:25], s[22:23]
	s_xor_b64 s[24:25], exec, s[24:25]
	s_cbranch_execz .LBB14_952
.LBB14_930:                             ;   in Loop: Header=BB14_728 Depth=2
	s_trap 2
	ds_read_b32 v2, v0
	v_cmp_lt_i32_e32 vcc, 0, v6
	v_and_b32_e32 v4, 16, v0
	v_and_b32_e32 v1, 16, v0
	s_waitcnt lgkmcnt(0)
	v_readfirstlane_b32 s28, v2
	s_cmp_eq_u32 s28, 0
	s_cselect_b64 s[28:29], -1, 0
	s_and_b64 s[28:29], vcc, s[28:29]
	v_cmp_ne_u32_e32 vcc, 0, v4
	s_and_b64 vcc, vcc, s[28:29]
	s_and_saveexec_b64 s[28:29], vcc
	s_cbranch_execz .LBB14_932
; %bb.931:                              ;   in Loop: Header=BB14_728 Depth=2
	v_mov_b32_e32 v1, 1
	buffer_wbl2 sc1
	s_waitcnt vmcnt(0)
	buffer_inv sc1
.LBB14_932:                             ;   in Loop: Header=BB14_728 Depth=2
	s_or_b64 exec, exec, s[28:29]
	s_andn2_saveexec_b64 s[24:25], s[24:25]
	s_cbranch_execz .LBB14_971
	s_branch .LBB14_953
.LBB14_933:                             ;   in Loop: Header=BB14_728 Depth=2
	s_or_b64 exec, exec, s[28:29]
	s_and_saveexec_b64 s[24:25], s[6:7]
	s_cbranch_execz .LBB14_929
.LBB14_934:                             ;   in Loop: Header=BB14_728 Depth=2
	s_and_saveexec_b64 s[28:29], s[40:41]
	s_xor_b64 s[28:29], exec, s[28:29]
	s_cbranch_execz .LBB14_949
; %bb.935:                              ;   in Loop: Header=BB14_728 Depth=2
	s_and_saveexec_b64 s[30:31], s[14:15]
	s_cbranch_execz .LBB14_948
; %bb.936:                              ;   in Loop: Header=BB14_728 Depth=2
	s_mov_b64 s[56:57], exec
	v_mbcnt_lo_u32_b32 v1, s56, 0
	v_mbcnt_hi_u32_b32 v1, s57, v1
	v_cmp_eq_u32_e32 vcc, 0, v1
	s_waitcnt lgkmcnt(0)
	s_and_saveexec_b64 s[54:55], vcc
	s_cbranch_execz .LBB14_938
; %bb.937:                              ;   in Loop: Header=BB14_728 Depth=2
	s_bcnt1_i32_b64 vcc_lo, s[56:57]
	v_mov_b32_e32 v2, vcc_lo
	ds_add_u64 v0, v[2:3]
	s_trap 2
.LBB14_938:                             ;   in Loop: Header=BB14_728 Depth=2
	s_or_b64 exec, exec, s[54:55]
	s_trap 2
	ds_read_b64 v[4:5], v0
	v_lshl_add_u64 v[38:39], v[38:39], 0, v[52:53]
	s_waitcnt lgkmcnt(0)
	v_cmp_lt_u64_e32 vcc, v[4:5], v[38:39]
	s_and_saveexec_b64 s[54:55], vcc
	s_cbranch_execz .LBB14_947
; %bb.939:                              ;   in Loop: Header=BB14_728 Depth=2
	s_mov_b32 s66, 0
	s_mov_b64 s[56:57], 0
                                        ; implicit-def: $sgpr58_sgpr59
                                        ; implicit-def: $sgpr60_sgpr61
	s_branch .LBB14_941
.LBB14_940:                             ;   in Loop: Header=BB14_941 Depth=3
	s_or_b64 exec, exec, s[64:65]
	s_and_b64 vcc, exec, vcc
	s_or_b64 s[56:57], vcc, s[56:57]
	s_andn2_b64 vcc, s[58:59], exec
	s_and_b64 s[58:59], s[60:61], exec
	s_or_b64 s[58:59], vcc, s[58:59]
	s_andn2_b64 exec, exec, s[56:57]
	s_cbranch_execz .LBB14_945
.LBB14_941:                             ;   Parent Loop BB14_47 Depth=1
                                        ;     Parent Loop BB14_728 Depth=2
                                        ; =>    This Inner Loop Header: Depth=3
	s_add_i32 s66, s66, 1
	s_cmpk_lg_i32 s66, 0x2710
	s_cselect_b64 s[62:63], -1, 0
	s_and_b64 vcc, exec, s[62:63]
                                        ; implicit-def: $sgpr64_sgpr65
	s_cbranch_vccnz .LBB14_943
; %bb.942:                              ;   in Loop: Header=BB14_941 Depth=3
	s_trap 2
	ds_read_b64 v[4:5], v0
	s_andn2_b64 s[62:63], s[62:63], exec
	s_mov_b32 s66, 0
	s_mov_b64 s[64:65], -1
	s_waitcnt vmcnt(0) lgkmcnt(0)
	flat_load_dword v1, v[4:5] sc0 sc1
	s_waitcnt vmcnt(0) lgkmcnt(0)
	buffer_inv sc0 sc1
	v_cmp_eq_u32_e32 vcc, 0, v1
	s_and_b64 vcc, vcc, exec
	s_or_b64 s[62:63], s[62:63], vcc
.LBB14_943:                             ;   in Loop: Header=BB14_941 Depth=3
	s_andn2_b64 s[60:61], s[60:61], exec
	s_and_b64 s[64:65], s[64:65], exec
	s_mov_b64 vcc, -1
	s_or_b64 s[60:61], s[60:61], s[64:65]
	s_and_saveexec_b64 s[64:65], s[62:63]
	s_cbranch_execz .LBB14_940
; %bb.944:                              ;   in Loop: Header=BB14_941 Depth=3
	s_sleep 1
	s_trap 2
	ds_read_b64 v[4:5], v0
	s_andn2_b64 s[60:61], s[60:61], exec
	s_waitcnt lgkmcnt(0)
	v_cmp_ge_u64_e32 vcc, v[4:5], v[38:39]
	s_orn2_b64 vcc, vcc, exec
	s_branch .LBB14_940
.LBB14_945:                             ;   in Loop: Header=BB14_728 Depth=2
	s_or_b64 exec, exec, s[56:57]
	s_and_saveexec_b64 vcc, s[58:59]
	s_xor_b64 vcc, exec, vcc
	s_cbranch_execz .LBB14_947
; %bb.946:                              ;   in Loop: Header=BB14_728 Depth=2
	ds_write_b32 v0, v17
	s_trap 2
.LBB14_947:                             ;   in Loop: Header=BB14_728 Depth=2
	s_or_b64 exec, exec, s[54:55]
	;;#ASMSTART
	s_wakeup
	;;#ASMEND
.LBB14_948:                             ;   in Loop: Header=BB14_728 Depth=2
	s_or_b64 exec, exec, s[30:31]
.LBB14_949:                             ;   in Loop: Header=BB14_728 Depth=2
	s_andn2_saveexec_b64 s[28:29], s[28:29]
	s_cbranch_execz .LBB14_951
; %bb.950:                              ;   in Loop: Header=BB14_728 Depth=2
	s_waitcnt lgkmcnt(0)
	s_barrier
.LBB14_951:                             ;   in Loop: Header=BB14_728 Depth=2
	s_or_b64 exec, exec, s[28:29]
	s_or_b64 exec, exec, s[24:25]
                                        ; implicit-def: $vgpr1
	s_and_saveexec_b64 s[24:25], s[22:23]
	s_xor_b64 s[24:25], exec, s[24:25]
	s_cbranch_execnz .LBB14_930
.LBB14_952:                             ;   in Loop: Header=BB14_728 Depth=2
	s_andn2_saveexec_b64 s[24:25], s[24:25]
	s_cbranch_execz .LBB14_971
.LBB14_953:                             ;   in Loop: Header=BB14_728 Depth=2
	s_and_saveexec_b64 s[28:29], s[40:41]
	s_xor_b64 s[28:29], exec, s[28:29]
	s_cbranch_execz .LBB14_968
; %bb.954:                              ;   in Loop: Header=BB14_728 Depth=2
	s_and_saveexec_b64 s[30:31], s[14:15]
	s_cbranch_execz .LBB14_967
; %bb.955:                              ;   in Loop: Header=BB14_728 Depth=2
	s_mov_b64 s[56:57], exec
	v_mbcnt_lo_u32_b32 v1, s56, 0
	v_mbcnt_hi_u32_b32 v1, s57, v1
	v_cmp_eq_u32_e32 vcc, 0, v1
	;;#ASMSTART
	s_waitcnt lgkmcnt(0) vmcnt(0)
	;;#ASMEND
	s_and_saveexec_b64 s[54:55], vcc
	s_cbranch_execz .LBB14_957
; %bb.956:                              ;   in Loop: Header=BB14_728 Depth=2
	s_bcnt1_i32_b64 vcc_lo, s[56:57]
	v_mov_b32_e32 v2, vcc_lo
	ds_add_u64 v0, v[2:3]
	s_trap 2
.LBB14_957:                             ;   in Loop: Header=BB14_728 Depth=2
	s_or_b64 exec, exec, s[54:55]
	s_trap 2
	ds_read_b64 v[4:5], v0
	v_lshl_add_u64 v[38:39], v[38:39], 0, v[52:53]
	s_waitcnt lgkmcnt(0)
	v_cmp_lt_u64_e32 vcc, v[4:5], v[38:39]
	s_and_saveexec_b64 s[54:55], vcc
	s_cbranch_execz .LBB14_966
; %bb.958:                              ;   in Loop: Header=BB14_728 Depth=2
	s_mov_b32 s66, 0
	s_mov_b64 s[56:57], 0
                                        ; implicit-def: $sgpr58_sgpr59
                                        ; implicit-def: $sgpr60_sgpr61
	s_branch .LBB14_960
.LBB14_959:                             ;   in Loop: Header=BB14_960 Depth=3
	s_or_b64 exec, exec, s[64:65]
	s_and_b64 vcc, exec, vcc
	s_or_b64 s[56:57], vcc, s[56:57]
	s_andn2_b64 vcc, s[58:59], exec
	s_and_b64 s[58:59], s[60:61], exec
	s_or_b64 s[58:59], vcc, s[58:59]
	s_andn2_b64 exec, exec, s[56:57]
	s_cbranch_execz .LBB14_964
.LBB14_960:                             ;   Parent Loop BB14_47 Depth=1
                                        ;     Parent Loop BB14_728 Depth=2
                                        ; =>    This Inner Loop Header: Depth=3
	s_add_i32 s66, s66, 1
	s_cmpk_lg_i32 s66, 0x2710
	s_cselect_b64 s[62:63], -1, 0
	s_and_b64 vcc, exec, s[62:63]
                                        ; implicit-def: $sgpr64_sgpr65
	s_cbranch_vccnz .LBB14_962
; %bb.961:                              ;   in Loop: Header=BB14_960 Depth=3
	s_trap 2
	ds_read_b64 v[4:5], v0
	s_andn2_b64 s[62:63], s[62:63], exec
	s_mov_b32 s66, 0
	s_mov_b64 s[64:65], -1
	s_waitcnt vmcnt(0) lgkmcnt(0)
	flat_load_dword v1, v[4:5] sc0 sc1
	s_waitcnt vmcnt(0) lgkmcnt(0)
	buffer_inv sc0 sc1
	v_cmp_eq_u32_e32 vcc, 0, v1
	s_and_b64 vcc, vcc, exec
	s_or_b64 s[62:63], s[62:63], vcc
.LBB14_962:                             ;   in Loop: Header=BB14_960 Depth=3
	s_andn2_b64 s[60:61], s[60:61], exec
	s_and_b64 s[64:65], s[64:65], exec
	s_mov_b64 vcc, -1
	s_or_b64 s[60:61], s[60:61], s[64:65]
	s_and_saveexec_b64 s[64:65], s[62:63]
	s_cbranch_execz .LBB14_959
; %bb.963:                              ;   in Loop: Header=BB14_960 Depth=3
	s_sleep 1
	s_trap 2
	ds_read_b64 v[4:5], v0
	s_andn2_b64 s[60:61], s[60:61], exec
	s_waitcnt lgkmcnt(0)
	v_cmp_ge_u64_e32 vcc, v[4:5], v[38:39]
	s_orn2_b64 vcc, vcc, exec
	s_branch .LBB14_959
.LBB14_964:                             ;   in Loop: Header=BB14_728 Depth=2
	s_or_b64 exec, exec, s[56:57]
	s_and_saveexec_b64 vcc, s[58:59]
	s_xor_b64 vcc, exec, vcc
	s_cbranch_execz .LBB14_966
; %bb.965:                              ;   in Loop: Header=BB14_728 Depth=2
	ds_write_b32 v0, v17
	s_trap 2
.LBB14_966:                             ;   in Loop: Header=BB14_728 Depth=2
	s_or_b64 exec, exec, s[54:55]
	;;#ASMSTART
	s_wakeup
	;;#ASMEND
.LBB14_967:                             ;   in Loop: Header=BB14_728 Depth=2
	s_or_b64 exec, exec, s[30:31]
.LBB14_968:                             ;   in Loop: Header=BB14_728 Depth=2
	s_andn2_saveexec_b64 s[28:29], s[28:29]
	s_cbranch_execz .LBB14_970
; %bb.969:                              ;   in Loop: Header=BB14_728 Depth=2
	;;#ASMSTART
	s_waitcnt lgkmcnt(0) vmcnt(0)
	;;#ASMEND
	s_barrier
.LBB14_970:                             ;   in Loop: Header=BB14_728 Depth=2
	s_or_b64 exec, exec, s[28:29]
	v_and_b32_e32 v1, 16, v0
.LBB14_971:                             ;   in Loop: Header=BB14_728 Depth=2
	s_or_b64 exec, exec, s[24:25]
	v_cmp_ne_u32_e32 vcc, 0, v1
	s_xor_b64 s[24:25], s[10:11], -1
	s_and_b64 s[28:29], vcc, s[24:25]
	s_and_saveexec_b64 s[24:25], s[28:29]
	s_cbranch_execz .LBB14_973
; %bb.972:                              ;   in Loop: Header=BB14_728 Depth=2
	flat_store_dword v[50:51], v17 sc0 sc1
.LBB14_973:                             ;   in Loop: Header=BB14_728 Depth=2
	s_or_b64 exec, exec, s[24:25]
	v_and_b32_e32 v1, 48, v0
	v_cmp_ne_u32_e32 vcc, 0, v1
	s_and_saveexec_b64 s[24:25], vcc
	s_cbranch_execz .LBB14_975
; %bb.974:                              ;   in Loop: Header=BB14_728 Depth=2
	v_lshl_add_u64 v[54:55], v[54:55], 0, 4
	flat_store_dwordx2 v[42:43], v[54:55] sc0 sc1
.LBB14_975:                             ;   in Loop: Header=BB14_728 Depth=2
	s_or_b64 exec, exec, s[24:25]
.LBB14_976:                             ;   in Loop: Header=BB14_728 Depth=2
	s_or_b64 exec, exec, s[26:27]
	s_add_i32 s24, s70, 1
	s_cmp_eq_u32 s70, s82
	v_accvgpr_read_b32 v44, a44
	s_cbranch_scc1 .LBB14_978
; %bb.977:                              ;   in Loop: Header=BB14_728 Depth=2
	s_mov_b32 s70, s24
	s_branch .LBB14_728
.LBB14_978:                             ;   in Loop: Header=BB14_47 Depth=1
	v_mul_lo_u32 v1, v47, s80
	v_mul_lo_u32 v2, v46, s81
	v_mad_u64_u32 v[4:5], s[24:25], v46, s80, 0
	v_add3_u32 v5, v5, v2, v1
	v_sub_co_u32_e32 v6, vcc, v20, v4
	v_mov_b32_e32 v8, 0
	s_nop 0
	v_subb_co_u32_e32 v7, vcc, v21, v5, vcc
	v_cmp_lt_i64_e32 vcc, v[46:47], v[6:7]
	s_nop 1
	v_cndmask_b32_e32 v2, v6, v46, vcc
	v_max_i32_e32 v1, 0, v2
	v_add_u32_e32 v6, 15, v1
	v_ashrrev_i32_e32 v7, 31, v6
	v_lshrrev_b32_e32 v7, 28, v7
	v_add_u32_e32 v6, v6, v7
	v_cmp_gt_i32_e32 vcc, 1, v2
	v_and_b32_e32 v6, -16, v6
	s_or_b64 s[26:27], s[2:3], vcc
	v_max_i32_e32 v10, s79, v6
	s_xor_b64 s[24:25], s[26:27], -1
	s_and_saveexec_b64 s[28:29], s[24:25]
	s_cbranch_execz .LBB14_1115
; %bb.979:                              ;   in Loop: Header=BB14_47 Depth=1
	s_and_saveexec_b64 s[24:25], s[0:1]
	s_cbranch_execz .LBB14_981
; %bb.980:                              ;   in Loop: Header=BB14_47 Depth=1
	s_trap 2
	ds_read_b128 v[6:9], v0
	v_accvgpr_read_b32 v12, a48
	v_accvgpr_read_b32 v13, a49
	v_lshl_add_u64 v[4:5], v[4:5], 0, v[12:13]
	v_lshlrev_b64 v[4:5], 1, v[4:5]
	s_waitcnt lgkmcnt(0)
	v_lshl_add_u64 v[6:7], v[6:7], 0, v[4:5]
	v_lshl_add_u64 v[4:5], v[8:9], 0, v[4:5]
	v_cmp_ne_u64_e32 vcc, 0, v[8:9]
	ds_write_b64 v0, v[6:7]
	s_nop 0
	v_cndmask_b32_e32 v5, 0, v5, vcc
	v_cndmask_b32_e32 v4, 0, v4, vcc
	ds_write_b64 v0, v[4:5]
.LBB14_981:                             ;   in Loop: Header=BB14_47 Depth=1
	s_or_b64 exec, exec, s[24:25]
	v_and_b32_e32 v2, 4, v0
	v_cmp_ne_u32_e32 vcc, 0, v2
	s_mov_b64 s[30:31], -1
	s_and_saveexec_b64 s[24:25], vcc
	s_cbranch_execz .LBB14_991
; %bb.982:                              ;   in Loop: Header=BB14_47 Depth=1
	v_lshl_add_u64 v[4:5], v[54:55], 0, 4
	v_cmp_lt_u64_e32 vcc, v[56:57], v[4:5]
	v_mov_b32_e32 v2, 1
	s_and_saveexec_b64 s[30:31], vcc
	s_cbranch_execz .LBB14_1002
; %bb.983:                              ;   in Loop: Header=BB14_47 Depth=1
	s_mov_b64 s[54:55], 0
	v_mov_b32_e32 v2, 0
                                        ; implicit-def: $sgpr56_sgpr57
	s_branch .LBB14_987
.LBB14_984:                             ;   in Loop: Header=BB14_987 Depth=2
	s_or_b64 exec, exec, s[64:65]
	v_mov_b32_e32 v6, 0
	s_orn2_b64 s[62:63], s[62:63], exec
.LBB14_985:                             ;   in Loop: Header=BB14_987 Depth=2
	s_or_b64 exec, exec, s[60:61]
	s_andn2_b64 vcc, s[56:57], exec
	s_and_b64 s[56:57], s[62:63], exec
	s_or_b64 s[56:57], vcc, s[56:57]
	v_mov_b32_e32 v2, v6
.LBB14_986:                             ;   in Loop: Header=BB14_987 Depth=2
	s_or_b64 exec, exec, s[58:59]
	s_waitcnt vmcnt(0) lgkmcnt(0)
	v_cmp_ge_u64_e32 vcc, v[56:57], v[4:5]
	s_xor_b64 s[58:59], s[56:57], -1
	s_or_b64 vcc, s[58:59], vcc
	s_and_b64 vcc, exec, vcc
	s_or_b64 s[54:55], vcc, s[54:55]
	s_andn2_b64 exec, exec, s[54:55]
	s_cbranch_execz .LBB14_1001
.LBB14_987:                             ;   Parent Loop BB14_47 Depth=1
                                        ; =>  This Inner Loop Header: Depth=2
	s_sleep 1
	flat_load_dwordx2 v[56:57], v[42:43] sc0 sc1
	v_and_b32_e32 v6, 64, v0
	v_cmp_eq_u32_e32 vcc, 0, v6
	s_andn2_b64 s[56:57], s[56:57], exec
	s_and_saveexec_b64 s[58:59], vcc
	s_cbranch_execz .LBB14_986
; %bb.988:                              ;   in Loop: Header=BB14_987 Depth=2
	v_add_u32_e32 v6, 1, v2
	v_cmp_lt_i32_e32 vcc, s83, v2
	s_mov_b64 s[62:63], -1
	s_and_saveexec_b64 s[60:61], vcc
	s_cbranch_execz .LBB14_985
; %bb.989:                              ;   in Loop: Header=BB14_987 Depth=2
	s_trap 2
	ds_read_b64 v[6:7], v0
	s_waitcnt vmcnt(0) lgkmcnt(0)
	flat_load_dword v2, v[6:7] sc0 sc1
	s_waitcnt vmcnt(0) lgkmcnt(0)
	buffer_inv sc0 sc1
	v_cmp_ne_u32_e32 vcc, 0, v2
	s_and_saveexec_b64 s[64:65], vcc
	s_cbranch_execz .LBB14_984
; %bb.990:                              ;   in Loop: Header=BB14_987 Depth=2
	v_or_b32_e32 v0, 64, v0
	s_xor_b64 s[62:63], exec, -1
	ds_write_b32 v0, v2
	s_trap 2
	s_branch .LBB14_984
.LBB14_991:                             ;   in Loop: Header=BB14_47 Depth=1
	s_or_b64 exec, exec, s[24:25]
	s_xor_b64 s[24:25], s[30:31], -1
	s_and_saveexec_b64 s[30:31], s[24:25]
	s_cbranch_execz .LBB14_1003
.LBB14_992:                             ;   in Loop: Header=BB14_47 Depth=1
	v_and_b32_e32 v2, 0x100, v0
	v_cmp_ne_u32_e32 vcc, 0, v2
	v_and_b32_e32 v2, 7, v54
	s_mov_b64 s[24:25], -1
                                        ; implicit-def: $vgpr4_vgpr5
	s_and_saveexec_b64 s[54:55], vcc
	s_cbranch_execz .LBB14_996
; %bb.993:                              ;   in Loop: Header=BB14_47 Depth=1
	v_mad_u64_u32 v[6:7], s[24:25], v2, 24, v[36:37]
	flat_load_dword v4, v[6:7]
	s_waitcnt vmcnt(0) lgkmcnt(0)
	v_cmp_ne_u32_e32 vcc, 1, v4
	v_cmp_eq_u32_e64 s[24:25], 1, v4
                                        ; implicit-def: $vgpr4_vgpr5
	s_and_saveexec_b64 s[56:57], s[24:25]
	s_cbranch_execz .LBB14_995
; %bb.994:                              ;   in Loop: Header=BB14_47 Depth=1
	flat_load_dword v4, v[6:7] offset:4 sc0 sc1
	s_waitcnt vmcnt(0) lgkmcnt(0)
	v_ashrrev_i32_e32 v5, 31, v4
	v_lshrrev_b64 v[4:5], 1, v[4:5]
.LBB14_995:                             ;   in Loop: Header=BB14_47 Depth=1
	s_or_b64 exec, exec, s[56:57]
	s_orn2_b64 s[24:25], vcc, exec
.LBB14_996:                             ;   in Loop: Header=BB14_47 Depth=1
	s_or_b64 exec, exec, s[54:55]
	s_and_saveexec_b64 vcc, s[24:25]
; %bb.997:                              ;   in Loop: Header=BB14_47 Depth=1
	v_mad_i64_i32 v[4:5], s[24:25], v2, v40, 0
; %bb.998:                              ;   in Loop: Header=BB14_47 Depth=1
	s_or_b64 exec, exec, vcc
	v_and_b32_e32 v2, 0x2000, v0
	v_lshl_add_u64 v[4:5], v[4:5], 1, v[48:49]
	v_cmp_ne_u32_e32 vcc, 0, v2
	ds_write_b64 v0, v[4:5] offset:720
	s_and_saveexec_b64 s[24:25], vcc
	s_cbranch_execz .LBB14_1000
; %bb.999:                              ;   in Loop: Header=BB14_47 Depth=1
	ds_read_b64 v[4:5], v0 offset:584
	s_waitcnt lgkmcnt(0)
	v_lshl_add_u64 v[4:5], v[4:5], 0, 1
	ds_write_b64 v0, v[4:5] offset:584
.LBB14_1000:                            ;   in Loop: Header=BB14_47 Depth=1
	s_or_b64 exec, exec, s[24:25]
	v_lshl_add_u64 v[54:55], v[54:55], 0, 4
	s_or_b64 exec, exec, s[30:31]
	s_and_saveexec_b64 s[24:25], s[6:7]
	s_cbranch_execz .LBB14_1022
	s_branch .LBB14_1004
.LBB14_1001:                            ;   in Loop: Header=BB14_47 Depth=1
	s_or_b64 exec, exec, s[54:55]
	v_and_b32_e32 v2, 4, v0
.LBB14_1002:                            ;   in Loop: Header=BB14_47 Depth=1
	s_or_b64 exec, exec, s[30:31]
	v_cmp_eq_u32_e32 vcc, 0, v2
	s_orn2_b64 s[30:31], vcc, exec
	;;#ASMSTART
	s_wakeup
	;;#ASMEND
	s_or_b64 exec, exec, s[24:25]
	s_xor_b64 s[24:25], s[30:31], -1
	s_and_saveexec_b64 s[30:31], s[24:25]
	s_cbranch_execnz .LBB14_992
.LBB14_1003:                            ;   in Loop: Header=BB14_47 Depth=1
	s_or_b64 exec, exec, s[30:31]
	s_and_saveexec_b64 s[24:25], s[6:7]
	s_cbranch_execz .LBB14_1022
.LBB14_1004:                            ;   in Loop: Header=BB14_47 Depth=1
	s_and_saveexec_b64 vcc, s[40:41]
	s_xor_b64 s[30:31], exec, vcc
	s_cbranch_execz .LBB14_1019
; %bb.1005:                             ;   in Loop: Header=BB14_47 Depth=1
	s_and_saveexec_b64 s[54:55], s[14:15]
	s_cbranch_execz .LBB14_1018
; %bb.1006:                             ;   in Loop: Header=BB14_47 Depth=1
	s_mov_b64 s[58:59], exec
	v_mbcnt_lo_u32_b32 v2, s58, 0
	v_mbcnt_hi_u32_b32 v2, s59, v2
	v_cmp_eq_u32_e32 vcc, 0, v2
	s_waitcnt lgkmcnt(0)
	s_and_saveexec_b64 s[56:57], vcc
	s_cbranch_execz .LBB14_1008
; %bb.1007:                             ;   in Loop: Header=BB14_47 Depth=1
	s_bcnt1_i32_b64 vcc_lo, s[58:59]
	v_mov_b32_e32 v2, vcc_lo
	ds_add_u64 v0, v[2:3]
	s_trap 2
.LBB14_1008:                            ;   in Loop: Header=BB14_47 Depth=1
	s_or_b64 exec, exec, s[56:57]
	s_trap 2
	ds_read_b64 v[4:5], v0
	v_lshl_add_u64 v[38:39], v[38:39], 0, v[52:53]
	s_waitcnt lgkmcnt(0)
	v_cmp_lt_u64_e32 vcc, v[4:5], v[38:39]
	s_and_saveexec_b64 s[56:57], vcc
	s_cbranch_execz .LBB14_1017
; %bb.1009:                             ;   in Loop: Header=BB14_47 Depth=1
	s_mov_b32 s68, 0
	s_mov_b64 s[58:59], 0
                                        ; implicit-def: $sgpr60_sgpr61
                                        ; implicit-def: $sgpr62_sgpr63
	s_branch .LBB14_1011
.LBB14_1010:                            ;   in Loop: Header=BB14_1011 Depth=2
	s_or_b64 exec, exec, s[66:67]
	s_and_b64 vcc, exec, vcc
	s_or_b64 s[58:59], vcc, s[58:59]
	s_andn2_b64 vcc, s[60:61], exec
	s_and_b64 s[60:61], s[62:63], exec
	s_or_b64 s[60:61], vcc, s[60:61]
	s_andn2_b64 exec, exec, s[58:59]
	s_cbranch_execz .LBB14_1015
.LBB14_1011:                            ;   Parent Loop BB14_47 Depth=1
                                        ; =>  This Inner Loop Header: Depth=2
	s_add_i32 s68, s68, 1
	s_cmpk_lg_i32 s68, 0x2710
	s_cselect_b64 s[64:65], -1, 0
	s_and_b64 vcc, exec, s[64:65]
                                        ; implicit-def: $sgpr66_sgpr67
	s_cbranch_vccnz .LBB14_1013
; %bb.1012:                             ;   in Loop: Header=BB14_1011 Depth=2
	s_trap 2
	ds_read_b64 v[4:5], v0
	s_andn2_b64 s[64:65], s[64:65], exec
	s_mov_b32 s68, 0
	s_mov_b64 s[66:67], -1
	s_waitcnt vmcnt(0) lgkmcnt(0)
	flat_load_dword v2, v[4:5] sc0 sc1
	s_waitcnt vmcnt(0) lgkmcnt(0)
	buffer_inv sc0 sc1
	v_cmp_eq_u32_e32 vcc, 0, v2
	s_and_b64 vcc, vcc, exec
	s_or_b64 s[64:65], s[64:65], vcc
.LBB14_1013:                            ;   in Loop: Header=BB14_1011 Depth=2
	s_andn2_b64 s[62:63], s[62:63], exec
	s_and_b64 s[66:67], s[66:67], exec
	s_mov_b64 vcc, -1
	s_or_b64 s[62:63], s[62:63], s[66:67]
	s_and_saveexec_b64 s[66:67], s[64:65]
	s_cbranch_execz .LBB14_1010
; %bb.1014:                             ;   in Loop: Header=BB14_1011 Depth=2
	s_sleep 1
	s_trap 2
	ds_read_b64 v[4:5], v0
	s_andn2_b64 s[62:63], s[62:63], exec
	s_waitcnt lgkmcnt(0)
	v_cmp_ge_u64_e32 vcc, v[4:5], v[38:39]
	s_orn2_b64 vcc, vcc, exec
	s_branch .LBB14_1010
.LBB14_1015:                            ;   in Loop: Header=BB14_47 Depth=1
	s_or_b64 exec, exec, s[58:59]
	s_and_saveexec_b64 vcc, s[60:61]
	s_xor_b64 vcc, exec, vcc
	s_cbranch_execz .LBB14_1017
; %bb.1016:                             ;   in Loop: Header=BB14_47 Depth=1
	ds_write_b32 v0, v17
	s_trap 2
.LBB14_1017:                            ;   in Loop: Header=BB14_47 Depth=1
	s_or_b64 exec, exec, s[56:57]
	;;#ASMSTART
	s_wakeup
	;;#ASMEND
.LBB14_1018:                            ;   in Loop: Header=BB14_47 Depth=1
	s_or_b64 exec, exec, s[54:55]
.LBB14_1019:                            ;   in Loop: Header=BB14_47 Depth=1
	s_andn2_saveexec_b64 vcc, s[30:31]
	s_cbranch_execz .LBB14_1021
; %bb.1020:                             ;   in Loop: Header=BB14_47 Depth=1
	s_waitcnt lgkmcnt(0)
	s_barrier
.LBB14_1021:                            ;   in Loop: Header=BB14_47 Depth=1
	s_or_b64 exec, exec, vcc
.LBB14_1022:                            ;   in Loop: Header=BB14_47 Depth=1
	s_or_b64 exec, exec, s[24:25]
	s_trap 2
	ds_read_b32 v4, v0
	v_and_b32_e32 v2, 0x4000, v0
	v_cmp_ne_u32_e32 vcc, 0, v2
	s_xor_b64 s[24:25], s[4:5], -1
	s_and_b64 vcc, s[24:25], vcc
	s_and_saveexec_b64 s[24:25], vcc
	s_cbranch_execz .LBB14_1041
; %bb.1023:                             ;   in Loop: Header=BB14_47 Depth=1
	s_and_saveexec_b64 vcc, s[40:41]
	s_xor_b64 s[30:31], exec, vcc
	s_cbranch_execz .LBB14_1038
; %bb.1024:                             ;   in Loop: Header=BB14_47 Depth=1
	s_and_saveexec_b64 s[54:55], s[14:15]
	s_cbranch_execz .LBB14_1037
; %bb.1025:                             ;   in Loop: Header=BB14_47 Depth=1
	s_mov_b64 s[58:59], exec
	v_mbcnt_lo_u32_b32 v2, s58, 0
	v_mbcnt_hi_u32_b32 v2, s59, v2
	v_cmp_eq_u32_e32 vcc, 0, v2
	s_waitcnt lgkmcnt(0)
	s_and_saveexec_b64 s[56:57], vcc
	s_cbranch_execz .LBB14_1027
; %bb.1026:                             ;   in Loop: Header=BB14_47 Depth=1
	s_bcnt1_i32_b64 vcc_lo, s[58:59]
	v_mov_b32_e32 v2, vcc_lo
	ds_add_u64 v0, v[2:3]
	s_trap 2
.LBB14_1027:                            ;   in Loop: Header=BB14_47 Depth=1
	s_or_b64 exec, exec, s[56:57]
	s_trap 2
	ds_read_b64 v[6:7], v0
	v_lshl_add_u64 v[38:39], v[38:39], 0, v[52:53]
	s_waitcnt lgkmcnt(0)
	v_cmp_lt_u64_e32 vcc, v[6:7], v[38:39]
	s_and_saveexec_b64 s[56:57], vcc
	s_cbranch_execz .LBB14_1036
; %bb.1028:                             ;   in Loop: Header=BB14_47 Depth=1
	s_mov_b32 s68, 0
	s_mov_b64 s[58:59], 0
                                        ; implicit-def: $sgpr60_sgpr61
                                        ; implicit-def: $sgpr62_sgpr63
	s_branch .LBB14_1030
.LBB14_1029:                            ;   in Loop: Header=BB14_1030 Depth=2
	s_or_b64 exec, exec, s[66:67]
	s_and_b64 vcc, exec, vcc
	s_or_b64 s[58:59], vcc, s[58:59]
	s_andn2_b64 vcc, s[60:61], exec
	s_and_b64 s[60:61], s[62:63], exec
	s_or_b64 s[60:61], vcc, s[60:61]
	s_andn2_b64 exec, exec, s[58:59]
	s_cbranch_execz .LBB14_1034
.LBB14_1030:                            ;   Parent Loop BB14_47 Depth=1
                                        ; =>  This Inner Loop Header: Depth=2
	s_add_i32 s68, s68, 1
	s_cmpk_lg_i32 s68, 0x2710
	s_cselect_b64 s[64:65], -1, 0
	s_and_b64 vcc, exec, s[64:65]
                                        ; implicit-def: $sgpr66_sgpr67
	s_cbranch_vccnz .LBB14_1032
; %bb.1031:                             ;   in Loop: Header=BB14_1030 Depth=2
	s_trap 2
	ds_read_b64 v[6:7], v0
	s_andn2_b64 s[64:65], s[64:65], exec
	s_mov_b32 s68, 0
	s_mov_b64 s[66:67], -1
	s_waitcnt vmcnt(0) lgkmcnt(0)
	flat_load_dword v2, v[6:7] sc0 sc1
	s_waitcnt vmcnt(0) lgkmcnt(0)
	buffer_inv sc0 sc1
	v_cmp_eq_u32_e32 vcc, 0, v2
	s_and_b64 vcc, vcc, exec
	s_or_b64 s[64:65], s[64:65], vcc
.LBB14_1032:                            ;   in Loop: Header=BB14_1030 Depth=2
	s_andn2_b64 s[62:63], s[62:63], exec
	s_and_b64 s[66:67], s[66:67], exec
	s_mov_b64 vcc, -1
	s_or_b64 s[62:63], s[62:63], s[66:67]
	s_and_saveexec_b64 s[66:67], s[64:65]
	s_cbranch_execz .LBB14_1029
; %bb.1033:                             ;   in Loop: Header=BB14_1030 Depth=2
	s_sleep 1
	s_trap 2
	ds_read_b64 v[6:7], v0
	s_andn2_b64 s[62:63], s[62:63], exec
	s_waitcnt lgkmcnt(0)
	v_cmp_ge_u64_e32 vcc, v[6:7], v[38:39]
	s_orn2_b64 vcc, vcc, exec
	s_branch .LBB14_1029
.LBB14_1034:                            ;   in Loop: Header=BB14_47 Depth=1
	s_or_b64 exec, exec, s[58:59]
	s_and_saveexec_b64 vcc, s[60:61]
	s_xor_b64 vcc, exec, vcc
	s_cbranch_execz .LBB14_1036
; %bb.1035:                             ;   in Loop: Header=BB14_47 Depth=1
	ds_write_b32 v0, v17
	s_trap 2
.LBB14_1036:                            ;   in Loop: Header=BB14_47 Depth=1
	s_or_b64 exec, exec, s[56:57]
	;;#ASMSTART
	s_wakeup
	;;#ASMEND
.LBB14_1037:                            ;   in Loop: Header=BB14_47 Depth=1
	s_or_b64 exec, exec, s[54:55]
.LBB14_1038:                            ;   in Loop: Header=BB14_47 Depth=1
	s_andn2_saveexec_b64 vcc, s[30:31]
	s_cbranch_execz .LBB14_1040
; %bb.1039:                             ;   in Loop: Header=BB14_47 Depth=1
	s_waitcnt lgkmcnt(0)
	s_barrier
.LBB14_1040:                            ;   in Loop: Header=BB14_47 Depth=1
	s_or_b64 exec, exec, vcc
.LBB14_1041:                            ;   in Loop: Header=BB14_47 Depth=1
	s_or_b64 exec, exec, s[24:25]
	s_trap 2
	ds_read_b64 v[6:7], v0
	v_min_i32_e32 v10, v10, v1
	s_waitcnt lgkmcnt(0)
	v_readfirstlane_b32 s24, v6
	v_readfirstlane_b32 s25, v7
	s_cmp_eq_u64 s[24:25], 0
	s_cselect_b64 s[24:25], -1, 0
	s_or_b64 vcc, s[24:25], s[24:25]
	s_mov_b64 s[24:25], 0
	s_and_b64 vcc, exec, vcc
	s_cbranch_vccnz .LBB14_1048
; %bb.1042:                             ;   in Loop: Header=BB14_47 Depth=1
	s_mov_b64 s[24:25], -1
	s_and_saveexec_b64 s[30:31], s[18:19]
	s_cbranch_execz .LBB14_1044
; %bb.1043:                             ;   in Loop: Header=BB14_47 Depth=1
	ds_read_b32 v2, v0 offset:720
	s_waitcnt lgkmcnt(0)
	v_and_b32_e32 v2, 15, v2
	v_cmp_eq_u32_e32 vcc, 0, v2
	s_orn2_b64 s[24:25], vcc, exec
.LBB14_1044:                            ;   in Loop: Header=BB14_47 Depth=1
	s_or_b64 exec, exec, s[30:31]
	s_and_saveexec_b64 s[30:31], s[16:17]
	s_cbranch_execz .LBB14_1046
; %bb.1045:                             ;   in Loop: Header=BB14_47 Depth=1
	ds_read_b32 v2, v0 offset:784
	s_waitcnt lgkmcnt(0)
	v_and_b32_e32 v2, 15, v2
	v_cmp_eq_u32_e32 vcc, 0, v2
	s_and_b64 vcc, s[24:25], vcc
	s_andn2_b64 s[24:25], s[24:25], exec
	s_and_b64 vcc, vcc, exec
	s_or_b64 s[24:25], s[24:25], vcc
.LBB14_1046:                            ;   in Loop: Header=BB14_47 Depth=1
	s_or_b64 exec, exec, s[30:31]
	v_cmp_eq_u32_e32 vcc, 0, v4
	s_xor_b64 s[24:25], s[24:25], -1
	v_cndmask_b32_e64 v4, 0, 1, s[24:25]
	v_cndmask_b32_e32 v2, 0, v10, vcc
	v_mov_b32_e32 v12, 0
	v_lshlrev_b32_e32 v11, 1, v2
	s_mov_b64 s[54:55], -1
	;;#ASMSTART
	;;#ASMEND
	s_nop 0
	v_cmp_ne_u32_e32 vcc, 0, v4
	s_cbranch_vccz .LBB14_1060
; %bb.1047:                             ;   in Loop: Header=BB14_47 Depth=1
	v_mov_b32_e32 v13, v32
	v_mov_b32_e32 v6, v41
	s_and_saveexec_b64 s[24:25], s[54:55]
	s_cbranch_execnz .LBB14_1073
	s_branch .LBB14_1081
.LBB14_1048:                            ;   in Loop: Header=BB14_47 Depth=1
	s_and_saveexec_b64 s[30:31], s[6:7]
	s_cbranch_execz .LBB14_1082
.LBB14_1049:                            ;   in Loop: Header=BB14_47 Depth=1
	s_and_saveexec_b64 vcc, s[40:41]
	s_xor_b64 s[54:55], exec, vcc
	s_cbranch_execz .LBB14_1090
; %bb.1050:                             ;   in Loop: Header=BB14_47 Depth=1
	s_and_saveexec_b64 s[56:57], s[14:15]
	s_cbranch_execz .LBB14_1089
; %bb.1051:                             ;   in Loop: Header=BB14_47 Depth=1
	s_mov_b64 s[60:61], exec
	v_mbcnt_lo_u32_b32 v2, s60, 0
	v_mbcnt_hi_u32_b32 v2, s61, v2
	v_cmp_eq_u32_e32 vcc, 0, v2
	s_waitcnt lgkmcnt(0)
	s_and_saveexec_b64 s[58:59], vcc
	s_cbranch_execz .LBB14_1053
; %bb.1052:                             ;   in Loop: Header=BB14_47 Depth=1
	s_bcnt1_i32_b64 vcc_lo, s[60:61]
	v_mov_b32_e32 v2, vcc_lo
	ds_add_u64 v0, v[2:3]
	s_trap 2
.LBB14_1053:                            ;   in Loop: Header=BB14_47 Depth=1
	s_or_b64 exec, exec, s[58:59]
	s_trap 2
	ds_read_b64 v[4:5], v0
	v_lshl_add_u64 v[38:39], v[38:39], 0, v[52:53]
	s_waitcnt lgkmcnt(0)
	v_cmp_lt_u64_e32 vcc, v[4:5], v[38:39]
	s_and_saveexec_b64 s[58:59], vcc
	s_cbranch_execz .LBB14_1088
; %bb.1054:                             ;   in Loop: Header=BB14_47 Depth=1
	s_mov_b32 s70, 0
	s_mov_b64 s[60:61], 0
                                        ; implicit-def: $sgpr62_sgpr63
                                        ; implicit-def: $sgpr64_sgpr65
	s_branch .LBB14_1056
.LBB14_1055:                            ;   in Loop: Header=BB14_1056 Depth=2
	s_or_b64 exec, exec, s[68:69]
	s_and_b64 vcc, exec, vcc
	s_or_b64 s[60:61], vcc, s[60:61]
	s_andn2_b64 vcc, s[62:63], exec
	s_and_b64 s[62:63], s[64:65], exec
	s_or_b64 s[62:63], vcc, s[62:63]
	s_andn2_b64 exec, exec, s[60:61]
	s_cbranch_execz .LBB14_1086
.LBB14_1056:                            ;   Parent Loop BB14_47 Depth=1
                                        ; =>  This Inner Loop Header: Depth=2
	s_add_i32 s70, s70, 1
	s_cmpk_lg_i32 s70, 0x2710
	s_cselect_b64 s[66:67], -1, 0
	s_and_b64 vcc, exec, s[66:67]
                                        ; implicit-def: $sgpr68_sgpr69
	s_cbranch_vccnz .LBB14_1058
; %bb.1057:                             ;   in Loop: Header=BB14_1056 Depth=2
	s_trap 2
	ds_read_b64 v[4:5], v0
	s_andn2_b64 s[66:67], s[66:67], exec
	s_mov_b32 s70, 0
	s_mov_b64 s[68:69], -1
	s_waitcnt vmcnt(0) lgkmcnt(0)
	flat_load_dword v2, v[4:5] sc0 sc1
	s_waitcnt vmcnt(0) lgkmcnt(0)
	buffer_inv sc0 sc1
	v_cmp_eq_u32_e32 vcc, 0, v2
	s_and_b64 vcc, vcc, exec
	s_or_b64 s[66:67], s[66:67], vcc
.LBB14_1058:                            ;   in Loop: Header=BB14_1056 Depth=2
	s_andn2_b64 s[64:65], s[64:65], exec
	s_and_b64 s[68:69], s[68:69], exec
	s_mov_b64 vcc, -1
	s_or_b64 s[64:65], s[64:65], s[68:69]
	s_and_saveexec_b64 s[68:69], s[66:67]
	s_cbranch_execz .LBB14_1055
; %bb.1059:                             ;   in Loop: Header=BB14_1056 Depth=2
	s_sleep 1
	s_trap 2
	ds_read_b64 v[4:5], v0
	s_andn2_b64 s[64:65], s[64:65], exec
	s_waitcnt lgkmcnt(0)
	v_cmp_ge_u64_e32 vcc, v[4:5], v[38:39]
	s_orn2_b64 vcc, vcc, exec
	s_branch .LBB14_1055
.LBB14_1060:                            ;   in Loop: Header=BB14_47 Depth=1
	v_ashrrev_i32_e32 v4, 31, v11
	v_lshrrev_b32_e32 v4, 19, v4
	v_add_u32_e32 v4, v11, v4
	v_ashrrev_i32_e32 v8, 13, v4
	v_sub_u32_e32 v9, v8, v41
	v_cmp_lt_i32_e32 vcc, 0, v9
	s_and_saveexec_b64 s[30:31], vcc
	s_cbranch_execz .LBB14_1064
; %bb.1061:                             ;   in Loop: Header=BB14_47 Depth=1
	s_trap 2
	ds_read_b64 v[4:5], v0
	v_accvgpr_write_b32 a12, v38
	v_accvgpr_write_b32 a3, v32
	;; [unrolled: 1-line block ×3, first 2 shown]
	s_mov_b64 s[54:55], 0
	s_waitcnt lgkmcnt(0)
	v_mov_b64_e32 v[6:7], v[4:5]
	v_mov_b64_e32 v[58:59], v[28:29]
.LBB14_1062:                            ;   Parent Loop BB14_47 Depth=1
                                        ; =>  This Inner Loop Header: Depth=2
	s_waitcnt vmcnt(0)
	v_lshl_add_u64 v[28:29], v[22:23], 0, v[6:7]
	v_add_co_u32_e32 v48, vcc, 0x1000, v28
	global_load_dwordx4 v[12:15], v[28:29], off nt
	global_load_dwordx4 v[16:19], v[28:29], off offset:1024 nt
	global_load_dwordx4 v[20:23], v[28:29], off offset:2048 nt
	;; [unrolled: 1-line block ×3, first 2 shown]
	v_addc_co_u32_e32 v49, vcc, 0, v29, vcc
	global_load_dwordx4 v[28:31], v[48:49], off nt
	global_load_dwordx4 v[32:35], v[48:49], off offset:1024 nt
	global_load_dwordx4 v[36:39], v[48:49], off offset:2048 nt
	s_nop 0
	global_load_dwordx4 v[48:51], v[48:49], off offset:3072 nt
	s_nop 0
	scratch_load_dwordx2 v[40:41], off, s33 offset:144 ; 8-byte Folded Reload
	v_sub_u32_e32 v9, v9, v52
	v_cmp_gt_i32_e64 s[24:25], 1, v9
	v_lshl_add_u64 v[6:7], v[6:7], 0, v[58:59]
	s_or_b64 s[54:55], s[24:25], s[54:55]
	s_waitcnt vmcnt(0)
	v_lshl_add_u64 v[40:41], v[40:41], 0, v[4:5]
	global_store_dwordx4 v[40:41], v[12:15], off nt
	global_store_dwordx4 v[40:41], v[16:19], off offset:1024 nt
	global_store_dwordx4 v[40:41], v[20:23], off offset:2048 nt
	scratch_load_dwordx2 v[22:23], off, s33 offset:144 ; 8-byte Folded Reload
	v_lshl_add_u64 v[4:5], v[4:5], 0, v[58:59]
	v_add_co_u32_e32 v44, vcc, 0x1000, v40
	s_nop 1
	v_addc_co_u32_e32 v45, vcc, 0, v41, vcc
	global_store_dwordx4 v[40:41], v[24:27], off offset:3072 nt
	global_store_dwordx4 v[44:45], v[28:31], off nt
	global_store_dwordx4 v[44:45], v[32:35], off offset:1024 nt
	global_store_dwordx4 v[44:45], v[36:39], off offset:2048 nt
	;; [unrolled: 1-line block ×3, first 2 shown]
	s_andn2_b64 exec, exec, s[54:55]
	s_cbranch_execnz .LBB14_1062
; %bb.1063:                             ;   in Loop: Header=BB14_47 Depth=1
	s_or_b64 exec, exec, s[54:55]
	v_accvgpr_read_b32 v37, a15
	v_accvgpr_read_b32 v49, a19
	;; [unrolled: 1-line block ×19, first 2 shown]
	v_mov_b64_e32 v[28:29], v[58:59]
	v_accvgpr_read_b32 v32, a3
	v_accvgpr_read_b32 v31, a37
	;; [unrolled: 1-line block ×4, first 2 shown]
	v_mov_b32_e32 v17, 1
	v_accvgpr_read_b32 v44, a44
.LBB14_1064:                            ;   in Loop: Header=BB14_47 Depth=1
	s_or_b64 exec, exec, s[30:31]
	v_lshlrev_b32_e32 v8, 13, v8
	v_cmp_ne_u32_e32 vcc, v11, v8
	s_mov_b64 s[54:55], 0
	v_mov_b32_e32 v12, 0
                                        ; implicit-def: $vgpr13
                                        ; implicit-def: $vgpr6
	s_and_saveexec_b64 s[30:31], vcc
	s_cbranch_execz .LBB14_1072
; %bb.1065:                             ;   in Loop: Header=BB14_47 Depth=1
	v_lshlrev_b32_e32 v5, 6, v9
	v_accvgpr_read_b32 v6, a33
	v_sub_u32_e32 v5, v6, v5
	v_ashrrev_i32_e32 v6, 31, v5
	v_lshrrev_b32_e32 v6, 26, v6
	v_add_u32_e32 v6, v5, v6
	v_ashrrev_i32_e32 v7, 6, v6
	v_and_b32_e32 v6, 0xffffffc0, v6
	v_sub_u32_e32 v9, v5, v6
	v_sub_u32_e32 v4, v11, v8
	v_lshlrev_b32_e32 v5, 4, v9
	v_lshl_add_u32 v6, v7, 10, v5
	v_ashrrev_i32_e32 v5, 31, v4
	v_lshrrev_b32_e32 v5, 22, v5
	v_add_u32_e32 v5, v4, v5
	v_and_b32_e32 v14, 0xfffffc00, v5
	v_sub_u32_e32 v16, v4, v14
	v_ashrrev_i32_e32 v13, 10, v5
	v_cmp_lt_i32_e32 vcc, 15, v16
	v_sub_u32_e32 v12, v4, v6
	s_nop 0
	v_addc_co_u32_e64 v4, s[24:25], 0, v13, vcc
	v_sub_u32_e32 v15, v4, v7
	v_cmp_lt_i32_e64 s[24:25], 15, v12
	s_and_saveexec_b64 s[54:55], s[24:25]
	s_cbranch_execz .LBB14_1069
; %bb.1066:                             ;   in Loop: Header=BB14_47 Depth=1
	s_trap 2
	ds_read_b64 v[4:5], v0
	v_add_u32_e32 v6, v6, v8
	v_ashrrev_i32_e32 v7, 31, v6
	s_mov_b64 s[56:57], 0
.LBB14_1067:                            ;   Parent Loop BB14_47 Depth=1
                                        ; =>  This Inner Loop Header: Depth=2
	s_waitcnt vmcnt(0) lgkmcnt(0)
	v_lshl_add_u64 v[22:23], v[4:5], 0, v[6:7]
	global_load_dwordx4 v[18:21], v[22:23], off nt
	v_sub_u32_e32 v12, v12, v44
	v_cmp_gt_i32_e64 s[24:25], 16, v12
	v_sub_u32_e32 v15, v15, v52
	v_lshl_add_u64 v[6:7], v[6:7], 0, v[30:31]
	s_or_b64 s[56:57], s[24:25], s[56:57]
	s_waitcnt vmcnt(0)
	global_store_dwordx4 v[22:23], v[18:21], off nt
	s_andn2_b64 exec, exec, s[56:57]
	s_cbranch_execnz .LBB14_1067
; %bb.1068:                             ;   in Loop: Header=BB14_47 Depth=1
	s_or_b64 exec, exec, s[56:57]
	scratch_load_dwordx2 v[22:23], off, s33 offset:144 ; 8-byte Folded Reload
	v_accvgpr_read_b32 v18, a42
	v_accvgpr_read_b32 v19, a43
.LBB14_1069:                            ;   in Loop: Header=BB14_47 Depth=1
	s_or_b64 exec, exec, s[54:55]
	v_and_b32_e32 v4, 14, v11
	v_cndmask_b32_e32 v11, v16, v4, vcc
	v_cmp_ne_u32_e64 s[24:25], 0, v11
	s_mov_b64 s[54:55], 0
	v_mov_b32_e32 v12, 0
                                        ; implicit-def: $vgpr13
                                        ; implicit-def: $vgpr6
	s_and_saveexec_b64 s[56:57], s[24:25]
	s_cbranch_execz .LBB14_1071
; %bb.1070:                             ;   in Loop: Header=BB14_47 Depth=1
	v_sub_u32_e32 v4, v16, v4
	v_cndmask_b32_e32 v4, 0, v4, vcc
	v_cmp_lt_i32_e32 vcc, 0, v15
	v_add3_u32 v12, v14, v8, v4
	s_mov_b64 s[54:55], exec
	v_cndmask_b32_e32 v4, 0, v52, vcc
	v_sub_u32_e32 v4, v4, v15
	v_lshl_add_u32 v13, v4, 6, v9
	v_ashrrev_i32_e32 v4, 31, v13
	v_lshrrev_b32_e32 v4, 26, v4
	v_add_u32_e32 v4, v13, v4
	v_ashrrev_i32_e32 v6, 6, v4
.LBB14_1071:                            ;   in Loop: Header=BB14_47 Depth=1
	s_or_b64 exec, exec, s[56:57]
	s_and_b64 s[54:55], s[54:55], exec
.LBB14_1072:                            ;   in Loop: Header=BB14_47 Depth=1
	s_or_b64 exec, exec, s[30:31]
	s_and_saveexec_b64 s[24:25], s[54:55]
	s_cbranch_execz .LBB14_1081
.LBB14_1073:                            ;   in Loop: Header=BB14_47 Depth=1
	v_ashrrev_i32_e32 v4, 31, v11
	v_lshrrev_b32_e32 v4, 21, v4
	v_add_u32_e32 v4, v11, v4
	v_ashrrev_i32_e32 v16, 11, v4
	v_sub_u32_e32 v14, v16, v6
	v_ashrrev_i32_e32 v4, 31, v13
	v_cmp_lt_i32_e32 vcc, 0, v14
	v_lshrrev_b32_e32 v15, 26, v4
	s_and_saveexec_b64 s[30:31], vcc
	s_cbranch_execz .LBB14_1077
; %bb.1074:                             ;   in Loop: Header=BB14_47 Depth=1
	s_trap 2
	ds_read_b64 v[4:5], v0
	v_add_u32_e32 v7, v13, v15
	v_and_b32_e32 v7, 0x7fffffc0, v7
	v_sub_u32_e32 v7, v13, v7
	v_lshlrev_b32_e32 v7, 1, v7
	v_lshlrev_b32_e32 v6, 11, v6
	v_add3_u32 v6, v7, v12, v6
	v_accvgpr_write_b32 a3, v32
	v_ashrrev_i32_e32 v7, 31, v6
	s_mov_b64 s[54:55], 0
	s_waitcnt lgkmcnt(0)
	v_mov_b64_e32 v[8:9], v[4:5]
.LBB14_1075:                            ;   Parent Loop BB14_47 Depth=1
                                        ; =>  This Inner Loop Header: Depth=2
	v_lshl_add_u64 v[18:19], v[6:7], 0, v[8:9]
	flat_load_ushort v17, v[18:19] nt
	flat_load_ushort v20, v[18:19] offset:128 nt
	flat_load_ushort v21, v[18:19] offset:256 nt
	s_waitcnt vmcnt(0)
	flat_load_ushort v22, v[18:19] offset:384 nt
	flat_load_ushort v23, v[18:19] offset:512 nt
	;; [unrolled: 1-line block ×13, first 2 shown]
	v_sub_u32_e32 v14, v14, v52
	v_cmp_gt_i32_e32 vcc, 1, v14
	v_lshl_add_u64 v[18:19], v[6:7], 0, v[4:5]
	v_lshl_add_u64 v[8:9], v[8:9], 0, v[60:61]
	;; [unrolled: 1-line block ×3, first 2 shown]
	s_or_b64 s[54:55], vcc, s[54:55]
	s_waitcnt lgkmcnt(0)
	flat_store_short v[18:19], v17 nt
	flat_store_short v[18:19], v20 offset:128 nt
	flat_store_short v[18:19], v21 offset:256 nt
	s_waitcnt vmcnt(0)
	flat_store_short v[18:19], v22 offset:384 nt
	flat_store_short v[18:19], v23 offset:512 nt
	flat_store_short v[18:19], v24 offset:640 nt
	flat_store_short v[18:19], v25 offset:768 nt
	flat_store_short v[18:19], v26 offset:896 nt
	flat_store_short v[18:19], v27 offset:1024 nt
	flat_store_short v[18:19], v28 offset:1152 nt
	flat_store_short v[18:19], v29 offset:1280 nt
	flat_store_short v[18:19], v30 offset:1408 nt
	flat_store_short v[18:19], v31 offset:1536 nt
	flat_store_short v[18:19], v32 offset:1664 nt
	flat_store_short v[18:19], v33 offset:1792 nt
	flat_store_short v[18:19], v34 offset:1920 nt
	s_andn2_b64 exec, exec, s[54:55]
	s_cbranch_execnz .LBB14_1075
; %bb.1076:                             ;   in Loop: Header=BB14_47 Depth=1
	s_or_b64 exec, exec, s[54:55]
	scratch_load_dwordx2 v[22:23], off, s33 offset:144 ; 8-byte Folded Reload
	v_accvgpr_read_b32 v35, a25
	v_accvgpr_read_b32 v26, a30
	;; [unrolled: 1-line block ×14, first 2 shown]
	v_mov_b32_e32 v17, 1
.LBB14_1077:                            ;   in Loop: Header=BB14_47 Depth=1
	s_or_b64 exec, exec, s[30:31]
	v_lshlrev_b32_e32 v4, 11, v16
	v_cmp_ne_u32_e32 vcc, v11, v4
	s_and_b64 exec, exec, vcc
	s_cbranch_execz .LBB14_1081
; %bb.1078:                             ;   in Loop: Header=BB14_47 Depth=1
	v_add_u32_e32 v5, v13, v15
	v_and_b32_e32 v5, 0xffffffc0, v5
	v_sub_u32_e32 v5, v13, v5
	v_lshlrev_b32_e32 v6, 6, v14
	v_sub_u32_e32 v5, v5, v6
	v_ashrrev_i32_e32 v6, 31, v5
	v_lshrrev_b32_e32 v6, 26, v6
	v_add_u32_e32 v6, v5, v6
	v_and_b32_e32 v7, 0x7fffffc0, v6
	v_sub_u32_e32 v5, v5, v7
	v_lshlrev_b32_e32 v6, 1, v6
	v_and_b32_e32 v6, 0xffffff80, v6
	v_lshlrev_b32_e32 v5, 1, v5
	v_add3_u32 v6, v6, v5, v4
	v_sub_u32_e32 v8, v11, v6
	v_cmp_lt_i32_e32 vcc, 1, v8
	s_and_b64 exec, exec, vcc
	s_cbranch_execz .LBB14_1081
; %bb.1079:                             ;   in Loop: Header=BB14_47 Depth=1
	s_trap 2
	ds_read_b64 v[4:5], v0
	v_add_u32_e32 v6, v6, v12
	v_ashrrev_i32_e32 v7, 31, v6
	s_mov_b64 s[30:31], 0
.LBB14_1080:                            ;   Parent Loop BB14_47 Depth=1
                                        ; =>  This Inner Loop Header: Depth=2
	s_waitcnt lgkmcnt(0)
	v_lshl_add_u64 v[12:13], v[4:5], 0, v[6:7]
	flat_load_ushort v9, v[12:13] nt
	v_sub_u32_e32 v8, v8, v45
	v_cmp_gt_i32_e32 vcc, 2, v8
	v_lshl_add_u64 v[6:7], v[6:7], 0, v[24:25]
	s_or_b64 s[30:31], vcc, s[30:31]
	s_waitcnt vmcnt(0) lgkmcnt(0)
	flat_store_short v[12:13], v9 nt
	s_andn2_b64 exec, exec, s[30:31]
	s_cbranch_execnz .LBB14_1080
.LBB14_1081:                            ;   in Loop: Header=BB14_47 Depth=1
	s_or_b64 exec, exec, s[24:25]
	v_cmp_lt_i32_e64 s[24:25], 0, v2
	s_and_saveexec_b64 s[30:31], s[6:7]
	s_cbranch_execnz .LBB14_1049
.LBB14_1082:                            ;   in Loop: Header=BB14_47 Depth=1
	s_or_b64 exec, exec, s[30:31]
	s_and_saveexec_b64 vcc, s[22:23]
	s_xor_b64 s[30:31], exec, vcc
	s_cbranch_execz .LBB14_1093
.LBB14_1083:                            ;   in Loop: Header=BB14_47 Depth=1
	v_and_b32_e32 v2, 16, v0
	v_cmp_ne_u32_e32 vcc, 0, v2
	s_and_b64 vcc, vcc, s[24:25]
	s_and_saveexec_b64 s[24:25], vcc
	s_cbranch_execz .LBB14_1085
; %bb.1084:                             ;   in Loop: Header=BB14_47 Depth=1
	buffer_wbl2 sc1
	s_waitcnt vmcnt(0) lgkmcnt(0)
	buffer_inv sc1
.LBB14_1085:                            ;   in Loop: Header=BB14_47 Depth=1
	s_or_b64 exec, exec, s[24:25]
	s_andn2_saveexec_b64 s[24:25], s[30:31]
	s_cbranch_execz .LBB14_1112
	s_branch .LBB14_1094
.LBB14_1086:                            ;   in Loop: Header=BB14_47 Depth=1
	s_or_b64 exec, exec, s[60:61]
	s_and_saveexec_b64 vcc, s[62:63]
	s_xor_b64 vcc, exec, vcc
	s_cbranch_execz .LBB14_1088
; %bb.1087:                             ;   in Loop: Header=BB14_47 Depth=1
	ds_write_b32 v0, v17
	s_trap 2
.LBB14_1088:                            ;   in Loop: Header=BB14_47 Depth=1
	s_or_b64 exec, exec, s[58:59]
	;;#ASMSTART
	s_wakeup
	;;#ASMEND
.LBB14_1089:                            ;   in Loop: Header=BB14_47 Depth=1
	s_or_b64 exec, exec, s[56:57]
.LBB14_1090:                            ;   in Loop: Header=BB14_47 Depth=1
	s_andn2_saveexec_b64 vcc, s[54:55]
	s_cbranch_execz .LBB14_1092
; %bb.1091:                             ;   in Loop: Header=BB14_47 Depth=1
	s_waitcnt lgkmcnt(0)
	s_barrier
.LBB14_1092:                            ;   in Loop: Header=BB14_47 Depth=1
	s_or_b64 exec, exec, vcc
	s_or_b64 exec, exec, s[30:31]
	s_and_saveexec_b64 vcc, s[22:23]
	s_xor_b64 s[30:31], exec, vcc
	s_cbranch_execnz .LBB14_1083
.LBB14_1093:                            ;   in Loop: Header=BB14_47 Depth=1
	s_andn2_saveexec_b64 s[24:25], s[30:31]
	s_cbranch_execz .LBB14_1112
.LBB14_1094:                            ;   in Loop: Header=BB14_47 Depth=1
	s_and_saveexec_b64 vcc, s[40:41]
	s_xor_b64 s[30:31], exec, vcc
	s_cbranch_execz .LBB14_1109
; %bb.1095:                             ;   in Loop: Header=BB14_47 Depth=1
	s_and_saveexec_b64 s[54:55], s[14:15]
	s_cbranch_execz .LBB14_1108
; %bb.1096:                             ;   in Loop: Header=BB14_47 Depth=1
	s_mov_b64 s[58:59], exec
	v_mbcnt_lo_u32_b32 v2, s58, 0
	v_mbcnt_hi_u32_b32 v2, s59, v2
	v_cmp_eq_u32_e32 vcc, 0, v2
	;;#ASMSTART
	s_waitcnt lgkmcnt(0) vmcnt(0)
	;;#ASMEND
	s_and_saveexec_b64 s[56:57], vcc
	s_cbranch_execz .LBB14_1098
; %bb.1097:                             ;   in Loop: Header=BB14_47 Depth=1
	s_bcnt1_i32_b64 vcc_lo, s[58:59]
	v_mov_b32_e32 v2, vcc_lo
	ds_add_u64 v0, v[2:3]
	s_trap 2
.LBB14_1098:                            ;   in Loop: Header=BB14_47 Depth=1
	s_or_b64 exec, exec, s[56:57]
	s_trap 2
	ds_read_b64 v[4:5], v0
	v_lshl_add_u64 v[38:39], v[38:39], 0, v[52:53]
	s_waitcnt lgkmcnt(0)
	v_cmp_lt_u64_e32 vcc, v[4:5], v[38:39]
	s_and_saveexec_b64 s[56:57], vcc
	s_cbranch_execz .LBB14_1107
; %bb.1099:                             ;   in Loop: Header=BB14_47 Depth=1
	s_mov_b32 s68, 0
	s_mov_b64 s[58:59], 0
                                        ; implicit-def: $sgpr60_sgpr61
                                        ; implicit-def: $sgpr62_sgpr63
	s_branch .LBB14_1101
.LBB14_1100:                            ;   in Loop: Header=BB14_1101 Depth=2
	s_or_b64 exec, exec, s[66:67]
	s_and_b64 vcc, exec, vcc
	s_or_b64 s[58:59], vcc, s[58:59]
	s_andn2_b64 vcc, s[60:61], exec
	s_and_b64 s[60:61], s[62:63], exec
	s_or_b64 s[60:61], vcc, s[60:61]
	s_andn2_b64 exec, exec, s[58:59]
	s_cbranch_execz .LBB14_1105
.LBB14_1101:                            ;   Parent Loop BB14_47 Depth=1
                                        ; =>  This Inner Loop Header: Depth=2
	s_add_i32 s68, s68, 1
	s_cmpk_lg_i32 s68, 0x2710
	s_cselect_b64 s[64:65], -1, 0
	s_and_b64 vcc, exec, s[64:65]
                                        ; implicit-def: $sgpr66_sgpr67
	s_cbranch_vccnz .LBB14_1103
; %bb.1102:                             ;   in Loop: Header=BB14_1101 Depth=2
	s_trap 2
	ds_read_b64 v[4:5], v0
	s_andn2_b64 s[64:65], s[64:65], exec
	s_mov_b32 s68, 0
	s_mov_b64 s[66:67], -1
	s_waitcnt vmcnt(0) lgkmcnt(0)
	flat_load_dword v2, v[4:5] sc0 sc1
	s_waitcnt vmcnt(0) lgkmcnt(0)
	buffer_inv sc0 sc1
	v_cmp_eq_u32_e32 vcc, 0, v2
	s_and_b64 vcc, vcc, exec
	s_or_b64 s[64:65], s[64:65], vcc
.LBB14_1103:                            ;   in Loop: Header=BB14_1101 Depth=2
	s_andn2_b64 s[62:63], s[62:63], exec
	s_and_b64 s[66:67], s[66:67], exec
	s_mov_b64 vcc, -1
	s_or_b64 s[62:63], s[62:63], s[66:67]
	s_and_saveexec_b64 s[66:67], s[64:65]
	s_cbranch_execz .LBB14_1100
; %bb.1104:                             ;   in Loop: Header=BB14_1101 Depth=2
	s_sleep 1
	s_trap 2
	ds_read_b64 v[4:5], v0
	s_andn2_b64 s[62:63], s[62:63], exec
	s_waitcnt lgkmcnt(0)
	v_cmp_ge_u64_e32 vcc, v[4:5], v[38:39]
	s_orn2_b64 vcc, vcc, exec
	s_branch .LBB14_1100
.LBB14_1105:                            ;   in Loop: Header=BB14_47 Depth=1
	s_or_b64 exec, exec, s[58:59]
	s_and_saveexec_b64 vcc, s[60:61]
	s_xor_b64 vcc, exec, vcc
	s_cbranch_execz .LBB14_1107
; %bb.1106:                             ;   in Loop: Header=BB14_47 Depth=1
	ds_write_b32 v0, v17
	s_trap 2
.LBB14_1107:                            ;   in Loop: Header=BB14_47 Depth=1
	s_or_b64 exec, exec, s[56:57]
	;;#ASMSTART
	s_wakeup
	;;#ASMEND
.LBB14_1108:                            ;   in Loop: Header=BB14_47 Depth=1
	s_or_b64 exec, exec, s[54:55]
.LBB14_1109:                            ;   in Loop: Header=BB14_47 Depth=1
	s_andn2_saveexec_b64 vcc, s[30:31]
	s_cbranch_execz .LBB14_1111
; %bb.1110:                             ;   in Loop: Header=BB14_47 Depth=1
	;;#ASMSTART
	s_waitcnt lgkmcnt(0) vmcnt(0)
	;;#ASMEND
	s_barrier
.LBB14_1111:                            ;   in Loop: Header=BB14_47 Depth=1
	s_or_b64 exec, exec, vcc
.LBB14_1112:                            ;   in Loop: Header=BB14_47 Depth=1
	s_or_b64 exec, exec, s[24:25]
	v_and_b32_e32 v2, 32, v0
	v_cmp_ne_u32_e32 vcc, 0, v2
	s_and_saveexec_b64 s[24:25], vcc
	s_cbranch_execz .LBB14_1114
; %bb.1113:                             ;   in Loop: Header=BB14_47 Depth=1
	v_lshl_add_u64 v[54:55], v[54:55], 0, 4
	flat_store_dwordx2 v[42:43], v[54:55] sc0 sc1
.LBB14_1114:                            ;   in Loop: Header=BB14_47 Depth=1
	s_or_b64 exec, exec, s[24:25]
	v_mov_b32_e32 v8, v10
.LBB14_1115:                            ;   in Loop: Header=BB14_47 Depth=1
	s_or_b64 exec, exec, s[28:29]
	s_and_saveexec_b64 s[28:29], s[26:27]
	s_cbranch_execz .LBB14_46
; %bb.1116:                             ;   in Loop: Header=BB14_47 Depth=1
	v_and_b32_e32 v2, 4, v0
	v_cmp_ne_u32_e32 vcc, 0, v2
	s_mov_b64 s[26:27], -1
	s_and_saveexec_b64 s[24:25], vcc
	s_cbranch_execz .LBB14_1126
; %bb.1117:                             ;   in Loop: Header=BB14_47 Depth=1
	v_lshl_add_u64 v[4:5], v[54:55], 0, 4
	v_cmp_lt_u64_e32 vcc, v[56:57], v[4:5]
	v_mov_b32_e32 v2, 1
	s_and_saveexec_b64 s[26:27], vcc
	s_cbranch_execz .LBB14_1141
; %bb.1118:                             ;   in Loop: Header=BB14_47 Depth=1
	s_mov_b64 s[30:31], 0
	v_mov_b32_e32 v2, 0
                                        ; implicit-def: $sgpr54_sgpr55
	s_branch .LBB14_1122
.LBB14_1119:                            ;   in Loop: Header=BB14_1122 Depth=2
	s_or_b64 exec, exec, s[62:63]
	v_mov_b32_e32 v6, 0
	s_orn2_b64 s[60:61], s[60:61], exec
.LBB14_1120:                            ;   in Loop: Header=BB14_1122 Depth=2
	s_or_b64 exec, exec, s[58:59]
	s_andn2_b64 vcc, s[54:55], exec
	s_and_b64 s[54:55], s[60:61], exec
	s_or_b64 s[54:55], vcc, s[54:55]
	v_mov_b32_e32 v2, v6
.LBB14_1121:                            ;   in Loop: Header=BB14_1122 Depth=2
	s_or_b64 exec, exec, s[56:57]
	s_waitcnt vmcnt(0) lgkmcnt(0)
	v_cmp_ge_u64_e32 vcc, v[56:57], v[4:5]
	s_xor_b64 s[56:57], s[54:55], -1
	s_or_b64 vcc, s[56:57], vcc
	s_and_b64 vcc, exec, vcc
	s_or_b64 s[30:31], vcc, s[30:31]
	s_andn2_b64 exec, exec, s[30:31]
	s_cbranch_execz .LBB14_1140
.LBB14_1122:                            ;   Parent Loop BB14_47 Depth=1
                                        ; =>  This Inner Loop Header: Depth=2
	s_sleep 1
	flat_load_dwordx2 v[56:57], v[42:43] sc0 sc1
	v_and_b32_e32 v6, 64, v0
	v_cmp_eq_u32_e32 vcc, 0, v6
	s_andn2_b64 s[54:55], s[54:55], exec
	s_and_saveexec_b64 s[56:57], vcc
	s_cbranch_execz .LBB14_1121
; %bb.1123:                             ;   in Loop: Header=BB14_1122 Depth=2
	v_add_u32_e32 v6, 1, v2
	v_cmp_lt_i32_e32 vcc, s83, v2
	s_mov_b64 s[60:61], -1
	s_and_saveexec_b64 s[58:59], vcc
	s_cbranch_execz .LBB14_1120
; %bb.1124:                             ;   in Loop: Header=BB14_1122 Depth=2
	s_trap 2
	ds_read_b64 v[6:7], v0
	s_waitcnt vmcnt(0) lgkmcnt(0)
	flat_load_dword v2, v[6:7] sc0 sc1
	s_waitcnt vmcnt(0) lgkmcnt(0)
	buffer_inv sc0 sc1
	v_cmp_ne_u32_e32 vcc, 0, v2
	s_and_saveexec_b64 s[62:63], vcc
	s_cbranch_execz .LBB14_1119
; %bb.1125:                             ;   in Loop: Header=BB14_1122 Depth=2
	v_or_b32_e32 v0, 64, v0
	s_xor_b64 s[60:61], exec, -1
	ds_write_b32 v0, v2
	s_trap 2
	s_branch .LBB14_1119
.LBB14_1126:                            ;   in Loop: Header=BB14_47 Depth=1
	s_or_b64 exec, exec, s[24:25]
	s_xor_b64 s[24:25], s[26:27], -1
	s_and_saveexec_b64 s[26:27], s[24:25]
	s_cbranch_execz .LBB14_1142
.LBB14_1127:                            ;   in Loop: Header=BB14_47 Depth=1
	v_and_b32_e32 v2, 0x100, v0
	v_cmp_ne_u32_e32 vcc, 0, v2
	v_and_b32_e32 v2, 7, v54
	s_mov_b64 s[24:25], -1
                                        ; implicit-def: $vgpr4_vgpr5
	s_and_saveexec_b64 s[30:31], vcc
	s_cbranch_execz .LBB14_1131
; %bb.1128:                             ;   in Loop: Header=BB14_47 Depth=1
	v_mad_u64_u32 v[6:7], s[24:25], v2, 24, v[36:37]
	flat_load_dword v4, v[6:7]
	s_waitcnt vmcnt(0) lgkmcnt(0)
	v_cmp_ne_u32_e32 vcc, 1, v4
	v_cmp_eq_u32_e64 s[24:25], 1, v4
                                        ; implicit-def: $vgpr4_vgpr5
	s_and_saveexec_b64 s[54:55], s[24:25]
	s_cbranch_execz .LBB14_1130
; %bb.1129:                             ;   in Loop: Header=BB14_47 Depth=1
	flat_load_dword v4, v[6:7] offset:4 sc0 sc1
	s_waitcnt vmcnt(0) lgkmcnt(0)
	v_ashrrev_i32_e32 v5, 31, v4
	v_lshrrev_b64 v[4:5], 1, v[4:5]
.LBB14_1130:                            ;   in Loop: Header=BB14_47 Depth=1
	s_or_b64 exec, exec, s[54:55]
	s_orn2_b64 s[24:25], vcc, exec
.LBB14_1131:                            ;   in Loop: Header=BB14_47 Depth=1
	s_or_b64 exec, exec, s[30:31]
	s_and_saveexec_b64 vcc, s[24:25]
; %bb.1132:                             ;   in Loop: Header=BB14_47 Depth=1
	v_mad_i64_i32 v[4:5], s[24:25], v2, v40, 0
; %bb.1133:                             ;   in Loop: Header=BB14_47 Depth=1
	s_or_b64 exec, exec, vcc
	v_and_b32_e32 v2, 0x2000, v0
	v_lshl_add_u64 v[4:5], v[4:5], 1, v[48:49]
	v_cmp_ne_u32_e32 vcc, 0, v2
	ds_write_b64 v0, v[4:5] offset:720
	s_and_saveexec_b64 s[24:25], vcc
	s_cbranch_execz .LBB14_1135
; %bb.1134:                             ;   in Loop: Header=BB14_47 Depth=1
	ds_read_b64 v[4:5], v0 offset:584
	s_waitcnt lgkmcnt(0)
	v_lshl_add_u64 v[4:5], v[4:5], 0, 1
	ds_write_b64 v0, v[4:5] offset:584
.LBB14_1135:                            ;   in Loop: Header=BB14_47 Depth=1
	s_or_b64 exec, exec, s[24:25]
	v_lshl_add_u64 v[54:55], v[54:55], 0, 4
	s_or_b64 exec, exec, s[26:27]
	s_and_saveexec_b64 s[24:25], s[6:7]
	s_cbranch_execnz .LBB14_1143
.LBB14_1136:                            ;   in Loop: Header=BB14_47 Depth=1
	s_or_b64 exec, exec, s[24:25]
	s_and_saveexec_b64 s[24:25], s[22:23]
	s_xor_b64 s[24:25], exec, s[24:25]
	s_cbranch_execz .LBB14_1161
.LBB14_1137:                            ;   in Loop: Header=BB14_47 Depth=1
	s_trap 2
	ds_read_b32 v2, v0
	v_sub_u32_e32 v1, v1, v8
	v_min_i32_e32 v1, v10, v1
	v_cmp_lt_i32_e32 vcc, 0, v1
	v_and_b32_e32 v1, 16, v0
	s_waitcnt lgkmcnt(0)
	v_readfirstlane_b32 s26, v2
	s_cmp_eq_u32 s26, 0
	s_cselect_b64 s[26:27], -1, 0
	s_and_b64 s[26:27], vcc, s[26:27]
	v_cmp_ne_u32_e32 vcc, 0, v1
	s_and_b64 vcc, vcc, s[26:27]
	s_and_saveexec_b64 s[26:27], vcc
	s_cbranch_execz .LBB14_1139
; %bb.1138:                             ;   in Loop: Header=BB14_47 Depth=1
	buffer_wbl2 sc1
	s_waitcnt vmcnt(0)
	buffer_inv sc1
.LBB14_1139:                            ;   in Loop: Header=BB14_47 Depth=1
	s_or_b64 exec, exec, s[26:27]
	s_andn2_saveexec_b64 s[24:25], s[24:25]
	s_cbranch_execz .LBB14_1180
	s_branch .LBB14_1162
.LBB14_1140:                            ;   in Loop: Header=BB14_47 Depth=1
	s_or_b64 exec, exec, s[30:31]
	v_and_b32_e32 v2, 4, v0
.LBB14_1141:                            ;   in Loop: Header=BB14_47 Depth=1
	s_or_b64 exec, exec, s[26:27]
	v_cmp_eq_u32_e32 vcc, 0, v2
	s_orn2_b64 s[26:27], vcc, exec
	;;#ASMSTART
	s_wakeup
	;;#ASMEND
	s_or_b64 exec, exec, s[24:25]
	s_xor_b64 s[24:25], s[26:27], -1
	s_and_saveexec_b64 s[26:27], s[24:25]
	s_cbranch_execnz .LBB14_1127
.LBB14_1142:                            ;   in Loop: Header=BB14_47 Depth=1
	s_or_b64 exec, exec, s[26:27]
	s_and_saveexec_b64 s[24:25], s[6:7]
	s_cbranch_execz .LBB14_1136
.LBB14_1143:                            ;   in Loop: Header=BB14_47 Depth=1
	s_and_saveexec_b64 s[26:27], s[40:41]
	s_xor_b64 s[26:27], exec, s[26:27]
	s_cbranch_execz .LBB14_1158
; %bb.1144:                             ;   in Loop: Header=BB14_47 Depth=1
	s_and_saveexec_b64 s[30:31], s[14:15]
	s_cbranch_execz .LBB14_1157
; %bb.1145:                             ;   in Loop: Header=BB14_47 Depth=1
	s_mov_b64 s[56:57], exec
	v_mbcnt_lo_u32_b32 v2, s56, 0
	v_mbcnt_hi_u32_b32 v2, s57, v2
	v_cmp_eq_u32_e32 vcc, 0, v2
	s_waitcnt lgkmcnt(0)
	s_and_saveexec_b64 s[54:55], vcc
	s_cbranch_execz .LBB14_1147
; %bb.1146:                             ;   in Loop: Header=BB14_47 Depth=1
	s_bcnt1_i32_b64 vcc_lo, s[56:57]
	v_mov_b32_e32 v2, vcc_lo
	ds_add_u64 v0, v[2:3]
	s_trap 2
.LBB14_1147:                            ;   in Loop: Header=BB14_47 Depth=1
	s_or_b64 exec, exec, s[54:55]
	s_trap 2
	ds_read_b64 v[4:5], v0
	v_lshl_add_u64 v[38:39], v[38:39], 0, v[52:53]
	s_waitcnt lgkmcnt(0)
	v_cmp_lt_u64_e32 vcc, v[4:5], v[38:39]
	s_and_saveexec_b64 s[54:55], vcc
	s_cbranch_execz .LBB14_1156
; %bb.1148:                             ;   in Loop: Header=BB14_47 Depth=1
	s_mov_b32 s66, 0
	s_mov_b64 s[56:57], 0
                                        ; implicit-def: $sgpr58_sgpr59
                                        ; implicit-def: $sgpr60_sgpr61
	s_branch .LBB14_1150
.LBB14_1149:                            ;   in Loop: Header=BB14_1150 Depth=2
	s_or_b64 exec, exec, s[64:65]
	s_and_b64 vcc, exec, vcc
	s_or_b64 s[56:57], vcc, s[56:57]
	s_andn2_b64 vcc, s[58:59], exec
	s_and_b64 s[58:59], s[60:61], exec
	s_or_b64 s[58:59], vcc, s[58:59]
	s_andn2_b64 exec, exec, s[56:57]
	s_cbranch_execz .LBB14_1154
.LBB14_1150:                            ;   Parent Loop BB14_47 Depth=1
                                        ; =>  This Inner Loop Header: Depth=2
	s_add_i32 s66, s66, 1
	s_cmpk_lg_i32 s66, 0x2710
	s_cselect_b64 s[62:63], -1, 0
	s_and_b64 vcc, exec, s[62:63]
                                        ; implicit-def: $sgpr64_sgpr65
	s_cbranch_vccnz .LBB14_1152
; %bb.1151:                             ;   in Loop: Header=BB14_1150 Depth=2
	s_trap 2
	ds_read_b64 v[4:5], v0
	s_andn2_b64 s[62:63], s[62:63], exec
	s_mov_b32 s66, 0
	s_mov_b64 s[64:65], -1
	s_waitcnt vmcnt(0) lgkmcnt(0)
	flat_load_dword v2, v[4:5] sc0 sc1
	s_waitcnt vmcnt(0) lgkmcnt(0)
	buffer_inv sc0 sc1
	v_cmp_eq_u32_e32 vcc, 0, v2
	s_and_b64 vcc, vcc, exec
	s_or_b64 s[62:63], s[62:63], vcc
.LBB14_1152:                            ;   in Loop: Header=BB14_1150 Depth=2
	s_andn2_b64 s[60:61], s[60:61], exec
	s_and_b64 s[64:65], s[64:65], exec
	s_mov_b64 vcc, -1
	s_or_b64 s[60:61], s[60:61], s[64:65]
	s_and_saveexec_b64 s[64:65], s[62:63]
	s_cbranch_execz .LBB14_1149
; %bb.1153:                             ;   in Loop: Header=BB14_1150 Depth=2
	s_sleep 1
	s_trap 2
	ds_read_b64 v[4:5], v0
	s_andn2_b64 s[60:61], s[60:61], exec
	s_waitcnt lgkmcnt(0)
	v_cmp_ge_u64_e32 vcc, v[4:5], v[38:39]
	s_orn2_b64 vcc, vcc, exec
	s_branch .LBB14_1149
.LBB14_1154:                            ;   in Loop: Header=BB14_47 Depth=1
	s_or_b64 exec, exec, s[56:57]
	s_and_saveexec_b64 vcc, s[58:59]
	s_xor_b64 vcc, exec, vcc
	s_cbranch_execz .LBB14_1156
; %bb.1155:                             ;   in Loop: Header=BB14_47 Depth=1
	ds_write_b32 v0, v17
	s_trap 2
.LBB14_1156:                            ;   in Loop: Header=BB14_47 Depth=1
	s_or_b64 exec, exec, s[54:55]
	;;#ASMSTART
	s_wakeup
	;;#ASMEND
.LBB14_1157:                            ;   in Loop: Header=BB14_47 Depth=1
	s_or_b64 exec, exec, s[30:31]
.LBB14_1158:                            ;   in Loop: Header=BB14_47 Depth=1
	s_andn2_saveexec_b64 s[26:27], s[26:27]
	s_cbranch_execz .LBB14_1160
; %bb.1159:                             ;   in Loop: Header=BB14_47 Depth=1
	s_waitcnt lgkmcnt(0)
	s_barrier
.LBB14_1160:                            ;   in Loop: Header=BB14_47 Depth=1
	s_or_b64 exec, exec, s[26:27]
	s_or_b64 exec, exec, s[24:25]
	s_and_saveexec_b64 s[24:25], s[22:23]
	s_xor_b64 s[24:25], exec, s[24:25]
	s_cbranch_execnz .LBB14_1137
.LBB14_1161:                            ;   in Loop: Header=BB14_47 Depth=1
	s_andn2_saveexec_b64 s[24:25], s[24:25]
	s_cbranch_execz .LBB14_1180
.LBB14_1162:                            ;   in Loop: Header=BB14_47 Depth=1
	s_and_saveexec_b64 s[26:27], s[40:41]
	s_xor_b64 s[26:27], exec, s[26:27]
	s_cbranch_execz .LBB14_1177
; %bb.1163:                             ;   in Loop: Header=BB14_47 Depth=1
	s_and_saveexec_b64 s[30:31], s[14:15]
	s_cbranch_execz .LBB14_1176
; %bb.1164:                             ;   in Loop: Header=BB14_47 Depth=1
	s_mov_b64 s[56:57], exec
	v_mbcnt_lo_u32_b32 v1, s56, 0
	v_mbcnt_hi_u32_b32 v1, s57, v1
	v_cmp_eq_u32_e32 vcc, 0, v1
	;;#ASMSTART
	s_waitcnt lgkmcnt(0) vmcnt(0)
	;;#ASMEND
	s_and_saveexec_b64 s[54:55], vcc
	s_cbranch_execz .LBB14_1166
; %bb.1165:                             ;   in Loop: Header=BB14_47 Depth=1
	s_bcnt1_i32_b64 vcc_lo, s[56:57]
	v_mov_b32_e32 v2, vcc_lo
	ds_add_u64 v0, v[2:3]
	s_trap 2
.LBB14_1166:                            ;   in Loop: Header=BB14_47 Depth=1
	s_or_b64 exec, exec, s[54:55]
	s_trap 2
	ds_read_b64 v[4:5], v0
	v_lshl_add_u64 v[38:39], v[38:39], 0, v[52:53]
	s_waitcnt lgkmcnt(0)
	v_cmp_lt_u64_e32 vcc, v[4:5], v[38:39]
	s_and_saveexec_b64 s[54:55], vcc
	s_cbranch_execz .LBB14_1175
; %bb.1167:                             ;   in Loop: Header=BB14_47 Depth=1
	s_mov_b32 s66, 0
	s_mov_b64 s[56:57], 0
                                        ; implicit-def: $sgpr58_sgpr59
                                        ; implicit-def: $sgpr60_sgpr61
	s_branch .LBB14_1169
.LBB14_1168:                            ;   in Loop: Header=BB14_1169 Depth=2
	s_or_b64 exec, exec, s[64:65]
	s_and_b64 vcc, exec, vcc
	s_or_b64 s[56:57], vcc, s[56:57]
	s_andn2_b64 vcc, s[58:59], exec
	s_and_b64 s[58:59], s[60:61], exec
	s_or_b64 s[58:59], vcc, s[58:59]
	s_andn2_b64 exec, exec, s[56:57]
	s_cbranch_execz .LBB14_1173
.LBB14_1169:                            ;   Parent Loop BB14_47 Depth=1
                                        ; =>  This Inner Loop Header: Depth=2
	s_add_i32 s66, s66, 1
	s_cmpk_lg_i32 s66, 0x2710
	s_cselect_b64 s[62:63], -1, 0
	s_and_b64 vcc, exec, s[62:63]
                                        ; implicit-def: $sgpr64_sgpr65
	s_cbranch_vccnz .LBB14_1171
; %bb.1170:                             ;   in Loop: Header=BB14_1169 Depth=2
	s_trap 2
	ds_read_b64 v[4:5], v0
	s_andn2_b64 s[62:63], s[62:63], exec
	s_mov_b32 s66, 0
	s_mov_b64 s[64:65], -1
	s_waitcnt vmcnt(0) lgkmcnt(0)
	flat_load_dword v1, v[4:5] sc0 sc1
	s_waitcnt vmcnt(0) lgkmcnt(0)
	buffer_inv sc0 sc1
	v_cmp_eq_u32_e32 vcc, 0, v1
	s_and_b64 vcc, vcc, exec
	s_or_b64 s[62:63], s[62:63], vcc
.LBB14_1171:                            ;   in Loop: Header=BB14_1169 Depth=2
	s_andn2_b64 s[60:61], s[60:61], exec
	s_and_b64 s[64:65], s[64:65], exec
	s_mov_b64 vcc, -1
	s_or_b64 s[60:61], s[60:61], s[64:65]
	s_and_saveexec_b64 s[64:65], s[62:63]
	s_cbranch_execz .LBB14_1168
; %bb.1172:                             ;   in Loop: Header=BB14_1169 Depth=2
	s_sleep 1
	s_trap 2
	ds_read_b64 v[4:5], v0
	s_andn2_b64 s[60:61], s[60:61], exec
	s_waitcnt lgkmcnt(0)
	v_cmp_ge_u64_e32 vcc, v[4:5], v[38:39]
	s_orn2_b64 vcc, vcc, exec
	s_branch .LBB14_1168
.LBB14_1173:                            ;   in Loop: Header=BB14_47 Depth=1
	s_or_b64 exec, exec, s[56:57]
	s_and_saveexec_b64 vcc, s[58:59]
	s_xor_b64 vcc, exec, vcc
	s_cbranch_execz .LBB14_1175
; %bb.1174:                             ;   in Loop: Header=BB14_47 Depth=1
	ds_write_b32 v0, v17
	s_trap 2
.LBB14_1175:                            ;   in Loop: Header=BB14_47 Depth=1
	s_or_b64 exec, exec, s[54:55]
	;;#ASMSTART
	s_wakeup
	;;#ASMEND
.LBB14_1176:                            ;   in Loop: Header=BB14_47 Depth=1
	s_or_b64 exec, exec, s[30:31]
.LBB14_1177:                            ;   in Loop: Header=BB14_47 Depth=1
	s_andn2_saveexec_b64 s[26:27], s[26:27]
	s_cbranch_execz .LBB14_1179
; %bb.1178:                             ;   in Loop: Header=BB14_47 Depth=1
	;;#ASMSTART
	s_waitcnt lgkmcnt(0) vmcnt(0)
	;;#ASMEND
	s_barrier
.LBB14_1179:                            ;   in Loop: Header=BB14_47 Depth=1
	s_or_b64 exec, exec, s[26:27]
.LBB14_1180:                            ;   in Loop: Header=BB14_47 Depth=1
	s_or_b64 exec, exec, s[24:25]
	v_and_b32_e32 v1, 32, v0
	v_cmp_ne_u32_e32 vcc, 0, v1
	s_and_saveexec_b64 s[24:25], vcc
	s_cbranch_execz .LBB14_45
; %bb.1181:                             ;   in Loop: Header=BB14_47 Depth=1
	v_lshl_add_u64 v[54:55], v[54:55], 0, 4
	flat_store_dwordx2 v[42:43], v[54:55] sc0 sc1
	s_branch .LBB14_45
.LBB14_1182:
	s_or_b64 exec, exec, s[38:39]
	v_accvgpr_read_b32 v25, a11
	v_accvgpr_read_b32 v18, a0
	;; [unrolled: 1-line block ×5, first 2 shown]
.LBB14_1183:
	s_or_b64 exec, exec, s[36:37]
	v_and_b32_e32 v1, 0x800, v0
	v_cmp_eq_u32_e32 vcc, 0, v1
	s_and_saveexec_b64 s[0:1], vcc
	s_cbranch_execz .LBB14_1218
; %bb.1184:
	v_and_b32_e32 v1, 48, v0
	v_cmp_ne_u32_e32 vcc, 0, v1
	s_and_saveexec_b64 s[2:3], vcc
	s_cbranch_execz .LBB14_1186
; %bb.1185:
	flat_store_dwordx2 v[24:25], v[54:55] offset:104
.LBB14_1186:
	s_or_b64 exec, exec, s[2:3]
	s_movk_i32 s2, 0x88
	v_and_b32_e32 v1, 0x88, v0
	v_cmp_eq_u32_e32 vcc, s2, v1
	s_and_saveexec_b64 s[2:3], vcc
	s_cbranch_execz .LBB14_1198
; %bb.1187:
	v_and_b32_e32 v1, 7, v54
	v_xor_b32_e32 v1, 4, v1
	v_mad_u64_u32 v[2:3], s[4:5], v1, 24, v[36:37]
	v_lshl_add_u64 v[2:3], v[2:3], 0, 8
	s_mov_b64 s[4:5], 0
	v_mov_b32_e32 v1, 0
	s_movk_i32 s20, 0x270e
                                        ; implicit-def: $sgpr6_sgpr7
	s_branch .LBB14_1192
.LBB14_1188:                            ;   in Loop: Header=BB14_1192 Depth=1
	s_or_b64 exec, exec, s[18:19]
	v_mov_b32_e32 v4, 0
	s_orn2_b64 s[16:17], s[16:17], exec
.LBB14_1189:                            ;   in Loop: Header=BB14_1192 Depth=1
	s_or_b64 exec, exec, s[14:15]
	s_and_b64 s[14:15], s[16:17], exec
	v_mov_b32_e32 v1, v4
.LBB14_1190:                            ;   in Loop: Header=BB14_1192 Depth=1
	s_or_b64 exec, exec, s[12:13]
	s_xor_b64 s[12:13], s[14:15], -1
	s_andn2_b64 s[6:7], s[6:7], exec
	s_and_b64 s[12:13], s[12:13], exec
	s_or_b64 s[6:7], s[6:7], s[12:13]
.LBB14_1191:                            ;   in Loop: Header=BB14_1192 Depth=1
	s_or_b64 exec, exec, s[10:11]
	s_and_b64 s[10:11], exec, s[6:7]
	s_or_b64 s[4:5], s[10:11], s[4:5]
	s_andn2_b64 exec, exec, s[4:5]
	s_cbranch_execz .LBB14_1197
.LBB14_1192:                            ; =>This Inner Loop Header: Depth=1
	flat_load_dwordx2 v[4:5], v[2:3] sc0 sc1
	s_waitcnt vmcnt(0)
	s_or_b64 s[6:7], s[6:7], exec
	s_waitcnt lgkmcnt(0)
	v_cmp_ne_u64_e32 vcc, -1, v[4:5]
	s_and_saveexec_b64 s[10:11], vcc
	s_cbranch_execz .LBB14_1191
; %bb.1193:                             ;   in Loop: Header=BB14_1192 Depth=1
	v_and_b32_e32 v4, 64, v0
	v_cmp_eq_u32_e32 vcc, 0, v4
	s_mov_b64 s[14:15], 0
	s_and_saveexec_b64 s[12:13], vcc
	s_cbranch_execz .LBB14_1190
; %bb.1194:                             ;   in Loop: Header=BB14_1192 Depth=1
	v_add_u32_e32 v4, 1, v1
	v_cmp_lt_i32_e32 vcc, s20, v1
	s_mov_b64 s[16:17], -1
	s_and_saveexec_b64 s[14:15], vcc
	s_cbranch_execz .LBB14_1189
; %bb.1195:                             ;   in Loop: Header=BB14_1192 Depth=1
	s_trap 2
	ds_read_b64 v[4:5], v0
	s_waitcnt lgkmcnt(0)
	flat_load_dword v1, v[4:5] sc0 sc1
	s_waitcnt vmcnt(0) lgkmcnt(0)
	buffer_inv sc0 sc1
	v_cmp_ne_u32_e32 vcc, 0, v1
	s_and_saveexec_b64 s[18:19], vcc
	s_cbranch_execz .LBB14_1188
; %bb.1196:                             ;   in Loop: Header=BB14_1192 Depth=1
	v_or_b32_e32 v0, 64, v0
	s_xor_b64 s[16:17], exec, -1
	ds_write_b32 v0, v1
	s_trap 2
	s_branch .LBB14_1188
.LBB14_1197:
	s_or_b64 exec, exec, s[4:5]
.LBB14_1198:
	s_or_b64 exec, exec, s[2:3]
	v_and_b32_e32 v0, 0x2000, v0
	v_cmp_ne_u32_e32 vcc, 0, v0
	s_and_saveexec_b64 s[2:3], vcc
	s_cbranch_execz .LBB14_1200
; %bb.1199:
	s_trap 2
	ds_read_b64 v[0:1], v0
	v_accvgpr_read_b32 v2, a8
	v_accvgpr_read_b32 v3, a9
	s_waitcnt lgkmcnt(0)
	flat_store_dwordx2 v[2:3], v[0:1] offset:16
.LBB14_1200:
	s_or_b64 exec, exec, s[2:3]
	v_cmp_ne_u32_e32 vcc, 64, v18
	s_and_b64 exec, exec, vcc
	s_cbranch_execz .LBB14_1218
; %bb.1201:
	v_cmp_ne_u32_sdwa s[2:3], v15, v18 src0_sel:WORD_0 src1_sel:DWORD
	s_and_saveexec_b64 s[4:5], s[2:3]
	s_xor_b64 s[2:3], exec, s[4:5]
	s_cbranch_execz .LBB14_1216
; %bb.1202:
	v_and_b32_e32 v0, 63, v31
	v_cmp_eq_u32_e32 vcc, 0, v0
	s_and_saveexec_b64 s[4:5], vcc
	s_cbranch_execz .LBB14_1215
; %bb.1203:
	s_mov_b64 s[10:11], exec
	v_mbcnt_lo_u32_b32 v0, s10, 0
	v_mbcnt_hi_u32_b32 v0, s11, v0
	v_cmp_eq_u32_e32 vcc, 0, v0
	s_waitcnt lgkmcnt(0)
	s_and_saveexec_b64 s[6:7], vcc
	s_cbranch_execz .LBB14_1205
; %bb.1204:
	s_bcnt1_i32_b64 s10, s[10:11]
	v_mov_b32_e32 v0, s10
	v_mov_b32_e32 v1, 0
	ds_add_u64 v0, v[0:1]
	s_trap 2
.LBB14_1205:
	s_or_b64 exec, exec, s[6:7]
	v_ashrrev_i32_e32 v0, 31, v18
	v_lshrrev_b32_e32 v0, 26, v0
	s_trap 2
	ds_read_b64 v[2:3], v0
	v_add_u32_e32 v0, v18, v0
	v_ashrrev_i32_e32 v0, 6, v0
	v_ashrrev_i32_e32 v1, 31, v0
	v_lshl_add_u64 v[0:1], v[38:39], 0, v[0:1]
	s_waitcnt lgkmcnt(0)
	v_cmp_lt_u64_e32 vcc, v[2:3], v[0:1]
	s_and_saveexec_b64 s[6:7], vcc
	s_cbranch_execz .LBB14_1214
; %bb.1206:
	s_mov_b32 s22, 0
	s_mov_b64 s[10:11], 0
                                        ; implicit-def: $sgpr12_sgpr13
                                        ; implicit-def: $sgpr14_sgpr15
	s_branch .LBB14_1208
.LBB14_1207:                            ;   in Loop: Header=BB14_1208 Depth=1
	s_or_b64 exec, exec, s[20:21]
	s_and_b64 s[16:17], exec, s[18:19]
	s_or_b64 s[10:11], s[16:17], s[10:11]
	s_andn2_b64 s[12:13], s[12:13], exec
	s_and_b64 s[16:17], s[14:15], exec
	s_or_b64 s[12:13], s[12:13], s[16:17]
	s_andn2_b64 exec, exec, s[10:11]
	s_cbranch_execz .LBB14_1212
.LBB14_1208:                            ; =>This Inner Loop Header: Depth=1
	s_add_i32 s22, s22, 1
	s_cmpk_lg_i32 s22, 0x2710
	s_cselect_b64 s[16:17], -1, 0
	s_and_b64 vcc, exec, s[16:17]
                                        ; implicit-def: $sgpr20_sgpr21
	s_cbranch_vccnz .LBB14_1210
; %bb.1209:                             ;   in Loop: Header=BB14_1208 Depth=1
	s_trap 2
	ds_read_b64 v[2:3], v0
	s_andn2_b64 s[16:17], s[16:17], exec
	s_mov_b32 s22, 0
	s_mov_b64 s[20:21], -1
	s_waitcnt vmcnt(0) lgkmcnt(0)
	flat_load_dword v2, v[2:3] sc0 sc1
	s_waitcnt vmcnt(0) lgkmcnt(0)
	buffer_inv sc0 sc1
	v_cmp_eq_u32_e32 vcc, 0, v2
	s_and_b64 s[18:19], vcc, exec
	s_or_b64 s[16:17], s[16:17], s[18:19]
.LBB14_1210:                            ;   in Loop: Header=BB14_1208 Depth=1
	s_andn2_b64 s[14:15], s[14:15], exec
	s_and_b64 s[20:21], s[20:21], exec
	s_mov_b64 s[18:19], -1
	s_or_b64 s[14:15], s[14:15], s[20:21]
	s_and_saveexec_b64 s[20:21], s[16:17]
	s_cbranch_execz .LBB14_1207
; %bb.1211:                             ;   in Loop: Header=BB14_1208 Depth=1
	s_sleep 1
	s_trap 2
	ds_read_b64 v[2:3], v0
	s_andn2_b64 s[14:15], s[14:15], exec
	s_waitcnt lgkmcnt(0)
	v_cmp_ge_u64_e32 vcc, v[2:3], v[0:1]
	s_orn2_b64 s[18:19], vcc, exec
	s_branch .LBB14_1207
.LBB14_1212:
	s_or_b64 exec, exec, s[10:11]
	s_and_saveexec_b64 s[10:11], s[12:13]
	s_xor_b64 s[10:11], exec, s[10:11]
	s_cbranch_execz .LBB14_1214
; %bb.1213:
	v_mov_b32_e32 v0, 1
	ds_write_b32 v0, v0
	s_trap 2
.LBB14_1214:
	s_or_b64 exec, exec, s[6:7]
	;;#ASMSTART
	s_wakeup
	;;#ASMEND
.LBB14_1215:
	s_or_b64 exec, exec, s[4:5]
.LBB14_1216:
	s_andn2_saveexec_b64 s[2:3], s[2:3]
	s_cbranch_execz .LBB14_1218
; %bb.1217:
	s_waitcnt lgkmcnt(0)
	s_barrier
.LBB14_1218:
	s_or_b64 exec, exec, s[0:1]
.LBB14_1219:
	s_andn2_saveexec_b64 s[22:23], s[34:35]
	s_cbranch_execz .LBB14_1221
; %bb.1220:
	s_getpc_b64 s[0:1]
	s_add_u32 s0, s0, __PRETTY_FUNCTION__._ZN10PrimitivesI6__half8FuncProdIS0_E12FanSymmetricILi1EELi0E11ProtoSimpleILi1ELi4ELi0ELi4ELi0ELi0EELi0ELb0ELi0ELi0ELi0EEC2EiiPKiS9_PKvPvmhhhP15ncclDevWorkCollP14ncclDevWorkP2pii@rel32@lo+4
	s_addc_u32 s1, s1, __PRETTY_FUNCTION__._ZN10PrimitivesI6__half8FuncProdIS0_E12FanSymmetricILi1EELi0E11ProtoSimpleILi1ELi4ELi0ELi4ELi0ELi0EELi0ELb0ELi0ELi0ELi0EEC2EiiPKiS9_PKvPvmhhhP15ncclDevWorkCollP14ncclDevWorkP2pii@rel32@hi+12
	v_mov_b32_e32 v0, s0
	v_mov_b32_e32 v1, s1
	s_getpc_b64 s[2:3]
	s_add_u32 s2, s2, __assert_fail@rel32@lo+4
	s_addc_u32 s3, s3, __assert_fail@rel32@hi+12
	s_swappc_b64 s[30:31], s[2:3]
	; divergent unreachable
.LBB14_1221:
	s_or_b64 exec, exec, s[22:23]
	scratch_load_dword a51, off, s33        ; 4-byte Folded Reload
	scratch_load_dword a50, off, s33 offset:4 ; 4-byte Folded Reload
	scratch_load_dword a49, off, s33 offset:8 ; 4-byte Folded Reload
	;; [unrolled: 1-line block ×29, first 2 shown]
	s_waitcnt lgkmcnt(0)
	scratch_load_dword v43, off, s33 offset:120 ; 4-byte Folded Reload
	scratch_load_dword v42, off, s33 offset:124 ; 4-byte Folded Reload
	scratch_load_dword v41, off, s33 offset:128 ; 4-byte Folded Reload
	scratch_load_dword v40, off, s33 offset:132 ; 4-byte Folded Reload
	v_readlane_b32 s30, v63, 63
	v_readlane_b32 s31, v62, 0
	;; [unrolled: 1-line block ×66, first 2 shown]
	s_or_saveexec_b64 s[2:3], -1
	scratch_load_dword v63, off, s33 offset:152 ; 4-byte Folded Reload
	scratch_load_dword v62, off, s33 offset:156 ; 4-byte Folded Reload
	s_mov_b64 exec, s[2:3]
	s_addk_i32 s32, 0xff50
	s_mov_b32 s33, s0
	s_waitcnt vmcnt(0)
	s_setpc_b64 s[30:31]
.Lfunc_end14:
	.size	_ZN12_GLOBAL__N_17runRingI6__half8FuncProdIS1_E11ProtoSimpleILi1ELi4ELi0ELi4ELi0ELi0EELi0ELi0ELi4ELi0EEEviiP15ncclDevWorkColl, .Lfunc_end14-_ZN12_GLOBAL__N_17runRingI6__half8FuncProdIS1_E11ProtoSimpleILi1ELi4ELi0ELi4ELi0ELi0EELi0ELi0ELi4ELi0EEEviiP15ncclDevWorkColl
                                        ; -- End function
	.section	.AMDGPU.csdata,"",@progbits
; Function info:
; codeLenInByte = 43840
; NumSgprs: 103
; NumVgprs: 64
; NumAgprs: 52
; TotalNumVgprs: 116
; ScratchSize: 240
; MemoryBound: 1
	.text
	.p2align	2                               ; -- Begin function _ZN12_GLOBAL__N_17runRingI6__half8FuncProdIS1_E11ProtoSimpleILi2ELi2ELi0ELi4ELi0ELi0EELi0ELi0ELi4ELi0EEEviiP15ncclDevWorkColl
	.type	_ZN12_GLOBAL__N_17runRingI6__half8FuncProdIS1_E11ProtoSimpleILi2ELi2ELi0ELi4ELi0ELi0EELi0ELi0ELi4ELi0EEEviiP15ncclDevWorkColl,@function
_ZN12_GLOBAL__N_17runRingI6__half8FuncProdIS1_E11ProtoSimpleILi2ELi2ELi0ELi4ELi0ELi0EELi0ELi0ELi4ELi0EEEviiP15ncclDevWorkColl: ; @_ZN12_GLOBAL__N_17runRingI6__half8FuncProdIS1_E11ProtoSimpleILi2ELi2ELi0ELi4ELi0ELi0EELi0ELi0ELi4ELi0EEEviiP15ncclDevWorkColl
; %bb.0:
	s_waitcnt vmcnt(0) expcnt(0) lgkmcnt(0)
	s_mov_b32 s0, s33
	s_mov_b32 s33, s32
	s_or_saveexec_b64 s[2:3], -1
	scratch_store_dword off, v63, s33 offset:180 ; 4-byte Folded Spill
	scratch_store_dword off, v62, s33 offset:184 ; 4-byte Folded Spill
	s_mov_b64 exec, s[2:3]
	v_writelane_b32 v62, s0, 2
	s_addk_i32 s32, 0xc0
	scratch_store_dword off, v40, s33 offset:168 ; 4-byte Folded Spill
	scratch_store_dword off, v41, s33 offset:164 ; 4-byte Folded Spill
	;; [unrolled: 1-line block ×42, first 2 shown]
	scratch_store_dword off, a60, s33       ; 4-byte Folded Spill
	v_writelane_b32 v63, s34, 0
	v_writelane_b32 v63, s35, 1
	;; [unrolled: 1-line block ×65, first 2 shown]
	s_nop 1
	v_writelane_b32 v62, s31, 1
	s_trap 2
	flat_load_dword v5, v[2:3]
	ds_read_b32 v6, v0
	v_mov_b32_e32 v15, v1
	v_mov_b32_e32 v58, v0
                                        ; implicit-def: $vgpr16_vgpr17
                                        ; implicit-def: $agpr4_agpr5
                                        ; implicit-def: $agpr6_agpr7
	s_waitcnt lgkmcnt(0)
	v_readfirstlane_b32 s72, v6
	s_waitcnt vmcnt(0)
	v_cmp_ne_u32_sdwa s[0:1], v5, v6 src0_sel:BYTE_0 src1_sel:DWORD
	s_and_saveexec_b64 s[2:3], s[0:1]
	s_xor_b64 s[0:1], exec, s[2:3]
	s_cbranch_execz .LBB15_6
; %bb.1:
	v_not_b32_sdwa v4, v5 dst_sel:DWORD dst_unused:UNUSED_PAD src0_sel:BYTE_0
	v_cmp_ne_u32_sdwa s[2:3], v5, v6 src0_sel:BYTE_1 src1_sel:DWORD
                                        ; implicit-def: $vgpr16_vgpr17
                                        ; implicit-def: $agpr4_agpr5
                                        ; implicit-def: $agpr6_agpr7
	s_and_saveexec_b64 s[4:5], s[2:3]
	s_xor_b64 s[2:3], exec, s[4:5]
	s_cbranch_execz .LBB15_3
; %bb.2:
	flat_load_dwordx4 v[8:11], v[2:3] offset:72
	flat_load_dwordx2 v[0:1], v[2:3] offset:96
	v_add_u32_e32 v4, v6, v4
	v_ashrrev_i32_e32 v5, 31, v4
	s_waitcnt vmcnt(0) lgkmcnt(0)
	v_mul_lo_u32 v5, v10, v5
	v_mad_u64_u32 v[6:7], s[4:5], v10, v4, v[8:9]
	v_mul_lo_u32 v4, v11, v4
	v_add3_u32 v7, v4, v7, v5
	v_accvgpr_write_b32 a4, v6
	v_accvgpr_write_b32 a6, v10
	v_lshrrev_b64 v[16:17], 13, v[0:1]
	v_accvgpr_write_b32 a5, v7
	v_accvgpr_write_b32 a7, v11
                                        ; implicit-def: $vgpr5
                                        ; implicit-def: $vgpr4
.LBB15_3:
	s_andn2_saveexec_b64 s[2:3], s[2:3]
	s_cbranch_execz .LBB15_5
; %bb.4:
	flat_load_dwordx4 v[6:9], v[2:3] offset:72
	flat_load_dwordx4 v[10:13], v[2:3] offset:88
	v_add_u32_sdwa v0, v5, v4 dst_sel:DWORD dst_unused:UNUSED_PAD src0_sel:BYTE_1 src1_sel:DWORD
	v_ashrrev_i32_e32 v1, 31, v0
	s_waitcnt vmcnt(0) lgkmcnt(0)
	v_mul_lo_u32 v1, v8, v1
	v_mad_u64_u32 v[4:5], s[4:5], v8, v0, v[6:7]
	v_mul_lo_u32 v0, v9, v0
	v_add3_u32 v5, v0, v5, v1
	v_accvgpr_write_b32 a4, v4
	v_accvgpr_write_b32 a6, v10
	;; [unrolled: 1-line block ×4, first 2 shown]
	v_lshrrev_b32_e32 v16, 2, v13
.LBB15_5:
	s_or_b64 exec, exec, s[2:3]
.LBB15_6:
	s_andn2_saveexec_b64 s[0:1], s[0:1]
	s_cbranch_execz .LBB15_8
; %bb.7:
	flat_load_dwordx2 v[0:1], v[2:3] offset:96
	flat_load_dwordx2 a[6:7], v[2:3] offset:72
	s_waitcnt vmcnt(0) lgkmcnt(0)
	v_lshlrev_b64 v[16:17], 8, v[0:1]
	v_mov_b64_e32 v[0:1], 0
	v_accvgpr_write_b32 a5, v1
	v_accvgpr_write_b32 a4, v0
.LBB15_8:
	s_or_b64 exec, exec, s[0:1]
	s_trap 2
	ds_read_b64 v[0:1], v0
	s_waitcnt lgkmcnt(0)
	v_cmp_ne_u32_e32 vcc, -1, v0
	s_nop 1
	v_cndmask_b32_e64 v14, 0, 1, vcc
	v_cmp_ne_u32_e32 vcc, -1, v1
	s_nop 1
	v_addc_co_u32_e64 v1, s[0:1], 0, v14, vcc
	v_lshlrev_b32_e32 v0, 1, v1
	v_cmp_le_i32_e64 s[0:1], v0, v15
	s_and_saveexec_b64 s[2:3], s[0:1]
	s_xor_b64 s[30:31], exec, s[2:3]
	s_cbranch_execz .LBB15_1245
; %bb.9:
	flat_load_dwordx2 v[4:5], v[2:3] offset:104
	flat_load_dwordx4 v[10:13], v[2:3] offset:16
	flat_load_ushort v9, v[2:3] offset:8
	flat_load_dword v8, v[2:3] offset:4
	s_trap 2
	s_load_dword s0, s[8:9], 0x0
	v_mov_b32_e32 v0, 0
	v_mov_b32_e32 v28, 4
	s_waitcnt lgkmcnt(0)
	s_cmp_lt_u32 s12, s0
	s_cselect_b32 s0, 12, 18
	s_add_u32 s0, s8, s0
	s_addc_u32 s1, s9, 0
	global_load_ushort v17, v0, s[0:1]
	ds_read_b32 v0, v0
	v_cmp_ge_i32_e64 s[0:1], v58, v14
	s_waitcnt lgkmcnt(0)
	v_readfirstlane_b32 s14, v0
	s_and_saveexec_b64 s[2:3], s[0:1]
	s_cbranch_execz .LBB15_19
; %bb.10:
	v_cmp_le_u32_e64 s[0:1], v1, v58
                                        ; implicit-def: $vgpr28
	s_and_saveexec_b64 s[4:5], s[0:1]
	s_xor_b64 s[0:1], exec, s[4:5]
	s_cbranch_execz .LBB15_16
; %bb.11:
	v_cndmask_b32_e64 v0, 0, 1, vcc
	v_sub_u32_e32 v0, v15, v0
	v_cmp_ge_u32_e32 vcc, v58, v0
                                        ; implicit-def: $sgpr6
	s_and_saveexec_b64 s[4:5], vcc
	s_xor_b64 s[4:5], exec, s[4:5]
; %bb.12:
	s_mov_b32 s6, 16
                                        ; implicit-def: $vgpr1
; %bb.13:
	s_or_saveexec_b64 s[4:5], s[4:5]
	v_mov_b32_e32 v28, s6
	s_xor_b64 exec, exec, s[4:5]
; %bb.14:
	v_sub_u32_e32 v0, v15, v1
	v_cmp_ge_i32_e32 vcc, v58, v0
	s_nop 1
	v_cndmask_b32_e64 v0, 0, 1, vcc
	v_lshlrev_b32_e32 v28, 5, v0
; %bb.15:
	s_or_b64 exec, exec, s[4:5]
.LBB15_16:
	s_andn2_saveexec_b64 s[0:1], s[0:1]
; %bb.17:
	v_mov_b32_e32 v28, 8
; %bb.18:
	s_or_b64 exec, exec, s[0:1]
.LBB15_19:
	s_or_b64 exec, exec, s[2:3]
	v_and_b32_e32 v0, 36, v28
	v_cmp_ne_u32_e32 vcc, 0, v0
	v_mov_b32_e32 v6, -1
	s_and_saveexec_b64 s[0:1], vcc
	s_cbranch_execz .LBB15_21
; %bb.20:
	s_trap 2
	ds_read_b32 v6, v0
.LBB15_21:
	s_or_b64 exec, exec, s[0:1]
	v_and_b32_e32 v0, 24, v28
	v_cmp_ne_u32_e64 s[0:1], 0, v0
	s_and_saveexec_b64 s[2:3], s[0:1]
	s_cbranch_execz .LBB15_23
; %bb.22:
	s_trap 2
	s_waitcnt lgkmcnt(0)
	ds_read_b32 v6, v0
.LBB15_23:
	s_or_b64 exec, exec, s[2:3]
	s_waitcnt vmcnt(0)
	v_lshrrev_b64 v[0:1], 31, v[8:9]
	v_mov_b64_e32 v[20:21], 0
	v_and_b32_e32 v8, 3, v0
	v_mov_b64_e32 v[52:53], v[20:21]
                                        ; implicit-def: $agpr8_agpr9
                                        ; implicit-def: $vgpr40
                                        ; implicit-def: $vgpr44_vgpr45
                                        ; implicit-def: $vgpr48_vgpr49
                                        ; implicit-def: $vgpr56_vgpr57
                                        ; implicit-def: $vgpr42_vgpr43
	s_and_saveexec_b64 s[0:1], vcc
	s_cbranch_execz .LBB15_33
; %bb.24:
	s_trap 2
	ds_read_b64 v[0:1], v0
	s_waitcnt lgkmcnt(1)
	v_ashrrev_i32_e32 v7, 31, v6
	s_movk_i32 s2, 0xa8
                                        ; implicit-def: $agpr8_agpr9
	s_waitcnt lgkmcnt(0)
	v_lshl_add_u64 v[0:1], v[6:7], 3, v[0:1]
	flat_load_dwordx2 v[0:1], v[0:1]
	v_and_b32_e32 v7, 0xffff, v8
	s_waitcnt vmcnt(0) lgkmcnt(0)
	v_mad_u64_u32 v[0:1], s[2:3], v7, s2, v[0:1]
	flat_load_dword v7, v[0:1] offset:640
	s_mov_b64 s[2:3], 0x1f8
	v_lshl_add_u64 v[20:21], v[0:1], 0, s[2:3]
	s_waitcnt vmcnt(0) lgkmcnt(0)
	v_cmp_eq_u32_e32 vcc, 1, v7
	s_and_saveexec_b64 s[2:3], vcc
	s_cbranch_execz .LBB15_26
; %bb.25:
	flat_load_dwordx2 v[18:19], v[20:21] offset:144
	v_or_b32_e32 v28, 0x2000, v28
	s_waitcnt vmcnt(0) lgkmcnt(0)
	flat_load_dwordx2 v[0:1], v[18:19]
	s_trap 2
	v_accvgpr_write_b32 a8, v18
	v_accvgpr_write_b32 a9, v19
	s_waitcnt vmcnt(0) lgkmcnt(0)
	ds_write_b64 v0, v[0:1]
	flat_load_dwordx2 v[0:1], v[18:19] offset:8
	s_waitcnt vmcnt(0) lgkmcnt(0)
	ds_write_b64 v0, v[0:1]
	flat_load_dwordx2 v[0:1], v[18:19] offset:16
	s_waitcnt vmcnt(0) lgkmcnt(0)
	ds_write_b64 v0, v[0:1]
.LBB15_26:
	s_or_b64 exec, exec, s[2:3]
	flat_load_dwordx2 v[0:1], v[20:21] offset:104
	v_and_b32_e32 v7, 32, v28
	v_cmp_ne_u32_e32 vcc, 0, v7
                                        ; implicit-def: $vgpr42_vgpr43
	s_waitcnt vmcnt(0) lgkmcnt(0)
	v_lshl_add_u64 v[44:45], v[0:1], 0, 3
	v_and_b32_e32 v44, -4, v44
	s_and_saveexec_b64 s[2:3], vcc
	s_cbranch_execz .LBB15_28
; %bb.27:
	flat_load_dwordx2 v[42:43], v[20:21] offset:56
	s_waitcnt vmcnt(0) lgkmcnt(0)
	flat_store_dwordx2 v[42:43], v[44:45] sc0 sc1
.LBB15_28:
	s_or_b64 exec, exec, s[2:3]
	v_and_b32_e32 v0, 4, v28
	v_cmp_ne_u32_e32 vcc, 0, v0
	v_mov_b64_e32 v[52:53], 0
                                        ; implicit-def: $vgpr40
                                        ; implicit-def: $vgpr48_vgpr49
                                        ; implicit-def: $vgpr56_vgpr57
	s_and_saveexec_b64 s[2:3], vcc
	s_cbranch_execz .LBB15_32
; %bb.29:
	v_and_b32_e32 v0, 0x800, v28
	v_cmp_eq_u32_e32 vcc, 0, v0
	s_and_saveexec_b64 s[4:5], vcc
	s_cbranch_execz .LBB15_31
; %bb.30:
	s_trap 2
	ds_write_b64 v0, v[20:21]
.LBB15_31:
	s_or_b64 exec, exec, s[4:5]
	flat_load_dwordx2 v[42:43], v[20:21] offset:48
	v_or_b32_e32 v1, 0x100, v28
	s_waitcnt vmcnt(0) lgkmcnt(0)
	flat_load_dwordx2 v[56:57], v[42:43] sc0 sc1
	flat_load_dword v0, v[20:21] offset:72
	flat_load_dwordx2 v[52:53], v[20:21] offset:96
	flat_load_dwordx2 v[48:49], v[20:21] offset:16
	s_waitcnt vmcnt(0) lgkmcnt(0)
	v_ashrrev_i32_e32 v40, 1, v0
	v_cmp_eq_u64_e32 vcc, 0, v[52:53]
	s_nop 1
	v_cndmask_b32_e32 v28, v1, v28, vcc
.LBB15_32:
	s_or_b64 exec, exec, s[2:3]
.LBB15_33:
	s_or_b64 exec, exec, s[0:1]
	v_and_b32_e32 v0, 24, v28
	v_cmp_ne_u32_e32 vcc, 0, v0
                                        ; implicit-def: $vgpr50_vgpr51
	s_and_saveexec_b64 s[0:1], vcc
	s_cbranch_execz .LBB15_41
; %bb.34:
	s_trap 2
	ds_read_b64 v[0:1], v0
	s_waitcnt lgkmcnt(0)
	v_ashrrev_i32_e32 v7, 31, v6
	s_movk_i32 s2, 0xa8
                                        ; implicit-def: $vgpr50_vgpr51
	v_lshl_add_u64 v[0:1], v[6:7], 3, v[0:1]
	flat_load_dwordx2 v[0:1], v[0:1]
	v_and_b32_e32 v6, 0xffff, v8
	s_waitcnt vmcnt(0) lgkmcnt(0)
	v_mad_u64_u32 v[20:21], s[2:3], v6, s2, v[0:1]
	flat_load_dwordx4 v[52:55], v[20:21] offset:96
	v_or_b32_e32 v0, 0x100, v28
	s_waitcnt vmcnt(0) lgkmcnt(0)
	v_cmp_eq_u64_e32 vcc, 0, v[52:53]
	s_nop 1
	v_cndmask_b32_e32 v28, v0, v28, vcc
	v_and_b32_e32 v0, 16, v28
	v_cmp_ne_u32_e32 vcc, 0, v0
	s_and_saveexec_b64 s[2:3], vcc
	s_cbranch_execz .LBB15_36
; %bb.35:
	flat_load_dwordx2 v[50:51], v[20:21] offset:120
	flat_load_dwordx2 v[42:43], v[20:21] offset:48
	;; [unrolled: 1-line block ×3, first 2 shown]
.LBB15_36:
	s_or_b64 exec, exec, s[2:3]
	v_lshl_add_u64 v[44:45], v[54:55], 0, 3
	v_and_b32_e32 v0, 8, v28
	v_and_b32_e32 v44, -4, v44
	v_cmp_ne_u32_e32 vcc, 0, v0
	s_and_saveexec_b64 s[2:3], vcc
	s_cbranch_execz .LBB15_40
; %bb.37:
	v_and_b32_e32 v0, 0x800, v28
	v_cmp_eq_u32_e32 vcc, 0, v0
	s_and_saveexec_b64 s[4:5], vcc
	s_cbranch_execz .LBB15_39
; %bb.38:
	s_trap 2
	ds_write_b64 v0, v[20:21]
.LBB15_39:
	s_or_b64 exec, exec, s[4:5]
	s_waitcnt vmcnt(0) lgkmcnt(0)
	flat_load_dwordx2 v[42:43], v[20:21] offset:56
	s_waitcnt vmcnt(0) lgkmcnt(0)
	flat_load_dwordx2 v[56:57], v[42:43] sc0 sc1
	flat_load_dword v0, v[20:21] offset:72
	flat_load_dwordx2 v[48:49], v[20:21] offset:16
	s_waitcnt vmcnt(0) lgkmcnt(0)
	v_ashrrev_i32_e32 v40, 1, v0
.LBB15_40:
	s_or_b64 exec, exec, s[2:3]
.LBB15_41:
	s_or_b64 exec, exec, s[0:1]
	v_cmp_eq_u32_e64 s[0:1], 0, v58
	s_and_saveexec_b64 s[2:3], s[0:1]
	s_cbranch_execz .LBB15_43
; %bb.42:
	flat_load_dwordx2 v[0:1], v[2:3] offset:32
	s_waitcnt lgkmcnt(0)
	v_mov_b32_e32 v6, v12
	v_mov_b32_e32 v7, v13
	;; [unrolled: 1-line block ×4, first 2 shown]
	s_waitcnt vmcnt(0)
	ds_write2_b64 v0, v[6:7], v[8:9] offset1:1
	s_trap 2
	ds_write_b64 v0, v[0:1]
	ds_write_b64 v0, v[4:5]
.LBB15_43:
	s_or_b64 exec, exec, s[2:3]
	v_accvgpr_read_b32 v0, a6
	v_accvgpr_read_b32 v1, a7
	s_mov_b64 s[36:37], 0
	v_cmp_lt_i64_e32 vcc, 0, v[0:1]
	v_mov_b64_e32 v[54:55], 0
	s_and_saveexec_b64 s[34:35], vcc
	s_cbranch_execz .LBB15_1209
; %bb.44:
	flat_load_dword v4, v[2:3] offset:4
	s_ashr_i32 s15, s14, 31
	s_lshr_b32 s15, s15, 29
	s_add_i32 s20, s14, s15
	s_ashr_i32 s73, s72, 31
	s_ashr_i32 s21, s20, 4
	s_add_u32 s44, s72, -1
	s_addc_u32 s45, s73, -1
	s_add_i32 s76, s72, s72
	s_not_b32 s22, s72
	s_cmp_gt_i32 s72, 0
	v_lshrrev_b32_e32 v36, 6, v15
	v_ashrrev_i32_e32 v5, 31, v58
	v_mov_b32_e32 v7, 0xfffff800
	s_cselect_b32 s22, s22, -1
	s_ashr_i32 s20, s20, 31
	v_and_b32_e32 v2, 0x1fffff00, v16
	s_waitcnt lgkmcnt(0)
	v_mov_b32_e32 v6, 0xffffe000
	v_mov_b32_e32 v9, 0xfffff000
	v_lshrrev_b32_e32 v5, 26, v5
	v_lshl_add_u32 v8, v36, 11, v7
	s_lshr_b32 s20, s20, 28
	v_and_b32_e32 v1, 63, v31
	s_mov_b64 s[18:19], 0x800
	v_mad_i64_i32 v[46:47], s[12:13], v2, s72, 0
	v_lshl_add_u32 v6, v36, 13, v6
	v_lshl_add_u32 v10, v36, 12, v9
	v_add_u32_e32 v5, v58, v5
	v_ashrrev_i32_e32 v9, 31, v8
	s_add_i32 s77, s22, s76
	s_add_i32 s21, s21, s20
	s_mov_b64 s[16:17], 0x2000
	v_cmp_eq_u32_e64 s[12:13], 0, v1
	v_ashrrev_i32_e32 v7, 31, v6
	v_ashrrev_i32_e32 v38, 6, v5
	v_and_b32_e32 v5, 0xffffffc0, v5
	v_lshl_add_u64 v[0:1], v[8:9], 0, s[18:19]
	s_ashr_i32 s78, s77, 31
	s_ashr_i32 s79, s21, 4
	v_accvgpr_write_b32 a10, v20
	v_lshlrev_b32_e32 v29, 10, v36
	v_lshlrev_b32_e32 v41, 7, v36
	v_ashrrev_i32_e32 v11, 31, v10
	v_lshl_add_u64 v[18:19], v[6:7], 0, s[16:17]
	v_accvgpr_write_b32 a47, v1
	v_sub_u32_e32 v7, v58, v5
	v_lshlrev_b32_e32 v5, 13, v38
	s_cmp_gt_i32 s72, 2
	s_mov_b64 s[22:23], 0x1000
	v_accvgpr_write_b32 a11, v21
	v_add_u32_e32 v26, 0xfffffc00, v29
	v_add_u32_e32 v30, 0xffffff80, v41
	v_accvgpr_write_b32 a46, v0
	v_lshlrev_b32_e32 v6, 12, v38
	v_lshl_add_u32 v20, v7, 4, v5
	s_cselect_b64 s[46:47], -1, 0
	v_lshl_add_u64 v[0:1], v[10:11], 0, s[22:23]
	s_add_i32 s22, s72, 1
	v_mov_b32_e32 v3, 0
	v_accvgpr_write_b32 a1, v31
	s_mov_b64 s[40:41], 0x400
	s_mov_b64 s[42:43], 0x80
	v_ashrrev_i32_e32 v27, 31, v26
	v_ashrrev_i32_e32 v31, 31, v30
	v_sub_u32_e32 v6, v20, v6
	v_mov_b32_e32 v37, v3
	v_lshl_add_u64 v[32:33], v[26:27], 0, s[40:41]
	v_lshl_add_u64 v[34:35], v[30:31], 0, s[42:43]
	v_cmp_gt_i32_e64 s[14:15], 1, v7
	v_cmp_lt_i32_e64 s[16:17], v7, v14
	v_accvgpr_write_b32 a33, v7
	v_cmp_le_i32_e64 s[18:19], v7, v14
	v_ashrrev_i32_e32 v7, 31, v6
	v_accvgpr_write_b32 a43, v1
	v_cmp_ge_i32_e32 vcc, v58, v15
	v_ashrrev_i32_e32 v39, 31, v40
	v_accvgpr_write_b32 a41, v7
	v_accvgpr_write_b32 a42, v0
	v_mov_b64_e32 v[0:1], 0
	s_waitcnt vmcnt(0)
	v_and_b32_e32 v4, 1, v4
	v_cmp_eq_u32_e64 s[20:21], 1, v4
	s_xor_b64 s[48:49], s[20:21], -1
	s_cmp_le_i32 s72, s22
	s_cselect_b32 s23, s72, 0
	s_sub_i32 s80, s22, s23
	v_accvgpr_write_b32 a51, v3
	v_accvgpr_read_b32 v4, a6
	v_accvgpr_write_b32 a14, v52
	v_accvgpr_write_b32 a18, v48
	;; [unrolled: 1-line block ×9, first 2 shown]
	v_cmp_eq_u32_e64 s[2:3], 64, v15
	v_cmp_ne_u32_e64 s[4:5], 64, v15
	v_accvgpr_write_b32 a2, v17
	v_cmp_ne_u32_sdwa s[38:39], v17, v15 src0_sel:WORD_0 src1_sel:DWORD
	v_accvgpr_write_b32 a0, v15
	s_movk_i32 s74, 0xfc00
	s_movk_i32 s75, 0xff80
	v_cmp_eq_u64_e64 s[6:7], 0, v[50:51]
	v_cmp_ne_u64_e64 s[10:11], 0, v[50:51]
	v_ashrrev_i32_e32 v21, 31, v20
	v_accvgpr_write_b32 a40, v6
	s_ashr_i32 s81, s80, 31
	s_add_i32 s82, s72, -2
	s_xor_b64 s[50:51], vcc, -1
	s_movk_i32 s83, 0x270e
	v_mov_b32_e32 v59, 1
	s_movk_i32 s84, 0x108
	s_mov_b64 s[52:53], 0x780
	s_movk_i32 s85, 0xf880
	s_movk_i32 s86, 0xf900
	;; [unrolled: 1-line block ×10, first 2 shown]
	v_accvgpr_write_b32 a50, v2
	v_mov_b64_e32 v[54:55], v[0:1]
	v_accvgpr_read_b32 v5, a7
	v_accvgpr_write_b32 a15, v53
	v_accvgpr_write_b32 a16, v40
	;; [unrolled: 1-line block ×13, first 2 shown]
	s_trap 2
	scratch_store_dwordx2 off, v[20:21], s33 offset:172 ; 8-byte Folded Spill
	s_branch .LBB15_47
.LBB15_45:                              ;   in Loop: Header=BB15_47 Depth=1
	s_or_b64 exec, exec, s[26:27]
.LBB15_46:                              ;   in Loop: Header=BB15_47 Depth=1
	s_or_b64 exec, exec, s[24:25]
	v_accvgpr_read_b32 v4, a6
	v_lshl_add_u64 v[0:1], v[0:1], 0, v[46:47]
	v_accvgpr_read_b32 v5, a7
	v_cmp_ge_i64_e32 vcc, v[0:1], v[4:5]
	s_or_b64 s[36:37], vcc, s[36:37]
	s_andn2_b64 exec, exec, s[36:37]
	s_cbranch_execz .LBB15_1208
.LBB15_47:                              ; =>This Loop Header: Depth=1
                                        ;     Child Loop BB15_57 Depth 2
                                        ;       Child Loop BB15_65 Depth 3
                                        ;       Child Loop BB15_89 Depth 3
	;; [unrolled: 1-line block ×9, first 2 shown]
                                        ;     Child Loop BB15_199 Depth 2
                                        ;       Child Loop BB15_205 Depth 3
                                        ;       Child Loop BB15_234 Depth 3
	;; [unrolled: 1-line block ×3, first 2 shown]
                                        ;     Child Loop BB15_271 Depth 2
                                        ;       Child Loop BB15_274 Depth 3
                                        ;         Child Loop BB15_282 Depth 4
                                        ;         Child Loop BB15_308 Depth 4
                                        ;         Child Loop BB15_327 Depth 4
                                        ;         Child Loop BB15_361 Depth 4
                                        ;         Child Loop BB15_366 Depth 4
                                        ;         Child Loop BB15_347 Depth 4
                                        ;         Child Loop BB15_352 Depth 4
                                        ;         Child Loop BB15_380 Depth 4
                                        ;         Child Loop BB15_399 Depth 4
                                        ;       Child Loop BB15_418 Depth 3
                                        ;         Child Loop BB15_424 Depth 4
                                        ;         Child Loop BB15_462 Depth 4
	;; [unrolled: 1-line block ×3, first 2 shown]
                                        ;     Child Loop BB15_491 Depth 2
                                        ;       Child Loop BB15_499 Depth 3
                                        ;       Child Loop BB15_525 Depth 3
	;; [unrolled: 1-line block ×9, first 2 shown]
                                        ;         Child Loop BB15_585 Depth 4
                                        ;       Child Loop BB15_594 Depth 3
                                        ;       Child Loop BB15_599 Depth 3
                                        ;         Child Loop BB15_600 Depth 4
                                        ;       Child Loop BB15_572 Depth 3
                                        ;       Child Loop BB15_651 Depth 3
                                        ;     Child Loop BB15_670 Depth 2
                                        ;       Child Loop BB15_676 Depth 3
                                        ;       Child Loop BB15_706 Depth 3
                                        ;       Child Loop BB15_725 Depth 3
                                        ;     Child Loop BB15_743 Depth 2
                                        ;       Child Loop BB15_746 Depth 3
                                        ;         Child Loop BB15_754 Depth 4
                                        ;         Child Loop BB15_780 Depth 4
	;; [unrolled: 1-line block ×9, first 2 shown]
                                        ;           Child Loop BB15_840 Depth 5
                                        ;         Child Loop BB15_849 Depth 4
                                        ;         Child Loop BB15_854 Depth 4
                                        ;           Child Loop BB15_855 Depth 5
                                        ;         Child Loop BB15_827 Depth 4
                                        ;         Child Loop BB15_906 Depth 4
                                        ;       Child Loop BB15_925 Depth 3
                                        ;         Child Loop BB15_931 Depth 4
                                        ;         Child Loop BB15_961 Depth 4
	;; [unrolled: 1-line block ×3, first 2 shown]
                                        ;     Child Loop BB15_1002 Depth 2
                                        ;       Child Loop BB15_1010 Depth 3
                                        ;       Child Loop BB15_1034 Depth 3
	;; [unrolled: 1-line block ×9, first 2 shown]
                                        ;     Child Loop BB15_1142 Depth 2
                                        ;       Child Loop BB15_1148 Depth 3
                                        ;       Child Loop BB15_1172 Depth 3
                                        ;       Child Loop BB15_1195 Depth 3
	v_sub_co_u32_e32 v4, vcc, v4, v0
	s_nop 1
	v_subb_co_u32_e32 v5, vcc, v5, v1, vcc
	v_accvgpr_write_b32 a53, v5
	v_accvgpr_write_b32 a52, v4
	v_cmp_lt_i64_e32 vcc, v[4:5], v[46:47]
	s_mov_b64 s[24:25], exec
	v_accvgpr_read_b32 v46, a46
	s_and_b64 s[22:23], s[24:25], vcc
	v_accvgpr_read_b32 v47, a47
	s_mov_b64 exec, s[22:23]
	s_cbranch_execz .LBB15_53
; %bb.48:                               ;   in Loop: Header=BB15_47 Depth=1
	v_accvgpr_read_b32 v4, a52
	v_accvgpr_read_b32 v5, a53
	v_lshl_add_u64 v[4:5], s[44:45], 0, v[4:5]
	v_or_b32_e32 v7, s73, v5
	v_mov_b32_e32 v6, v3
	v_cmp_ne_u64_e32 vcc, 0, v[6:7]
                                        ; implicit-def: $vgpr6_vgpr7
	s_and_saveexec_b64 s[22:23], vcc
	s_xor_b64 s[26:27], exec, s[22:23]
	s_cbranch_execz .LBB15_50
; %bb.49:                               ;   in Loop: Header=BB15_47 Depth=1
	s_add_u32 s22, s72, s73
	s_mov_b32 s28, s73
	s_mov_b32 s29, s73
	s_addc_u32 s23, s73, s73
	s_xor_b64 s[54:55], s[22:23], s[28:29]
	v_cvt_f32_u32_e32 v2, s54
	v_cvt_f32_u32_e32 v6, s55
	s_sub_u32 s22, 0, s54
	s_subb_u32 s23, 0, s55
	v_fmac_f32_e32 v2, 0x4f800000, v6
	v_rcp_f32_e32 v2, v2
	s_nop 0
	v_mul_f32_e32 v2, 0x5f7ffffc, v2
	v_mul_f32_e32 v6, 0x2f800000, v2
	v_trunc_f32_e32 v6, v6
	v_fmac_f32_e32 v2, 0xcf800000, v6
	v_cvt_u32_f32_e32 v8, v6
	v_cvt_u32_f32_e32 v9, v2
	v_mul_lo_u32 v2, s22, v8
	v_mul_hi_u32 v7, s22, v9
	v_mul_lo_u32 v6, s23, v9
	v_add_u32_e32 v2, v7, v2
	v_mul_lo_u32 v10, s22, v9
	v_add_u32_e32 v11, v2, v6
	v_mul_hi_u32 v7, v9, v11
	v_mul_lo_u32 v6, v9, v11
	v_mul_hi_u32 v2, v9, v10
	v_lshl_add_u64 v[6:7], v[2:3], 0, v[6:7]
	v_mul_hi_u32 v2, v8, v10
	v_mul_lo_u32 v10, v8, v10
	v_add_co_u32_e32 v6, vcc, v6, v10
	v_mul_hi_u32 v12, v8, v11
	s_nop 0
	v_addc_co_u32_e32 v2, vcc, v7, v2, vcc
	v_mul_lo_u32 v6, v8, v11
	s_nop 0
	v_addc_co_u32_e32 v7, vcc, 0, v12, vcc
	v_lshl_add_u64 v[6:7], v[2:3], 0, v[6:7]
	v_add_co_u32_e32 v9, vcc, v9, v6
	v_mul_hi_u32 v6, s22, v9
	s_nop 0
	v_addc_co_u32_e32 v8, vcc, v8, v7, vcc
	v_mul_lo_u32 v2, s22, v8
	v_add_u32_e32 v2, v6, v2
	v_mul_lo_u32 v6, s23, v9
	v_add_u32_e32 v10, v2, v6
	v_mul_lo_u32 v2, s22, v9
	v_mul_hi_u32 v12, v8, v2
	v_mul_lo_u32 v13, v8, v2
	v_mul_hi_u32 v7, v9, v10
	;; [unrolled: 2-line block ×3, first 2 shown]
	v_lshl_add_u64 v[6:7], v[2:3], 0, v[6:7]
	v_add_co_u32_e32 v2, vcc, v6, v13
	v_mul_hi_u32 v11, v8, v10
	s_nop 0
	v_addc_co_u32_e32 v2, vcc, v7, v12, vcc
	v_mul_lo_u32 v6, v8, v10
	s_nop 0
	v_addc_co_u32_e32 v7, vcc, 0, v11, vcc
	v_lshl_add_u64 v[6:7], v[2:3], 0, v[6:7]
	v_add_co_u32_e32 v10, vcc, v9, v6
	v_ashrrev_i32_e32 v6, 31, v5
	s_nop 0
	v_addc_co_u32_e32 v8, vcc, v8, v7, vcc
	v_mov_b32_e32 v7, v6
	v_lshl_add_u64 v[4:5], v[4:5], 0, v[6:7]
	v_xor_b32_e32 v12, v4, v6
	v_xor_b32_e32 v7, v5, v6
	v_mad_u64_u32 v[4:5], s[22:23], v12, v8, 0
	v_mul_hi_u32 v2, v12, v10
	v_lshl_add_u64 v[4:5], v[2:3], 0, v[4:5]
	v_mad_u64_u32 v[10:11], s[22:23], v7, v10, 0
	v_add_co_u32_e32 v2, vcc, v4, v10
	v_mad_u64_u32 v[8:9], s[22:23], v7, v8, 0
	s_nop 0
	v_addc_co_u32_e32 v2, vcc, v5, v11, vcc
	s_nop 1
	v_addc_co_u32_e32 v9, vcc, 0, v9, vcc
	v_lshl_add_u64 v[4:5], v[2:3], 0, v[8:9]
	v_mul_lo_u32 v2, s55, v4
	v_mul_lo_u32 v10, s54, v5
	v_mad_u64_u32 v[8:9], s[22:23], s54, v4, 0
	v_add3_u32 v2, v9, v10, v2
	v_sub_u32_e32 v9, v7, v2
	v_mov_b32_e32 v10, s55
	v_sub_co_u32_e32 v12, vcc, v12, v8
	s_nop 1
	v_subb_co_u32_e64 v8, s[22:23], v9, v10, vcc
	v_subrev_co_u32_e64 v9, s[22:23], s54, v12
	v_subb_co_u32_e32 v2, vcc, v7, v2, vcc
	s_nop 0
	v_subbrev_co_u32_e64 v8, s[22:23], 0, v8, s[22:23]
	v_cmp_le_u32_e64 s[22:23], s55, v8
	v_cmp_le_u32_e32 vcc, s55, v2
	s_nop 0
	v_cndmask_b32_e64 v10, 0, -1, s[22:23]
	v_cmp_le_u32_e64 s[22:23], s54, v9
	v_cndmask_b32_e64 v7, 0, -1, vcc
	v_cmp_le_u32_e32 vcc, s54, v12
	v_cndmask_b32_e64 v9, 0, -1, s[22:23]
	v_cmp_eq_u32_e64 s[22:23], s55, v8
	s_nop 1
	v_cndmask_b32_e64 v13, v10, v9, s[22:23]
	v_lshl_add_u64 v[8:9], v[4:5], 0, 2
	v_lshl_add_u64 v[10:11], v[4:5], 0, 1
	v_cmp_ne_u32_e64 s[22:23], 0, v13
	s_nop 1
	v_cndmask_b32_e64 v9, v11, v9, s[22:23]
	v_cndmask_b32_e64 v11, 0, -1, vcc
	v_cmp_eq_u32_e32 vcc, s55, v2
	s_nop 1
	v_cndmask_b32_e32 v2, v7, v11, vcc
	v_cmp_ne_u32_e32 vcc, 0, v2
	s_nop 1
	v_cndmask_b32_e32 v2, v5, v9, vcc
	v_cndmask_b32_e64 v5, v10, v8, s[22:23]
	v_cndmask_b32_e32 v4, v4, v5, vcc
	v_xor_b32_e32 v5, s29, v6
	v_xor_b32_e32 v6, s28, v6
	;; [unrolled: 1-line block ×4, first 2 shown]
	v_sub_co_u32_e32 v6, vcc, v4, v6
	s_nop 1
	v_subb_co_u32_e32 v7, vcc, v2, v5, vcc
                                        ; implicit-def: $vgpr4_vgpr5
.LBB15_50:                              ;   in Loop: Header=BB15_47 Depth=1
	s_andn2_saveexec_b64 s[22:23], s[26:27]
	s_cbranch_execz .LBB15_52
; %bb.51:                               ;   in Loop: Header=BB15_47 Depth=1
	v_cvt_f32_u32_e32 v2, s72
	s_sub_i32 s26, 0, s72
	v_rcp_iflag_f32_e32 v2, v2
	s_nop 0
	v_mul_f32_e32 v2, 0x4f7ffffe, v2
	v_cvt_u32_f32_e32 v2, v2
	v_mul_lo_u32 v5, s26, v2
	v_mul_hi_u32 v5, v2, v5
	v_add_u32_e32 v2, v2, v5
	v_mul_hi_u32 v2, v4, v2
	v_mul_lo_u32 v5, v2, s72
	v_sub_u32_e32 v4, v4, v5
	v_add_u32_e32 v6, 1, v2
	v_subrev_u32_e32 v5, s72, v4
	v_cmp_le_u32_e32 vcc, s72, v4
	s_nop 1
	v_cndmask_b32_e32 v4, v4, v5, vcc
	v_cndmask_b32_e32 v2, v2, v6, vcc
	v_add_u32_e32 v5, 1, v2
	v_cmp_le_u32_e32 vcc, s72, v4
	s_nop 1
	v_cndmask_b32_e32 v2, v2, v5, vcc
	v_mov_b64_e32 v[6:7], v[2:3]
.LBB15_52:                              ;   in Loop: Header=BB15_47 Depth=1
	s_or_b64 exec, exec, s[22:23]
	v_lshl_add_u64 v[4:5], v[6:7], 0, 7
	v_and_b32_e32 v4, -8, v4
	v_accvgpr_write_b32 a51, v5
	v_accvgpr_write_b32 a50, v4
.LBB15_53:                              ;   in Loop: Header=BB15_47 Depth=1
	s_or_b64 exec, exec, s[24:25]
	v_accvgpr_read_b32 v6, a50
	v_accvgpr_read_b32 v7, a51
	v_mul_lo_u32 v2, v7, s77
	v_mul_lo_u32 v4, v6, s78
	v_mad_u64_u32 v[10:11], s[22:23], v6, s77, 0
	v_add3_u32 v11, v11, v4, v2
	v_accvgpr_read_b32 v4, a4
	v_accvgpr_read_b32 v5, a5
	v_lshl_add_u64 v[4:5], v[0:1], 0, v[4:5]
	v_accvgpr_write_b32 a55, v5
	v_accvgpr_write_b32 a54, v4
	v_accvgpr_read_b32 v4, a52
	v_accvgpr_read_b32 v5, a53
	v_sub_co_u32_e32 v4, vcc, v4, v10
	v_accvgpr_write_b32 a29, v27
	s_nop 0
	v_subb_co_u32_e32 v5, vcc, v5, v11, vcc
	v_cmp_lt_i64_e32 vcc, v[6:7], v[4:5]
	v_accvgpr_write_b32 a28, v26
	v_mov_b32_e32 v26, 0
	v_cndmask_b32_e32 v2, v4, v6, vcc
	v_max_i32_e32 v16, 0, v2
	v_add_u32_e32 v4, 31, v16
	v_ashrrev_i32_e32 v5, 31, v4
	v_lshrrev_b32_e32 v5, 27, v5
	v_add_u32_e32 v4, v4, v5
	v_ashrrev_i32_e32 v4, 5, v4
	v_lshlrev_b32_e32 v4, 4, v4
	v_max_i32_e32 v60, s79, v4
	v_cmp_lt_i32_e32 vcc, 0, v2
	v_mov_b32_e32 v2, 0
	s_and_b64 s[22:23], s[50:51], vcc
	s_mov_b64 s[24:25], exec
	v_accvgpr_write_b32 a49, v1
	s_and_b64 s[22:23], s[24:25], s[22:23]
	v_accvgpr_write_b32 a48, v0
	s_mov_b64 exec, s[22:23]
	s_cbranch_execz .LBB15_195
; %bb.54:                               ;   in Loop: Header=BB15_47 Depth=1
	v_accvgpr_write_b32 a57, v11
	s_mov_b32 s70, 1
	s_mov_b64 s[28:29], -1
	s_mov_b64 s[26:27], 0
	v_mov_b32_e32 v26, 0
	v_accvgpr_write_b32 a56, v10
	s_branch .LBB15_57
.LBB15_55:                              ;   in Loop: Header=BB15_57 Depth=2
	s_or_b64 exec, exec, vcc
	v_lshl_add_u64 v[44:45], v[44:45], 0, 2
	flat_store_dwordx2 v[42:43], v[44:45] sc0 sc1
.LBB15_56:                              ;   in Loop: Header=BB15_57 Depth=2
	s_or_b64 exec, exec, s[22:23]
	v_add_u32_e32 v26, v60, v26
	v_cmp_ge_i32_e32 vcc, v26, v16
	s_xor_b64 s[22:23], s[28:29], -1
	s_or_b64 s[22:23], s[22:23], vcc
	s_and_b64 s[22:23], exec, s[22:23]
	s_or_b64 s[26:27], s[22:23], s[26:27]
	s_mov_b64 s[28:29], 0
	v_mov_b32_e32 v2, s70
	s_mov_b32 s70, 2
	s_andn2_b64 exec, exec, s[26:27]
	s_cbranch_execz .LBB15_194
.LBB15_57:                              ;   Parent Loop BB15_47 Depth=1
                                        ; =>  This Loop Header: Depth=2
                                        ;       Child Loop BB15_65 Depth 3
                                        ;       Child Loop BB15_89 Depth 3
	;; [unrolled: 1-line block ×9, first 2 shown]
	s_and_saveexec_b64 s[22:23], s[0:1]
	s_cbranch_execz .LBB15_59
; %bb.58:                               ;   in Loop: Header=BB15_57 Depth=2
	s_trap 2
	ds_read_b64 v[4:5], v0
	v_accvgpr_read_b32 v6, a54
	v_accvgpr_read_b32 v7, a55
	v_ashrrev_i32_e32 v27, 31, v26
	v_mov_b32_e32 v2, v3
	s_waitcnt lgkmcnt(0)
	v_lshl_add_u64 v[4:5], v[6:7], 1, v[4:5]
	v_lshl_add_u64 v[4:5], v[10:11], 1, v[4:5]
	v_lshl_add_u64 v[4:5], v[26:27], 1, v[4:5]
	ds_write_b64 v0, v[4:5]
	ds_write_b64 v0, v[2:3]
.LBB15_59:                              ;   in Loop: Header=BB15_57 Depth=2
	s_or_b64 exec, exec, s[22:23]
	v_and_b32_e32 v2, 8, v28
	v_cmp_ne_u32_e32 vcc, 0, v2
	s_mov_b64 s[54:55], -1
	s_and_saveexec_b64 s[22:23], vcc
	s_cbranch_execz .LBB15_71
; %bb.60:                               ;   in Loop: Header=BB15_57 Depth=2
	v_lshl_add_u64 v[6:7], v[56:57], 0, 8
	v_lshl_add_u64 v[4:5], v[44:45], 0, 2
	v_cmp_lt_u64_e32 vcc, v[6:7], v[4:5]
	v_mov_b32_e32 v2, 1
	s_and_saveexec_b64 s[54:55], vcc
	s_cbranch_execz .LBB15_70
; %bb.61:                               ;   in Loop: Header=BB15_57 Depth=2
	s_mov_b64 s[56:57], 0
	v_mov_b32_e32 v2, 0
                                        ; implicit-def: $sgpr58_sgpr59
	s_branch .LBB15_65
.LBB15_62:                              ;   in Loop: Header=BB15_65 Depth=3
	s_or_b64 exec, exec, s[66:67]
	v_mov_b32_e32 v7, 0
	s_orn2_b64 s[64:65], s[64:65], exec
.LBB15_63:                              ;   in Loop: Header=BB15_65 Depth=3
	s_or_b64 exec, exec, s[62:63]
	s_andn2_b64 vcc, s[58:59], exec
	s_and_b64 s[58:59], s[64:65], exec
	s_or_b64 s[58:59], vcc, s[58:59]
	v_mov_b32_e32 v2, v7
.LBB15_64:                              ;   in Loop: Header=BB15_65 Depth=3
	s_or_b64 exec, exec, s[60:61]
	s_waitcnt vmcnt(0) lgkmcnt(0)
	v_lshl_add_u64 v[6:7], v[56:57], 0, 8
	v_cmp_ge_u64_e32 vcc, v[6:7], v[4:5]
	s_xor_b64 s[60:61], s[58:59], -1
	s_or_b64 vcc, s[60:61], vcc
	s_and_b64 vcc, exec, vcc
	s_or_b64 s[56:57], vcc, s[56:57]
	s_andn2_b64 exec, exec, s[56:57]
	s_cbranch_execz .LBB15_69
.LBB15_65:                              ;   Parent Loop BB15_47 Depth=1
                                        ;     Parent Loop BB15_57 Depth=2
                                        ; =>    This Inner Loop Header: Depth=3
	s_sleep 1
	flat_load_dwordx2 v[56:57], v[42:43] sc0 sc1
	v_and_b32_e32 v6, 64, v28
	v_cmp_eq_u32_e32 vcc, 0, v6
	s_andn2_b64 s[58:59], s[58:59], exec
	s_and_saveexec_b64 s[60:61], vcc
	s_cbranch_execz .LBB15_64
; %bb.66:                               ;   in Loop: Header=BB15_65 Depth=3
	v_add_u32_e32 v7, 1, v2
	v_cmp_lt_i32_e32 vcc, s83, v2
	s_mov_b64 s[64:65], -1
	s_and_saveexec_b64 s[62:63], vcc
	s_cbranch_execz .LBB15_63
; %bb.67:                               ;   in Loop: Header=BB15_65 Depth=3
	s_trap 2
	ds_read_b64 v[6:7], v0
	s_waitcnt vmcnt(0) lgkmcnt(0)
	flat_load_dword v2, v[6:7] sc0 sc1
	s_waitcnt vmcnt(0) lgkmcnt(0)
	buffer_inv sc0 sc1
	v_cmp_ne_u32_e32 vcc, 0, v2
	s_and_saveexec_b64 s[66:67], vcc
	s_cbranch_execz .LBB15_62
; %bb.68:                               ;   in Loop: Header=BB15_65 Depth=3
	v_or_b32_e32 v28, 64, v28
	s_xor_b64 s[64:65], exec, -1
	ds_write_b32 v0, v2
	s_trap 2
	s_branch .LBB15_62
.LBB15_69:                              ;   in Loop: Header=BB15_57 Depth=2
	s_or_b64 exec, exec, s[56:57]
	v_and_b32_e32 v2, 8, v28
.LBB15_70:                              ;   in Loop: Header=BB15_57 Depth=2
	s_or_b64 exec, exec, s[54:55]
	v_cmp_eq_u32_e32 vcc, 0, v2
	s_orn2_b64 s[54:55], vcc, exec
	;;#ASMSTART
	s_wakeup
	;;#ASMEND
.LBB15_71:                              ;   in Loop: Header=BB15_57 Depth=2
	s_or_b64 exec, exec, s[22:23]
	v_sub_u32_e32 v2, v16, v26
	s_xor_b64 s[22:23], s[54:55], -1
	v_min_i32_e32 v60, v60, v2
	s_and_saveexec_b64 s[54:55], s[22:23]
	s_cbranch_execz .LBB15_81
; %bb.72:                               ;   in Loop: Header=BB15_57 Depth=2
	v_and_b32_e32 v2, 0x100, v28
	v_cmp_ne_u32_e32 vcc, 0, v2
	v_and_b32_e32 v2, 7, v44
	s_mov_b64 s[22:23], -1
                                        ; implicit-def: $vgpr4_vgpr5
	s_and_saveexec_b64 s[56:57], vcc
	s_cbranch_execz .LBB15_76
; %bb.73:                               ;   in Loop: Header=BB15_57 Depth=2
	v_mad_u64_u32 v[12:13], s[22:23], v2, 24, v[52:53]
	flat_load_dword v6, v[12:13]
	v_ashrrev_i32_e32 v61, 31, v60
	v_lshlrev_b64 v[4:5], 1, v[60:61]
	flat_store_dwordx2 v[12:13], v[4:5] offset:8
                                        ; implicit-def: $vgpr4_vgpr5
	s_waitcnt vmcnt(0) lgkmcnt(0)
	v_cmp_ne_u32_e32 vcc, 1, v6
	v_cmp_eq_u32_e64 s[22:23], 1, v6
	s_and_saveexec_b64 s[58:59], s[22:23]
	s_cbranch_execz .LBB15_75
; %bb.74:                               ;   in Loop: Header=BB15_57 Depth=2
	flat_load_dword v4, v[12:13] offset:4 sc0 sc1
	s_waitcnt vmcnt(0) lgkmcnt(0)
	v_ashrrev_i32_e32 v5, 31, v4
	v_lshrrev_b64 v[4:5], 1, v[4:5]
.LBB15_75:                              ;   in Loop: Header=BB15_57 Depth=2
	s_or_b64 exec, exec, s[58:59]
	s_orn2_b64 s[22:23], vcc, exec
.LBB15_76:                              ;   in Loop: Header=BB15_57 Depth=2
	s_or_b64 exec, exec, s[56:57]
	s_and_saveexec_b64 vcc, s[22:23]
; %bb.77:                               ;   in Loop: Header=BB15_57 Depth=2
	v_mad_i64_i32 v[4:5], s[22:23], v2, v40, 0
; %bb.78:                               ;   in Loop: Header=BB15_57 Depth=2
	s_or_b64 exec, exec, vcc
	v_and_b32_e32 v2, 0x2000, v28
	v_lshl_add_u64 v[4:5], v[4:5], 1, v[48:49]
	v_cmp_ne_u32_e32 vcc, 0, v2
	ds_write_b64 v0, v[4:5] offset:784
	s_and_saveexec_b64 s[22:23], vcc
	s_cbranch_execz .LBB15_80
; %bb.79:                               ;   in Loop: Header=BB15_57 Depth=2
	ds_read_b64 v[4:5], v0 offset:584
	s_waitcnt lgkmcnt(0)
	v_lshl_add_u64 v[4:5], v[4:5], 0, 1
	ds_write_b64 v0, v[4:5] offset:584
.LBB15_80:                              ;   in Loop: Header=BB15_57 Depth=2
	s_or_b64 exec, exec, s[22:23]
	v_lshl_add_u64 v[44:45], v[44:45], 0, 2
.LBB15_81:                              ;   in Loop: Header=BB15_57 Depth=2
	s_or_b64 exec, exec, s[54:55]
	s_and_saveexec_b64 s[22:23], s[4:5]
	s_cbranch_execz .LBB15_100
; %bb.82:                               ;   in Loop: Header=BB15_57 Depth=2
	s_and_saveexec_b64 vcc, s[38:39]
	s_xor_b64 s[54:55], exec, vcc
	s_cbranch_execz .LBB15_97
; %bb.83:                               ;   in Loop: Header=BB15_57 Depth=2
	s_and_saveexec_b64 s[56:57], s[12:13]
	s_cbranch_execz .LBB15_96
; %bb.84:                               ;   in Loop: Header=BB15_57 Depth=2
	s_mov_b64 s[60:61], exec
	v_mbcnt_lo_u32_b32 v2, s60, 0
	v_mbcnt_hi_u32_b32 v2, s61, v2
	v_cmp_eq_u32_e32 vcc, 0, v2
	s_waitcnt lgkmcnt(0)
	s_and_saveexec_b64 s[58:59], vcc
	s_cbranch_execz .LBB15_86
; %bb.85:                               ;   in Loop: Header=BB15_57 Depth=2
	s_bcnt1_i32_b64 vcc_lo, s[60:61]
	v_mov_b32_e32 v2, vcc_lo
	ds_add_u64 v0, v[2:3]
	s_trap 2
.LBB15_86:                              ;   in Loop: Header=BB15_57 Depth=2
	s_or_b64 exec, exec, s[58:59]
	s_trap 2
	ds_read_b64 v[4:5], v0
	v_lshl_add_u64 v[54:55], v[54:55], 0, v[36:37]
	s_waitcnt lgkmcnt(0)
	v_cmp_lt_u64_e32 vcc, v[4:5], v[54:55]
	s_and_saveexec_b64 s[58:59], vcc
	s_cbranch_execz .LBB15_95
; %bb.87:                               ;   in Loop: Header=BB15_57 Depth=2
	s_mov_b32 s71, 0
	s_mov_b64 s[60:61], 0
                                        ; implicit-def: $sgpr62_sgpr63
                                        ; implicit-def: $sgpr64_sgpr65
	s_branch .LBB15_89
.LBB15_88:                              ;   in Loop: Header=BB15_89 Depth=3
	s_or_b64 exec, exec, s[68:69]
	s_and_b64 vcc, exec, vcc
	s_or_b64 s[60:61], vcc, s[60:61]
	s_andn2_b64 vcc, s[62:63], exec
	s_and_b64 s[62:63], s[64:65], exec
	s_or_b64 s[62:63], vcc, s[62:63]
	s_andn2_b64 exec, exec, s[60:61]
	s_cbranch_execz .LBB15_93
.LBB15_89:                              ;   Parent Loop BB15_47 Depth=1
                                        ;     Parent Loop BB15_57 Depth=2
                                        ; =>    This Inner Loop Header: Depth=3
	s_add_i32 s71, s71, 1
	s_cmpk_lg_i32 s71, 0x2710
	s_cselect_b64 s[66:67], -1, 0
	s_and_b64 vcc, exec, s[66:67]
                                        ; implicit-def: $sgpr68_sgpr69
	s_cbranch_vccnz .LBB15_91
; %bb.90:                               ;   in Loop: Header=BB15_89 Depth=3
	s_trap 2
	ds_read_b64 v[4:5], v0
	s_andn2_b64 s[66:67], s[66:67], exec
	s_mov_b32 s71, 0
	s_mov_b64 s[68:69], -1
	s_waitcnt vmcnt(0) lgkmcnt(0)
	flat_load_dword v2, v[4:5] sc0 sc1
	s_waitcnt vmcnt(0) lgkmcnt(0)
	buffer_inv sc0 sc1
	v_cmp_eq_u32_e32 vcc, 0, v2
	s_and_b64 vcc, vcc, exec
	s_or_b64 s[66:67], s[66:67], vcc
.LBB15_91:                              ;   in Loop: Header=BB15_89 Depth=3
	s_andn2_b64 s[64:65], s[64:65], exec
	s_and_b64 s[68:69], s[68:69], exec
	s_mov_b64 vcc, -1
	s_or_b64 s[64:65], s[64:65], s[68:69]
	s_and_saveexec_b64 s[68:69], s[66:67]
	s_cbranch_execz .LBB15_88
; %bb.92:                               ;   in Loop: Header=BB15_89 Depth=3
	s_sleep 1
	s_trap 2
	ds_read_b64 v[4:5], v0
	s_andn2_b64 s[64:65], s[64:65], exec
	s_waitcnt lgkmcnt(0)
	v_cmp_ge_u64_e32 vcc, v[4:5], v[54:55]
	s_orn2_b64 vcc, vcc, exec
	s_branch .LBB15_88
.LBB15_93:                              ;   in Loop: Header=BB15_57 Depth=2
	s_or_b64 exec, exec, s[60:61]
	s_and_saveexec_b64 vcc, s[62:63]
	s_xor_b64 vcc, exec, vcc
	s_cbranch_execz .LBB15_95
; %bb.94:                               ;   in Loop: Header=BB15_57 Depth=2
	ds_write_b32 v0, v59
	s_trap 2
.LBB15_95:                              ;   in Loop: Header=BB15_57 Depth=2
	s_or_b64 exec, exec, s[58:59]
	;;#ASMSTART
	s_wakeup
	;;#ASMEND
.LBB15_96:                              ;   in Loop: Header=BB15_57 Depth=2
	s_or_b64 exec, exec, s[56:57]
.LBB15_97:                              ;   in Loop: Header=BB15_57 Depth=2
	s_andn2_saveexec_b64 vcc, s[54:55]
	s_cbranch_execz .LBB15_99
; %bb.98:                               ;   in Loop: Header=BB15_57 Depth=2
	s_waitcnt lgkmcnt(0)
	s_barrier
.LBB15_99:                              ;   in Loop: Header=BB15_57 Depth=2
	s_or_b64 exec, exec, vcc
.LBB15_100:                             ;   in Loop: Header=BB15_57 Depth=2
	s_or_b64 exec, exec, s[22:23]
	s_trap 2
	ds_read_b32 v4, v0
	v_and_b32_e32 v2, 0x4000, v28
	v_cmp_ne_u32_e32 vcc, 0, v2
	s_xor_b64 s[22:23], s[2:3], -1
	s_and_b64 vcc, s[22:23], vcc
	s_and_saveexec_b64 s[22:23], vcc
	s_cbranch_execz .LBB15_119
; %bb.101:                              ;   in Loop: Header=BB15_57 Depth=2
	s_and_saveexec_b64 vcc, s[38:39]
	s_xor_b64 s[54:55], exec, vcc
	s_cbranch_execz .LBB15_116
; %bb.102:                              ;   in Loop: Header=BB15_57 Depth=2
	s_and_saveexec_b64 s[56:57], s[12:13]
	s_cbranch_execz .LBB15_115
; %bb.103:                              ;   in Loop: Header=BB15_57 Depth=2
	s_mov_b64 s[60:61], exec
	v_mbcnt_lo_u32_b32 v2, s60, 0
	v_mbcnt_hi_u32_b32 v2, s61, v2
	v_cmp_eq_u32_e32 vcc, 0, v2
	s_waitcnt lgkmcnt(0)
	s_and_saveexec_b64 s[58:59], vcc
	s_cbranch_execz .LBB15_105
; %bb.104:                              ;   in Loop: Header=BB15_57 Depth=2
	s_bcnt1_i32_b64 vcc_lo, s[60:61]
	v_mov_b32_e32 v2, vcc_lo
	ds_add_u64 v0, v[2:3]
	s_trap 2
.LBB15_105:                             ;   in Loop: Header=BB15_57 Depth=2
	s_or_b64 exec, exec, s[58:59]
	s_trap 2
	ds_read_b64 v[6:7], v0
	v_lshl_add_u64 v[54:55], v[54:55], 0, v[36:37]
	s_waitcnt lgkmcnt(0)
	v_cmp_lt_u64_e32 vcc, v[6:7], v[54:55]
	s_and_saveexec_b64 s[58:59], vcc
	s_cbranch_execz .LBB15_114
; %bb.106:                              ;   in Loop: Header=BB15_57 Depth=2
	s_mov_b32 s71, 0
	s_mov_b64 s[60:61], 0
                                        ; implicit-def: $sgpr62_sgpr63
                                        ; implicit-def: $sgpr64_sgpr65
	s_branch .LBB15_108
.LBB15_107:                             ;   in Loop: Header=BB15_108 Depth=3
	s_or_b64 exec, exec, s[68:69]
	s_and_b64 vcc, exec, vcc
	s_or_b64 s[60:61], vcc, s[60:61]
	s_andn2_b64 vcc, s[62:63], exec
	s_and_b64 s[62:63], s[64:65], exec
	s_or_b64 s[62:63], vcc, s[62:63]
	s_andn2_b64 exec, exec, s[60:61]
	s_cbranch_execz .LBB15_112
.LBB15_108:                             ;   Parent Loop BB15_47 Depth=1
                                        ;     Parent Loop BB15_57 Depth=2
                                        ; =>    This Inner Loop Header: Depth=3
	s_add_i32 s71, s71, 1
	s_cmpk_lg_i32 s71, 0x2710
	s_cselect_b64 s[66:67], -1, 0
	s_and_b64 vcc, exec, s[66:67]
                                        ; implicit-def: $sgpr68_sgpr69
	s_cbranch_vccnz .LBB15_110
; %bb.109:                              ;   in Loop: Header=BB15_108 Depth=3
	s_trap 2
	ds_read_b64 v[6:7], v0
	s_andn2_b64 s[66:67], s[66:67], exec
	s_mov_b32 s71, 0
	s_mov_b64 s[68:69], -1
	s_waitcnt vmcnt(0) lgkmcnt(0)
	flat_load_dword v2, v[6:7] sc0 sc1
	s_waitcnt vmcnt(0) lgkmcnt(0)
	buffer_inv sc0 sc1
	v_cmp_eq_u32_e32 vcc, 0, v2
	s_and_b64 vcc, vcc, exec
	s_or_b64 s[66:67], s[66:67], vcc
.LBB15_110:                             ;   in Loop: Header=BB15_108 Depth=3
	s_andn2_b64 s[64:65], s[64:65], exec
	s_and_b64 s[68:69], s[68:69], exec
	s_mov_b64 vcc, -1
	s_or_b64 s[64:65], s[64:65], s[68:69]
	s_and_saveexec_b64 s[68:69], s[66:67]
	s_cbranch_execz .LBB15_107
; %bb.111:                              ;   in Loop: Header=BB15_108 Depth=3
	s_sleep 1
	s_trap 2
	ds_read_b64 v[6:7], v0
	s_andn2_b64 s[64:65], s[64:65], exec
	s_waitcnt lgkmcnt(0)
	v_cmp_ge_u64_e32 vcc, v[6:7], v[54:55]
	s_orn2_b64 vcc, vcc, exec
	s_branch .LBB15_107
.LBB15_112:                             ;   in Loop: Header=BB15_57 Depth=2
	s_or_b64 exec, exec, s[60:61]
	s_and_saveexec_b64 vcc, s[62:63]
	s_xor_b64 vcc, exec, vcc
	s_cbranch_execz .LBB15_114
; %bb.113:                              ;   in Loop: Header=BB15_57 Depth=2
	ds_write_b32 v0, v59
	s_trap 2
.LBB15_114:                             ;   in Loop: Header=BB15_57 Depth=2
	s_or_b64 exec, exec, s[58:59]
	;;#ASMSTART
	s_wakeup
	;;#ASMEND
.LBB15_115:                             ;   in Loop: Header=BB15_57 Depth=2
	s_or_b64 exec, exec, s[56:57]
.LBB15_116:                             ;   in Loop: Header=BB15_57 Depth=2
	s_andn2_saveexec_b64 vcc, s[54:55]
	s_cbranch_execz .LBB15_118
; %bb.117:                              ;   in Loop: Header=BB15_57 Depth=2
	s_waitcnt lgkmcnt(0)
	s_barrier
.LBB15_118:                             ;   in Loop: Header=BB15_57 Depth=2
	s_or_b64 exec, exec, vcc
.LBB15_119:                             ;   in Loop: Header=BB15_57 Depth=2
	s_or_b64 exec, exec, s[22:23]
	s_trap 2
	ds_read_b64 v[6:7], v0
	v_mov_b32_e32 v27, 0
	s_waitcnt lgkmcnt(0)
	v_readfirstlane_b32 s22, v6
	v_readfirstlane_b32 s23, v7
	s_cmp_eq_u64 s[22:23], 0
	s_cselect_b64 s[22:23], -1, 0
	s_or_b64 s[22:23], s[22:23], s[22:23]
	s_and_b64 vcc, exec, s[22:23]
	s_cbranch_vccnz .LBB15_140
; %bb.120:                              ;   in Loop: Header=BB15_57 Depth=2
	s_mov_b64 s[22:23], -1
	s_and_saveexec_b64 s[54:55], s[14:15]
	s_cbranch_execz .LBB15_122
; %bb.121:                              ;   in Loop: Header=BB15_57 Depth=2
	ds_read_b32 v2, v0 offset:720
	s_waitcnt lgkmcnt(0)
	v_and_b32_e32 v2, 15, v2
	v_cmp_eq_u32_e32 vcc, 0, v2
	s_orn2_b64 s[22:23], vcc, exec
.LBB15_122:                             ;   in Loop: Header=BB15_57 Depth=2
	s_or_b64 exec, exec, s[54:55]
	s_and_saveexec_b64 s[54:55], s[16:17]
	s_cbranch_execz .LBB15_124
; %bb.123:                              ;   in Loop: Header=BB15_57 Depth=2
	ds_read_b32 v2, v0 offset:784
	s_waitcnt lgkmcnt(0)
	v_and_b32_e32 v2, 15, v2
	v_cmp_eq_u32_e32 vcc, 0, v2
	s_and_b64 vcc, s[22:23], vcc
	s_andn2_b64 s[22:23], s[22:23], exec
	s_and_b64 vcc, vcc, exec
	s_or_b64 s[22:23], s[22:23], vcc
.LBB15_124:                             ;   in Loop: Header=BB15_57 Depth=2
	s_or_b64 exec, exec, s[54:55]
	v_cmp_eq_u32_e32 vcc, 0, v4
	s_xor_b64 s[22:23], s[22:23], -1
	v_cndmask_b32_e64 v4, 0, 1, s[22:23]
	v_cndmask_b32_e32 v27, 0, v60, vcc
	v_mov_b32_e32 v9, 0
	v_lshlrev_b32_e32 v2, 1, v27
	s_mov_b64 s[56:57], -1
	;;#ASMSTART
	;;#ASMEND
	s_nop 0
	v_cmp_ne_u32_e32 vcc, 0, v4
	s_cbranch_vccz .LBB15_141
; %bb.125:                              ;   in Loop: Header=BB15_57 Depth=2
	v_mov_b32_e32 v17, v58
	v_mov_b32_e32 v12, v38
	s_and_saveexec_b64 s[22:23], s[56:57]
	s_cbranch_execz .LBB15_154
.LBB15_126:                             ;   in Loop: Header=BB15_57 Depth=2
	v_ashrrev_i32_e32 v4, 31, v2
	v_lshrrev_b32_e32 v4, 21, v4
	v_add_u32_e32 v4, v2, v4
	s_waitcnt vmcnt(0)
	v_ashrrev_i32_e32 v20, 11, v4
	v_sub_u32_e32 v18, v20, v12
	v_ashrrev_i32_e32 v4, 31, v17
	v_cmp_lt_i32_e32 vcc, 0, v18
	v_lshrrev_b32_e32 v19, 26, v4
	s_and_saveexec_b64 s[54:55], vcc
	s_cbranch_execz .LBB15_130
; %bb.127:                              ;   in Loop: Header=BB15_57 Depth=2
	s_trap 2
	ds_read_b64 v[4:5], v0
	v_add_u32_e32 v6, v17, v19
	v_and_b32_e32 v6, 0x7fffffc0, v6
	v_sub_u32_e32 v6, v17, v6
	v_lshlrev_b32_e32 v6, 1, v6
	v_lshlrev_b32_e32 v7, 11, v12
	v_add3_u32 v12, v6, v9, v7
	v_mov_b32_e32 v10, v29
	v_ashrrev_i32_e32 v13, 31, v12
	s_mov_b64 s[56:57], 0
	s_waitcnt lgkmcnt(0)
	v_mov_b64_e32 v[14:15], v[4:5]
	v_mov_b64_e32 v[0:1], v[36:37]
.LBB15_128:                             ;   Parent Loop BB15_47 Depth=1
                                        ;     Parent Loop BB15_57 Depth=2
                                        ; =>    This Inner Loop Header: Depth=3
	v_lshl_add_u64 v[6:7], v[12:13], 0, v[14:15]
	flat_load_ushort v8, v[6:7] nt
	flat_load_ushort v21, v[6:7] offset:128 nt
	flat_load_ushort v22, v[6:7] offset:256 nt
	;; [unrolled: 1-line block ×15, first 2 shown]
	v_sub_u32_e32 v18, v18, v0
	v_cmp_gt_i32_e32 vcc, 1, v18
	v_lshl_add_u64 v[6:7], v[12:13], 0, v[4:5]
	v_lshl_add_u64 v[14:15], v[14:15], 0, v[46:47]
	;; [unrolled: 1-line block ×3, first 2 shown]
	s_or_b64 s[56:57], vcc, s[56:57]
	s_waitcnt vmcnt(0) lgkmcnt(0)
	flat_store_short v[6:7], v8 nt
	flat_store_short v[6:7], v21 offset:128 nt
	flat_store_short v[6:7], v22 offset:256 nt
	;; [unrolled: 1-line block ×15, first 2 shown]
	s_andn2_b64 exec, exec, s[56:57]
	s_cbranch_execnz .LBB15_128
; %bb.129:                              ;   in Loop: Header=BB15_57 Depth=2
	s_or_b64 exec, exec, s[56:57]
	v_accvgpr_read_b32 v30, a30
	v_accvgpr_read_b32 v32, a36
	;; [unrolled: 1-line block ×3, first 2 shown]
	v_mov_b64_e32 v[36:37], v[0:1]
	v_accvgpr_read_b32 v0, a48
	v_mov_b32_e32 v29, v10
	v_accvgpr_read_b32 v10, a56
	v_accvgpr_read_b32 v39, a17
	;; [unrolled: 1-line block ×8, first 2 shown]
.LBB15_130:                             ;   in Loop: Header=BB15_57 Depth=2
	s_or_b64 exec, exec, s[54:55]
	v_lshlrev_b32_e32 v4, 11, v20
	v_cmp_ne_u32_e32 vcc, v2, v4
	s_and_saveexec_b64 s[54:55], vcc
	s_cbranch_execz .LBB15_134
; %bb.131:                              ;   in Loop: Header=BB15_57 Depth=2
	v_add_u32_e32 v5, v17, v19
	v_and_b32_e32 v5, 0xffffffc0, v5
	v_sub_u32_e32 v5, v17, v5
	v_lshlrev_b32_e32 v6, 6, v18
	v_sub_u32_e32 v5, v5, v6
	v_ashrrev_i32_e32 v6, 31, v5
	v_lshrrev_b32_e32 v6, 26, v6
	v_add_u32_e32 v6, v5, v6
	v_and_b32_e32 v7, 0x7fffffc0, v6
	v_sub_u32_e32 v5, v5, v7
	v_lshlrev_b32_e32 v6, 1, v6
	v_and_b32_e32 v6, 0xffffff80, v6
	v_lshlrev_b32_e32 v5, 1, v5
	v_add3_u32 v12, v6, v5, v4
	v_sub_u32_e32 v2, v2, v12
	v_cmp_lt_i32_e32 vcc, 1, v2
	s_and_b64 exec, exec, vcc
	s_cbranch_execz .LBB15_134
; %bb.132:                              ;   in Loop: Header=BB15_57 Depth=2
	s_trap 2
	ds_read_b64 v[4:5], v0
	v_add_u32_e32 v12, v12, v9
	v_ashrrev_i32_e32 v13, 31, v12
	s_mov_b64 s[56:57], 0
.LBB15_133:                             ;   Parent Loop BB15_47 Depth=1
                                        ;     Parent Loop BB15_57 Depth=2
                                        ; =>    This Inner Loop Header: Depth=3
	s_waitcnt lgkmcnt(0)
	v_lshl_add_u64 v[6:7], v[4:5], 0, v[12:13]
	flat_load_ushort v8, v[6:7] nt
	v_sub_u32_e32 v2, v2, v41
	v_cmp_gt_i32_e32 vcc, 2, v2
	v_lshl_add_u64 v[12:13], v[12:13], 0, v[34:35]
	s_or_b64 s[56:57], vcc, s[56:57]
	s_waitcnt vmcnt(0) lgkmcnt(0)
	flat_store_short v[6:7], v8 nt
	s_andn2_b64 exec, exec, s[56:57]
	s_cbranch_execnz .LBB15_133
.LBB15_134:                             ;   in Loop: Header=BB15_57 Depth=2
	s_or_b64 exec, exec, s[54:55]
	scratch_load_dwordx2 v[20:21], off, s33 offset:172 ; 8-byte Folded Reload
	v_accvgpr_read_b32 v18, a34
	v_accvgpr_read_b32 v19, a35
	s_or_b64 exec, exec, s[22:23]
	s_and_saveexec_b64 s[22:23], s[4:5]
	s_cbranch_execnz .LBB15_155
.LBB15_135:                             ;   in Loop: Header=BB15_57 Depth=2
	s_or_b64 exec, exec, s[22:23]
                                        ; implicit-def: $vgpr2
	s_and_saveexec_b64 s[22:23], s[20:21]
	s_xor_b64 s[54:55], exec, s[22:23]
	s_cbranch_execz .LBB15_173
.LBB15_136:                             ;   in Loop: Header=BB15_57 Depth=2
	v_and_b32_e32 v4, 16, v28
	v_cmp_lt_i32_e32 vcc, 0, v27
	v_cmp_ne_u32_e64 s[22:23], 0, v4
	v_and_b32_e32 v2, 16, v28
	s_and_b64 vcc, s[22:23], vcc
	s_and_saveexec_b64 s[22:23], vcc
	s_cbranch_execz .LBB15_138
; %bb.137:                              ;   in Loop: Header=BB15_57 Depth=2
	v_mov_b32_e32 v2, 1
	buffer_wbl2 sc1
	s_waitcnt vmcnt(0) lgkmcnt(0)
	buffer_inv sc1
.LBB15_138:                             ;   in Loop: Header=BB15_57 Depth=2
	s_or_b64 exec, exec, s[22:23]
	s_andn2_saveexec_b64 s[22:23], s[54:55]
	s_cbranch_execnz .LBB15_174
.LBB15_139:                             ;   in Loop: Header=BB15_57 Depth=2
	s_or_b64 exec, exec, s[22:23]
	v_cmp_ne_u32_e32 vcc, 0, v2
	s_and_saveexec_b64 s[22:23], vcc
	s_cbranch_execz .LBB15_56
	s_branch .LBB15_192
.LBB15_140:                             ;   in Loop: Header=BB15_57 Depth=2
	s_and_saveexec_b64 s[22:23], s[4:5]
	s_cbranch_execnz .LBB15_155
	s_branch .LBB15_135
.LBB15_141:                             ;   in Loop: Header=BB15_57 Depth=2
	v_ashrrev_i32_e32 v4, 31, v2
	v_lshrrev_b32_e32 v4, 19, v4
	v_add_u32_e32 v4, v2, v4
	v_ashrrev_i32_e32 v14, 13, v4
	v_sub_u32_e32 v15, v14, v38
	v_cmp_lt_i32_e32 vcc, 0, v15
	s_and_saveexec_b64 s[54:55], vcc
	s_cbranch_execz .LBB15_145
; %bb.142:                              ;   in Loop: Header=BB15_57 Depth=2
	s_trap 2
	ds_read_b64 v[4:5], v0
	v_accvgpr_write_b32 a22, v54
	v_accvgpr_write_b32 a12, v44
	;; [unrolled: 1-line block ×4, first 2 shown]
	s_mov_b64 s[56:57], 0
	s_waitcnt lgkmcnt(0)
	v_mov_b64_e32 v[12:13], v[4:5]
	v_mov_b64_e32 v[10:11], v[18:19]
	;; [unrolled: 1-line block ×3, first 2 shown]
.LBB15_143:                             ;   Parent Loop BB15_47 Depth=1
                                        ;     Parent Loop BB15_57 Depth=2
                                        ; =>    This Inner Loop Header: Depth=3
	s_waitcnt vmcnt(0)
	v_lshl_add_u64 v[6:7], v[20:21], 0, v[12:13]
	v_add_co_u32_e32 v38, vcc, 0x1000, v6
	global_load_dwordx4 v[18:21], v[6:7], off nt
	global_load_dwordx4 v[22:25], v[6:7], off offset:1024 nt
	global_load_dwordx4 v[30:33], v[6:7], off offset:2048 nt
	;; [unrolled: 1-line block ×3, first 2 shown]
	v_addc_co_u32_e32 v39, vcc, 0, v7, vcc
	global_load_dwordx4 v[48:51], v[38:39], off nt
	global_load_dwordx4 v[44:47], v[38:39], off offset:1024 nt
	global_load_dwordx4 v[6:9], v[38:39], off offset:2048 nt
	s_nop 0
	global_load_dwordx4 v[38:41], v[38:39], off offset:3072 nt
	s_nop 0
	scratch_load_dwordx2 v[52:53], off, s33 offset:172 ; 8-byte Folded Reload
	v_sub_u32_e32 v15, v15, v0
	v_cmp_gt_i32_e64 s[22:23], 1, v15
	v_lshl_add_u64 v[12:13], v[12:13], 0, v[10:11]
	s_or_b64 s[56:57], s[22:23], s[56:57]
	s_waitcnt vmcnt(0)
	v_lshl_add_u64 v[52:53], v[52:53], 0, v[4:5]
	global_store_dwordx4 v[52:53], v[18:21], off nt
	scratch_load_dwordx2 v[20:21], off, s33 offset:172 ; 8-byte Folded Reload
	v_lshl_add_u64 v[4:5], v[4:5], 0, v[10:11]
	v_add_co_u32_e32 v54, vcc, 0x1000, v52
	s_nop 1
	v_addc_co_u32_e32 v55, vcc, 0, v53, vcc
	global_store_dwordx4 v[52:53], v[22:25], off offset:1024 nt
	global_store_dwordx4 v[52:53], v[30:33], off offset:2048 nt
	;; [unrolled: 1-line block ×3, first 2 shown]
	global_store_dwordx4 v[54:55], v[48:51], off nt
	global_store_dwordx4 v[54:55], v[44:47], off offset:1024 nt
	global_store_dwordx4 v[54:55], v[6:9], off offset:2048 nt
	;; [unrolled: 1-line block ×3, first 2 shown]
	s_andn2_b64 exec, exec, s[56:57]
	s_cbranch_execnz .LBB15_143
; %bb.144:                              ;   in Loop: Header=BB15_57 Depth=2
	s_or_b64 exec, exec, s[56:57]
	v_accvgpr_read_b32 v45, a13
	v_accvgpr_read_b32 v53, a15
	v_accvgpr_read_b32 v49, a19
	v_accvgpr_read_b32 v51, a21
	v_accvgpr_read_b32 v55, a23
	v_accvgpr_read_b32 v30, a30
	v_mov_b64_e32 v[18:19], v[10:11]
	v_accvgpr_read_b32 v32, a36
	v_accvgpr_read_b32 v34, a38
	v_mov_b64_e32 v[36:37], v[0:1]
	v_accvgpr_read_b32 v46, a46
	v_accvgpr_read_b32 v0, a48
	;; [unrolled: 1-line block ×18, first 2 shown]
.LBB15_145:                             ;   in Loop: Header=BB15_57 Depth=2
	s_or_b64 exec, exec, s[54:55]
	v_lshlrev_b32_e32 v14, 13, v14
	v_cmp_ne_u32_e32 vcc, v2, v14
	s_mov_b64 s[56:57], 0
	v_mov_b32_e32 v9, 0
                                        ; implicit-def: $vgpr17
                                        ; implicit-def: $vgpr12
	s_and_saveexec_b64 s[54:55], vcc
	s_cbranch_execz .LBB15_153
; %bb.146:                              ;   in Loop: Header=BB15_57 Depth=2
	v_lshlrev_b32_e32 v5, 6, v15
	v_accvgpr_read_b32 v6, a33
	v_sub_u32_e32 v5, v6, v5
	v_ashrrev_i32_e32 v6, 31, v5
	v_lshrrev_b32_e32 v6, 26, v6
	v_add_u32_e32 v6, v5, v6
	v_ashrrev_i32_e32 v7, 6, v6
	v_and_b32_e32 v6, 0xffffffc0, v6
	v_sub_u32_e32 v15, v5, v6
	v_sub_u32_e32 v4, v2, v14
	v_lshlrev_b32_e32 v5, 4, v15
	v_lshl_add_u32 v12, v7, 10, v5
	v_ashrrev_i32_e32 v5, 31, v4
	v_lshrrev_b32_e32 v5, 22, v5
	v_add_u32_e32 v5, v4, v5
	v_and_b32_e32 v18, 0xfffffc00, v5
	s_waitcnt vmcnt(0)
	v_sub_u32_e32 v20, v4, v18
	v_ashrrev_i32_e32 v6, 10, v5
	v_cmp_lt_i32_e32 vcc, 15, v20
	v_sub_u32_e32 v9, v4, v12
	s_nop 0
	v_addc_co_u32_e64 v4, s[22:23], 0, v6, vcc
	v_sub_u32_e32 v19, v4, v7
	v_cmp_lt_i32_e64 s[22:23], 15, v9
	s_and_saveexec_b64 s[56:57], s[22:23]
	s_cbranch_execz .LBB15_150
; %bb.147:                              ;   in Loop: Header=BB15_57 Depth=2
	s_trap 2
	ds_read_b64 v[4:5], v0
	v_add_u32_e32 v12, v12, v14
	v_ashrrev_i32_e32 v13, 31, v12
	s_mov_b64 s[58:59], 0
.LBB15_148:                             ;   Parent Loop BB15_47 Depth=1
                                        ;     Parent Loop BB15_57 Depth=2
                                        ; =>    This Inner Loop Header: Depth=3
	s_waitcnt lgkmcnt(0)
	v_lshl_add_u64 v[6:7], v[4:5], 0, v[12:13]
	global_load_dwordx4 v[22:25], v[6:7], off nt
	v_sub_u32_e32 v9, v9, v29
	v_cmp_gt_i32_e64 s[22:23], 16, v9
	v_sub_u32_e32 v19, v19, v36
	v_lshl_add_u64 v[12:13], v[12:13], 0, v[32:33]
	s_or_b64 s[58:59], s[22:23], s[58:59]
	s_waitcnt vmcnt(0)
	global_store_dwordx4 v[6:7], v[22:25], off nt
	s_andn2_b64 exec, exec, s[58:59]
	s_cbranch_execnz .LBB15_148
; %bb.149:                              ;   in Loop: Header=BB15_57 Depth=2
	s_or_b64 exec, exec, s[58:59]
	v_accvgpr_read_b32 v0, a48
	v_accvgpr_read_b32 v10, a56
	;; [unrolled: 1-line block ×4, first 2 shown]
.LBB15_150:                             ;   in Loop: Header=BB15_57 Depth=2
	s_or_b64 exec, exec, s[56:57]
	v_and_b32_e32 v4, 14, v2
	v_cndmask_b32_e32 v2, v20, v4, vcc
	v_cmp_ne_u32_e64 s[22:23], 0, v2
	s_mov_b64 s[56:57], 0
	v_mov_b32_e32 v9, 0
                                        ; implicit-def: $vgpr17
                                        ; implicit-def: $vgpr12
	s_and_saveexec_b64 s[58:59], s[22:23]
	s_cbranch_execz .LBB15_152
; %bb.151:                              ;   in Loop: Header=BB15_57 Depth=2
	v_sub_u32_e32 v4, v20, v4
	v_cndmask_b32_e32 v4, 0, v4, vcc
	v_cmp_lt_i32_e32 vcc, 0, v19
	v_add3_u32 v9, v18, v14, v4
	s_mov_b64 s[56:57], exec
	v_cndmask_b32_e32 v4, 0, v36, vcc
	v_sub_u32_e32 v4, v4, v19
	v_lshl_add_u32 v17, v4, 6, v15
	v_ashrrev_i32_e32 v4, 31, v17
	v_lshrrev_b32_e32 v4, 26, v4
	v_add_u32_e32 v4, v17, v4
	v_ashrrev_i32_e32 v12, 6, v4
.LBB15_152:                             ;   in Loop: Header=BB15_57 Depth=2
	s_or_b64 exec, exec, s[58:59]
	scratch_load_dwordx2 v[20:21], off, s33 offset:172 ; 8-byte Folded Reload
	v_accvgpr_read_b32 v18, a34
	s_and_b64 s[56:57], s[56:57], exec
	v_accvgpr_read_b32 v19, a35
.LBB15_153:                             ;   in Loop: Header=BB15_57 Depth=2
	s_or_b64 exec, exec, s[54:55]
	s_and_saveexec_b64 s[22:23], s[56:57]
	s_cbranch_execnz .LBB15_126
.LBB15_154:                             ;   in Loop: Header=BB15_57 Depth=2
	s_or_b64 exec, exec, s[22:23]
	s_and_saveexec_b64 s[22:23], s[4:5]
	s_cbranch_execz .LBB15_135
.LBB15_155:                             ;   in Loop: Header=BB15_57 Depth=2
	s_and_saveexec_b64 vcc, s[38:39]
	s_xor_b64 s[54:55], exec, vcc
	s_cbranch_execz .LBB15_170
; %bb.156:                              ;   in Loop: Header=BB15_57 Depth=2
	s_and_saveexec_b64 s[56:57], s[12:13]
	s_cbranch_execz .LBB15_169
; %bb.157:                              ;   in Loop: Header=BB15_57 Depth=2
	s_mov_b64 s[60:61], exec
	v_mbcnt_lo_u32_b32 v2, s60, 0
	v_mbcnt_hi_u32_b32 v2, s61, v2
	v_cmp_eq_u32_e32 vcc, 0, v2
	s_waitcnt lgkmcnt(0)
	s_and_saveexec_b64 s[58:59], vcc
	s_cbranch_execz .LBB15_159
; %bb.158:                              ;   in Loop: Header=BB15_57 Depth=2
	s_bcnt1_i32_b64 vcc_lo, s[60:61]
	v_mov_b32_e32 v2, vcc_lo
	ds_add_u64 v0, v[2:3]
	s_trap 2
.LBB15_159:                             ;   in Loop: Header=BB15_57 Depth=2
	s_or_b64 exec, exec, s[58:59]
	s_trap 2
	ds_read_b64 v[4:5], v0
	v_lshl_add_u64 v[54:55], v[54:55], 0, v[36:37]
	s_waitcnt lgkmcnt(0)
	v_cmp_lt_u64_e32 vcc, v[4:5], v[54:55]
	s_and_saveexec_b64 s[58:59], vcc
	s_cbranch_execz .LBB15_168
; %bb.160:                              ;   in Loop: Header=BB15_57 Depth=2
	s_mov_b32 s71, 0
	s_mov_b64 s[60:61], 0
                                        ; implicit-def: $sgpr62_sgpr63
                                        ; implicit-def: $sgpr64_sgpr65
	s_branch .LBB15_162
.LBB15_161:                             ;   in Loop: Header=BB15_162 Depth=3
	s_or_b64 exec, exec, s[68:69]
	s_and_b64 vcc, exec, vcc
	s_or_b64 s[60:61], vcc, s[60:61]
	s_andn2_b64 vcc, s[62:63], exec
	s_and_b64 s[62:63], s[64:65], exec
	s_or_b64 s[62:63], vcc, s[62:63]
	s_andn2_b64 exec, exec, s[60:61]
	s_cbranch_execz .LBB15_166
.LBB15_162:                             ;   Parent Loop BB15_47 Depth=1
                                        ;     Parent Loop BB15_57 Depth=2
                                        ; =>    This Inner Loop Header: Depth=3
	s_add_i32 s71, s71, 1
	s_cmpk_lg_i32 s71, 0x2710
	s_cselect_b64 s[66:67], -1, 0
	s_and_b64 vcc, exec, s[66:67]
                                        ; implicit-def: $sgpr68_sgpr69
	s_cbranch_vccnz .LBB15_164
; %bb.163:                              ;   in Loop: Header=BB15_162 Depth=3
	s_trap 2
	ds_read_b64 v[4:5], v0
	s_andn2_b64 s[66:67], s[66:67], exec
	s_mov_b32 s71, 0
	s_mov_b64 s[68:69], -1
	s_waitcnt vmcnt(0) lgkmcnt(0)
	flat_load_dword v2, v[4:5] sc0 sc1
	s_waitcnt vmcnt(0) lgkmcnt(0)
	buffer_inv sc0 sc1
	v_cmp_eq_u32_e32 vcc, 0, v2
	s_and_b64 vcc, vcc, exec
	s_or_b64 s[66:67], s[66:67], vcc
.LBB15_164:                             ;   in Loop: Header=BB15_162 Depth=3
	s_andn2_b64 s[64:65], s[64:65], exec
	s_and_b64 s[68:69], s[68:69], exec
	s_mov_b64 vcc, -1
	s_or_b64 s[64:65], s[64:65], s[68:69]
	s_and_saveexec_b64 s[68:69], s[66:67]
	s_cbranch_execz .LBB15_161
; %bb.165:                              ;   in Loop: Header=BB15_162 Depth=3
	s_sleep 1
	s_trap 2
	ds_read_b64 v[4:5], v0
	s_andn2_b64 s[64:65], s[64:65], exec
	s_waitcnt lgkmcnt(0)
	v_cmp_ge_u64_e32 vcc, v[4:5], v[54:55]
	s_orn2_b64 vcc, vcc, exec
	s_branch .LBB15_161
.LBB15_166:                             ;   in Loop: Header=BB15_57 Depth=2
	s_or_b64 exec, exec, s[60:61]
	s_and_saveexec_b64 vcc, s[62:63]
	s_xor_b64 vcc, exec, vcc
	s_cbranch_execz .LBB15_168
; %bb.167:                              ;   in Loop: Header=BB15_57 Depth=2
	ds_write_b32 v0, v59
	s_trap 2
.LBB15_168:                             ;   in Loop: Header=BB15_57 Depth=2
	s_or_b64 exec, exec, s[58:59]
	;;#ASMSTART
	s_wakeup
	;;#ASMEND
.LBB15_169:                             ;   in Loop: Header=BB15_57 Depth=2
	s_or_b64 exec, exec, s[56:57]
.LBB15_170:                             ;   in Loop: Header=BB15_57 Depth=2
	s_andn2_saveexec_b64 vcc, s[54:55]
	s_cbranch_execz .LBB15_172
; %bb.171:                              ;   in Loop: Header=BB15_57 Depth=2
	s_waitcnt lgkmcnt(0)
	s_barrier
.LBB15_172:                             ;   in Loop: Header=BB15_57 Depth=2
	s_or_b64 exec, exec, vcc
	s_or_b64 exec, exec, s[22:23]
                                        ; implicit-def: $vgpr2
	s_and_saveexec_b64 s[22:23], s[20:21]
	s_xor_b64 s[54:55], exec, s[22:23]
	s_cbranch_execnz .LBB15_136
.LBB15_173:                             ;   in Loop: Header=BB15_57 Depth=2
	s_andn2_saveexec_b64 s[22:23], s[54:55]
	s_cbranch_execz .LBB15_139
.LBB15_174:                             ;   in Loop: Header=BB15_57 Depth=2
	s_and_saveexec_b64 vcc, s[38:39]
	s_xor_b64 s[54:55], exec, vcc
	s_cbranch_execz .LBB15_189
; %bb.175:                              ;   in Loop: Header=BB15_57 Depth=2
	s_and_saveexec_b64 s[56:57], s[12:13]
	s_cbranch_execz .LBB15_188
; %bb.176:                              ;   in Loop: Header=BB15_57 Depth=2
	s_mov_b64 s[60:61], exec
	v_mbcnt_lo_u32_b32 v2, s60, 0
	v_mbcnt_hi_u32_b32 v2, s61, v2
	v_cmp_eq_u32_e32 vcc, 0, v2
	;;#ASMSTART
	s_waitcnt lgkmcnt(0) vmcnt(0)
	;;#ASMEND
	s_and_saveexec_b64 s[58:59], vcc
	s_cbranch_execz .LBB15_178
; %bb.177:                              ;   in Loop: Header=BB15_57 Depth=2
	s_bcnt1_i32_b64 vcc_lo, s[60:61]
	v_mov_b32_e32 v2, vcc_lo
	ds_add_u64 v0, v[2:3]
	s_trap 2
.LBB15_178:                             ;   in Loop: Header=BB15_57 Depth=2
	s_or_b64 exec, exec, s[58:59]
	s_trap 2
	ds_read_b64 v[4:5], v0
	v_lshl_add_u64 v[54:55], v[54:55], 0, v[36:37]
	s_waitcnt lgkmcnt(0)
	v_cmp_lt_u64_e32 vcc, v[4:5], v[54:55]
	s_and_saveexec_b64 s[58:59], vcc
	s_cbranch_execz .LBB15_187
; %bb.179:                              ;   in Loop: Header=BB15_57 Depth=2
	s_mov_b32 s71, 0
	s_mov_b64 s[60:61], 0
                                        ; implicit-def: $sgpr62_sgpr63
                                        ; implicit-def: $sgpr64_sgpr65
	s_branch .LBB15_181
.LBB15_180:                             ;   in Loop: Header=BB15_181 Depth=3
	s_or_b64 exec, exec, s[68:69]
	s_and_b64 vcc, exec, vcc
	s_or_b64 s[60:61], vcc, s[60:61]
	s_andn2_b64 vcc, s[62:63], exec
	s_and_b64 s[62:63], s[64:65], exec
	s_or_b64 s[62:63], vcc, s[62:63]
	s_andn2_b64 exec, exec, s[60:61]
	s_cbranch_execz .LBB15_185
.LBB15_181:                             ;   Parent Loop BB15_47 Depth=1
                                        ;     Parent Loop BB15_57 Depth=2
                                        ; =>    This Inner Loop Header: Depth=3
	s_add_i32 s71, s71, 1
	s_cmpk_lg_i32 s71, 0x2710
	s_cselect_b64 s[66:67], -1, 0
	s_and_b64 vcc, exec, s[66:67]
                                        ; implicit-def: $sgpr68_sgpr69
	s_cbranch_vccnz .LBB15_183
; %bb.182:                              ;   in Loop: Header=BB15_181 Depth=3
	s_trap 2
	ds_read_b64 v[4:5], v0
	s_andn2_b64 s[66:67], s[66:67], exec
	s_mov_b32 s71, 0
	s_mov_b64 s[68:69], -1
	s_waitcnt vmcnt(0) lgkmcnt(0)
	flat_load_dword v2, v[4:5] sc0 sc1
	s_waitcnt vmcnt(0) lgkmcnt(0)
	buffer_inv sc0 sc1
	v_cmp_eq_u32_e32 vcc, 0, v2
	s_and_b64 vcc, vcc, exec
	s_or_b64 s[66:67], s[66:67], vcc
.LBB15_183:                             ;   in Loop: Header=BB15_181 Depth=3
	s_andn2_b64 s[64:65], s[64:65], exec
	s_and_b64 s[68:69], s[68:69], exec
	s_mov_b64 vcc, -1
	s_or_b64 s[64:65], s[64:65], s[68:69]
	s_and_saveexec_b64 s[68:69], s[66:67]
	s_cbranch_execz .LBB15_180
; %bb.184:                              ;   in Loop: Header=BB15_181 Depth=3
	s_sleep 1
	s_trap 2
	ds_read_b64 v[4:5], v0
	s_andn2_b64 s[64:65], s[64:65], exec
	s_waitcnt lgkmcnt(0)
	v_cmp_ge_u64_e32 vcc, v[4:5], v[54:55]
	s_orn2_b64 vcc, vcc, exec
	s_branch .LBB15_180
.LBB15_185:                             ;   in Loop: Header=BB15_57 Depth=2
	s_or_b64 exec, exec, s[60:61]
	s_and_saveexec_b64 vcc, s[62:63]
	s_xor_b64 vcc, exec, vcc
	s_cbranch_execz .LBB15_187
; %bb.186:                              ;   in Loop: Header=BB15_57 Depth=2
	ds_write_b32 v0, v59
	s_trap 2
.LBB15_187:                             ;   in Loop: Header=BB15_57 Depth=2
	s_or_b64 exec, exec, s[58:59]
	;;#ASMSTART
	s_wakeup
	;;#ASMEND
.LBB15_188:                             ;   in Loop: Header=BB15_57 Depth=2
	s_or_b64 exec, exec, s[56:57]
.LBB15_189:                             ;   in Loop: Header=BB15_57 Depth=2
	s_andn2_saveexec_b64 vcc, s[54:55]
	s_cbranch_execz .LBB15_191
; %bb.190:                              ;   in Loop: Header=BB15_57 Depth=2
	;;#ASMSTART
	s_waitcnt lgkmcnt(0) vmcnt(0)
	;;#ASMEND
	s_barrier
.LBB15_191:                             ;   in Loop: Header=BB15_57 Depth=2
	s_or_b64 exec, exec, vcc
	v_and_b32_e32 v2, 16, v28
	s_or_b64 exec, exec, s[22:23]
	v_cmp_ne_u32_e32 vcc, 0, v2
	s_and_saveexec_b64 s[22:23], vcc
	s_cbranch_execz .LBB15_56
.LBB15_192:                             ;   in Loop: Header=BB15_57 Depth=2
	s_and_saveexec_b64 vcc, s[10:11]
	s_cbranch_execz .LBB15_55
; %bb.193:                              ;   in Loop: Header=BB15_57 Depth=2
	flat_store_dword v[50:51], v59 sc0 sc1
	s_branch .LBB15_55
.LBB15_194:                             ;   in Loop: Header=BB15_47 Depth=1
	s_or_b64 exec, exec, s[26:27]
.LBB15_195:                             ;   in Loop: Header=BB15_47 Depth=1
	s_or_b64 exec, exec, s[24:25]
	v_cmp_gt_i32_e32 vcc, 2, v2
	s_and_saveexec_b64 s[24:25], vcc
	s_cbranch_execz .LBB15_267
; %bb.196:                              ;   in Loop: Header=BB15_47 Depth=1
	v_cmp_eq_u32_e64 s[22:23], 0, v2
	s_mov_b64 s[26:27], 0
	s_branch .LBB15_199
.LBB15_197:                             ;   in Loop: Header=BB15_199 Depth=2
	s_or_b64 exec, exec, s[28:29]
	v_lshl_add_u64 v[44:45], v[44:45], 0, 2
	flat_store_dwordx2 v[42:43], v[44:45] sc0 sc1
.LBB15_198:                             ;   in Loop: Header=BB15_199 Depth=2
	s_or_b64 exec, exec, s[22:23]
	v_add_u32_e32 v26, v60, v26
	s_mov_b64 s[22:23], 0
	s_andn2_b64 exec, exec, s[26:27]
	s_cbranch_execz .LBB15_266
.LBB15_199:                             ;   Parent Loop BB15_47 Depth=1
                                        ; =>  This Loop Header: Depth=2
                                        ;       Child Loop BB15_205 Depth 3
                                        ;       Child Loop BB15_234 Depth 3
	;; [unrolled: 1-line block ×3, first 2 shown]
	v_and_b32_e32 v2, 8, v28
	s_mov_b64 s[54:55], -1
	v_cmp_ne_u32_e32 vcc, 0, v2
	s_and_saveexec_b64 s[28:29], vcc
	s_cbranch_execz .LBB15_211
; %bb.200:                              ;   in Loop: Header=BB15_199 Depth=2
	v_lshl_add_u64 v[6:7], v[56:57], 0, 8
	v_lshl_add_u64 v[4:5], v[44:45], 0, 2
	v_cmp_lt_u64_e32 vcc, v[6:7], v[4:5]
	v_mov_b32_e32 v2, 1
	s_and_saveexec_b64 s[54:55], vcc
	s_cbranch_execz .LBB15_210
; %bb.201:                              ;   in Loop: Header=BB15_199 Depth=2
	s_mov_b64 s[56:57], 0
	v_mov_b32_e32 v2, 0
                                        ; implicit-def: $sgpr58_sgpr59
	s_branch .LBB15_205
.LBB15_202:                             ;   in Loop: Header=BB15_205 Depth=3
	s_or_b64 exec, exec, s[66:67]
	v_mov_b32_e32 v7, 0
	s_orn2_b64 s[64:65], s[64:65], exec
.LBB15_203:                             ;   in Loop: Header=BB15_205 Depth=3
	s_or_b64 exec, exec, s[62:63]
	s_andn2_b64 vcc, s[58:59], exec
	s_and_b64 s[58:59], s[64:65], exec
	s_or_b64 s[58:59], vcc, s[58:59]
	v_mov_b32_e32 v2, v7
.LBB15_204:                             ;   in Loop: Header=BB15_205 Depth=3
	s_or_b64 exec, exec, s[60:61]
	s_waitcnt vmcnt(0) lgkmcnt(0)
	v_lshl_add_u64 v[6:7], v[56:57], 0, 8
	v_cmp_ge_u64_e32 vcc, v[6:7], v[4:5]
	s_xor_b64 s[60:61], s[58:59], -1
	s_or_b64 vcc, s[60:61], vcc
	s_and_b64 vcc, exec, vcc
	s_or_b64 s[56:57], vcc, s[56:57]
	s_andn2_b64 exec, exec, s[56:57]
	s_cbranch_execz .LBB15_209
.LBB15_205:                             ;   Parent Loop BB15_47 Depth=1
                                        ;     Parent Loop BB15_199 Depth=2
                                        ; =>    This Inner Loop Header: Depth=3
	s_sleep 1
	flat_load_dwordx2 v[56:57], v[42:43] sc0 sc1
	v_and_b32_e32 v6, 64, v28
	v_cmp_eq_u32_e32 vcc, 0, v6
	s_andn2_b64 s[58:59], s[58:59], exec
	s_and_saveexec_b64 s[60:61], vcc
	s_cbranch_execz .LBB15_204
; %bb.206:                              ;   in Loop: Header=BB15_205 Depth=3
	v_add_u32_e32 v7, 1, v2
	v_cmp_lt_i32_e32 vcc, s83, v2
	s_mov_b64 s[64:65], -1
	s_and_saveexec_b64 s[62:63], vcc
	s_cbranch_execz .LBB15_203
; %bb.207:                              ;   in Loop: Header=BB15_205 Depth=3
	s_trap 2
	ds_read_b64 v[6:7], v0
	s_waitcnt vmcnt(0) lgkmcnt(0)
	flat_load_dword v2, v[6:7] sc0 sc1
	s_waitcnt vmcnt(0) lgkmcnt(0)
	buffer_inv sc0 sc1
	v_cmp_ne_u32_e32 vcc, 0, v2
	s_and_saveexec_b64 s[66:67], vcc
	s_cbranch_execz .LBB15_202
; %bb.208:                              ;   in Loop: Header=BB15_205 Depth=3
	v_or_b32_e32 v28, 64, v28
	s_xor_b64 s[64:65], exec, -1
	ds_write_b32 v0, v2
	s_trap 2
	s_branch .LBB15_202
.LBB15_209:                             ;   in Loop: Header=BB15_199 Depth=2
	s_or_b64 exec, exec, s[56:57]
	v_and_b32_e32 v2, 8, v28
.LBB15_210:                             ;   in Loop: Header=BB15_199 Depth=2
	s_or_b64 exec, exec, s[54:55]
	v_cmp_eq_u32_e32 vcc, 0, v2
	s_orn2_b64 s[54:55], vcc, exec
	;;#ASMSTART
	s_wakeup
	;;#ASMEND
.LBB15_211:                             ;   in Loop: Header=BB15_199 Depth=2
	s_or_b64 exec, exec, s[28:29]
	s_xor_b64 s[22:23], s[22:23], -1
	s_and_b64 s[22:23], exec, s[22:23]
	s_or_b64 s[26:27], s[22:23], s[26:27]
	v_sub_u32_e32 v2, v16, v26
	s_xor_b64 s[22:23], s[54:55], -1
	v_min_i32_e32 v60, v60, v2
	s_and_saveexec_b64 s[28:29], s[22:23]
	s_cbranch_execz .LBB15_226
; %bb.212:                              ;   in Loop: Header=BB15_199 Depth=2
	v_and_b32_e32 v2, 0x100, v28
	v_cmp_ne_u32_e32 vcc, 0, v2
	v_and_b32_e32 v2, 7, v44
	s_mov_b64 s[22:23], -1
                                        ; implicit-def: $vgpr4_vgpr5
	s_and_saveexec_b64 s[54:55], vcc
	s_cbranch_execz .LBB15_216
; %bb.213:                              ;   in Loop: Header=BB15_199 Depth=2
	v_mad_u64_u32 v[10:11], s[22:23], v2, 24, v[52:53]
	flat_load_dword v6, v[10:11]
	v_ashrrev_i32_e32 v61, 31, v60
	v_lshlrev_b64 v[4:5], 1, v[60:61]
	flat_store_dwordx2 v[10:11], v[4:5] offset:8
                                        ; implicit-def: $vgpr4_vgpr5
	s_waitcnt vmcnt(0) lgkmcnt(0)
	v_cmp_ne_u32_e32 vcc, 1, v6
	v_cmp_eq_u32_e64 s[22:23], 1, v6
	s_and_saveexec_b64 s[56:57], s[22:23]
	s_cbranch_execz .LBB15_215
; %bb.214:                              ;   in Loop: Header=BB15_199 Depth=2
	flat_load_dword v4, v[10:11] offset:4 sc0 sc1
	s_waitcnt vmcnt(0) lgkmcnt(0)
	v_ashrrev_i32_e32 v5, 31, v4
	v_lshrrev_b64 v[4:5], 1, v[4:5]
.LBB15_215:                             ;   in Loop: Header=BB15_199 Depth=2
	s_or_b64 exec, exec, s[56:57]
	s_orn2_b64 s[22:23], vcc, exec
.LBB15_216:                             ;   in Loop: Header=BB15_199 Depth=2
	s_or_b64 exec, exec, s[54:55]
	s_and_saveexec_b64 vcc, s[22:23]
; %bb.217:                              ;   in Loop: Header=BB15_199 Depth=2
	v_mad_i64_i32 v[4:5], s[22:23], v2, v40, 0
; %bb.218:                              ;   in Loop: Header=BB15_199 Depth=2
	s_or_b64 exec, exec, vcc
	v_and_b32_e32 v2, 0x2000, v28
	v_lshl_add_u64 v[4:5], v[4:5], 1, v[48:49]
	v_cmp_ne_u32_e32 vcc, 0, v2
	ds_write_b64 v0, v[4:5] offset:784
	s_and_saveexec_b64 s[22:23], vcc
	s_cbranch_execz .LBB15_220
; %bb.219:                              ;   in Loop: Header=BB15_199 Depth=2
	ds_read_b64 v[4:5], v0 offset:584
	s_waitcnt lgkmcnt(0)
	v_lshl_add_u64 v[4:5], v[4:5], 0, 1
	ds_write_b64 v0, v[4:5] offset:584
.LBB15_220:                             ;   in Loop: Header=BB15_199 Depth=2
	s_or_b64 exec, exec, s[22:23]
	v_lshl_add_u64 v[44:45], v[44:45], 0, 2
	s_or_b64 exec, exec, s[28:29]
	s_and_saveexec_b64 s[22:23], s[4:5]
	s_cbranch_execnz .LBB15_227
.LBB15_221:                             ;   in Loop: Header=BB15_199 Depth=2
	s_or_b64 exec, exec, s[22:23]
                                        ; implicit-def: $vgpr2
	s_and_saveexec_b64 s[22:23], s[20:21]
	s_xor_b64 s[22:23], exec, s[22:23]
	s_cbranch_execz .LBB15_245
.LBB15_222:                             ;   in Loop: Header=BB15_199 Depth=2
	s_trap 2
	ds_read_b32 v4, v0
	v_cmp_lt_i32_e32 vcc, 0, v60
	v_and_b32_e32 v5, 16, v28
	v_and_b32_e32 v2, 16, v28
	s_waitcnt lgkmcnt(0)
	v_readfirstlane_b32 s28, v4
	s_cmp_eq_u32 s28, 0
	s_cselect_b64 s[28:29], -1, 0
	s_and_b64 s[28:29], vcc, s[28:29]
	v_cmp_ne_u32_e32 vcc, 0, v5
	s_and_b64 vcc, vcc, s[28:29]
	s_and_saveexec_b64 s[28:29], vcc
	s_cbranch_execz .LBB15_224
; %bb.223:                              ;   in Loop: Header=BB15_199 Depth=2
	v_mov_b32_e32 v2, 1
	buffer_wbl2 sc1
	s_waitcnt vmcnt(0)
	buffer_inv sc1
.LBB15_224:                             ;   in Loop: Header=BB15_199 Depth=2
	s_or_b64 exec, exec, s[28:29]
	s_andn2_saveexec_b64 s[22:23], s[22:23]
	s_cbranch_execnz .LBB15_246
.LBB15_225:                             ;   in Loop: Header=BB15_199 Depth=2
	s_or_b64 exec, exec, s[22:23]
	v_cmp_ne_u32_e32 vcc, 0, v2
	s_and_saveexec_b64 s[22:23], vcc
	s_cbranch_execz .LBB15_198
	s_branch .LBB15_264
.LBB15_226:                             ;   in Loop: Header=BB15_199 Depth=2
	s_or_b64 exec, exec, s[28:29]
	s_and_saveexec_b64 s[22:23], s[4:5]
	s_cbranch_execz .LBB15_221
.LBB15_227:                             ;   in Loop: Header=BB15_199 Depth=2
	s_and_saveexec_b64 s[28:29], s[38:39]
	s_xor_b64 s[28:29], exec, s[28:29]
	s_cbranch_execz .LBB15_242
; %bb.228:                              ;   in Loop: Header=BB15_199 Depth=2
	s_and_saveexec_b64 s[54:55], s[12:13]
	s_cbranch_execz .LBB15_241
; %bb.229:                              ;   in Loop: Header=BB15_199 Depth=2
	s_mov_b64 s[58:59], exec
	v_mbcnt_lo_u32_b32 v2, s58, 0
	v_mbcnt_hi_u32_b32 v2, s59, v2
	v_cmp_eq_u32_e32 vcc, 0, v2
	s_waitcnt lgkmcnt(0)
	s_and_saveexec_b64 s[56:57], vcc
	s_cbranch_execz .LBB15_231
; %bb.230:                              ;   in Loop: Header=BB15_199 Depth=2
	s_bcnt1_i32_b64 vcc_lo, s[58:59]
	v_mov_b32_e32 v2, vcc_lo
	ds_add_u64 v0, v[2:3]
	s_trap 2
.LBB15_231:                             ;   in Loop: Header=BB15_199 Depth=2
	s_or_b64 exec, exec, s[56:57]
	s_trap 2
	ds_read_b64 v[4:5], v0
	v_lshl_add_u64 v[54:55], v[54:55], 0, v[36:37]
	s_waitcnt lgkmcnt(0)
	v_cmp_lt_u64_e32 vcc, v[4:5], v[54:55]
	s_and_saveexec_b64 s[56:57], vcc
	s_cbranch_execz .LBB15_240
; %bb.232:                              ;   in Loop: Header=BB15_199 Depth=2
	s_mov_b32 s68, 0
	s_mov_b64 s[58:59], 0
                                        ; implicit-def: $sgpr60_sgpr61
                                        ; implicit-def: $sgpr62_sgpr63
	s_branch .LBB15_234
.LBB15_233:                             ;   in Loop: Header=BB15_234 Depth=3
	s_or_b64 exec, exec, s[66:67]
	s_and_b64 vcc, exec, vcc
	s_or_b64 s[58:59], vcc, s[58:59]
	s_andn2_b64 vcc, s[60:61], exec
	s_and_b64 s[60:61], s[62:63], exec
	s_or_b64 s[60:61], vcc, s[60:61]
	s_andn2_b64 exec, exec, s[58:59]
	s_cbranch_execz .LBB15_238
.LBB15_234:                             ;   Parent Loop BB15_47 Depth=1
                                        ;     Parent Loop BB15_199 Depth=2
                                        ; =>    This Inner Loop Header: Depth=3
	s_add_i32 s68, s68, 1
	s_cmpk_lg_i32 s68, 0x2710
	s_cselect_b64 s[64:65], -1, 0
	s_and_b64 vcc, exec, s[64:65]
                                        ; implicit-def: $sgpr66_sgpr67
	s_cbranch_vccnz .LBB15_236
; %bb.235:                              ;   in Loop: Header=BB15_234 Depth=3
	s_trap 2
	ds_read_b64 v[4:5], v0
	s_andn2_b64 s[64:65], s[64:65], exec
	s_mov_b32 s68, 0
	s_mov_b64 s[66:67], -1
	s_waitcnt vmcnt(0) lgkmcnt(0)
	flat_load_dword v2, v[4:5] sc0 sc1
	s_waitcnt vmcnt(0) lgkmcnt(0)
	buffer_inv sc0 sc1
	v_cmp_eq_u32_e32 vcc, 0, v2
	s_and_b64 vcc, vcc, exec
	s_or_b64 s[64:65], s[64:65], vcc
.LBB15_236:                             ;   in Loop: Header=BB15_234 Depth=3
	s_andn2_b64 s[62:63], s[62:63], exec
	s_and_b64 s[66:67], s[66:67], exec
	s_mov_b64 vcc, -1
	s_or_b64 s[62:63], s[62:63], s[66:67]
	s_and_saveexec_b64 s[66:67], s[64:65]
	s_cbranch_execz .LBB15_233
; %bb.237:                              ;   in Loop: Header=BB15_234 Depth=3
	s_sleep 1
	s_trap 2
	ds_read_b64 v[4:5], v0
	s_andn2_b64 s[62:63], s[62:63], exec
	s_waitcnt lgkmcnt(0)
	v_cmp_ge_u64_e32 vcc, v[4:5], v[54:55]
	s_orn2_b64 vcc, vcc, exec
	s_branch .LBB15_233
.LBB15_238:                             ;   in Loop: Header=BB15_199 Depth=2
	s_or_b64 exec, exec, s[58:59]
	s_and_saveexec_b64 vcc, s[60:61]
	s_xor_b64 vcc, exec, vcc
	s_cbranch_execz .LBB15_240
; %bb.239:                              ;   in Loop: Header=BB15_199 Depth=2
	ds_write_b32 v0, v59
	s_trap 2
.LBB15_240:                             ;   in Loop: Header=BB15_199 Depth=2
	s_or_b64 exec, exec, s[56:57]
	;;#ASMSTART
	s_wakeup
	;;#ASMEND
.LBB15_241:                             ;   in Loop: Header=BB15_199 Depth=2
	s_or_b64 exec, exec, s[54:55]
.LBB15_242:                             ;   in Loop: Header=BB15_199 Depth=2
	s_andn2_saveexec_b64 s[28:29], s[28:29]
	s_cbranch_execz .LBB15_244
; %bb.243:                              ;   in Loop: Header=BB15_199 Depth=2
	s_waitcnt lgkmcnt(0)
	s_barrier
.LBB15_244:                             ;   in Loop: Header=BB15_199 Depth=2
	s_or_b64 exec, exec, s[28:29]
	s_or_b64 exec, exec, s[22:23]
                                        ; implicit-def: $vgpr2
	s_and_saveexec_b64 s[22:23], s[20:21]
	s_xor_b64 s[22:23], exec, s[22:23]
	s_cbranch_execnz .LBB15_222
.LBB15_245:                             ;   in Loop: Header=BB15_199 Depth=2
	s_andn2_saveexec_b64 s[22:23], s[22:23]
	s_cbranch_execz .LBB15_225
.LBB15_246:                             ;   in Loop: Header=BB15_199 Depth=2
	s_and_saveexec_b64 s[28:29], s[38:39]
	s_xor_b64 s[28:29], exec, s[28:29]
	s_cbranch_execz .LBB15_261
; %bb.247:                              ;   in Loop: Header=BB15_199 Depth=2
	s_and_saveexec_b64 s[54:55], s[12:13]
	s_cbranch_execz .LBB15_260
; %bb.248:                              ;   in Loop: Header=BB15_199 Depth=2
	s_mov_b64 s[58:59], exec
	v_mbcnt_lo_u32_b32 v2, s58, 0
	v_mbcnt_hi_u32_b32 v2, s59, v2
	v_cmp_eq_u32_e32 vcc, 0, v2
	;;#ASMSTART
	s_waitcnt lgkmcnt(0) vmcnt(0)
	;;#ASMEND
	s_and_saveexec_b64 s[56:57], vcc
	s_cbranch_execz .LBB15_250
; %bb.249:                              ;   in Loop: Header=BB15_199 Depth=2
	s_bcnt1_i32_b64 vcc_lo, s[58:59]
	v_mov_b32_e32 v2, vcc_lo
	ds_add_u64 v0, v[2:3]
	s_trap 2
.LBB15_250:                             ;   in Loop: Header=BB15_199 Depth=2
	s_or_b64 exec, exec, s[56:57]
	s_trap 2
	ds_read_b64 v[4:5], v0
	v_lshl_add_u64 v[54:55], v[54:55], 0, v[36:37]
	s_waitcnt lgkmcnt(0)
	v_cmp_lt_u64_e32 vcc, v[4:5], v[54:55]
	s_and_saveexec_b64 s[56:57], vcc
	s_cbranch_execz .LBB15_259
; %bb.251:                              ;   in Loop: Header=BB15_199 Depth=2
	s_mov_b32 s68, 0
	s_mov_b64 s[58:59], 0
                                        ; implicit-def: $sgpr60_sgpr61
                                        ; implicit-def: $sgpr62_sgpr63
	s_branch .LBB15_253
.LBB15_252:                             ;   in Loop: Header=BB15_253 Depth=3
	s_or_b64 exec, exec, s[66:67]
	s_and_b64 vcc, exec, vcc
	s_or_b64 s[58:59], vcc, s[58:59]
	s_andn2_b64 vcc, s[60:61], exec
	s_and_b64 s[60:61], s[62:63], exec
	s_or_b64 s[60:61], vcc, s[60:61]
	s_andn2_b64 exec, exec, s[58:59]
	s_cbranch_execz .LBB15_257
.LBB15_253:                             ;   Parent Loop BB15_47 Depth=1
                                        ;     Parent Loop BB15_199 Depth=2
                                        ; =>    This Inner Loop Header: Depth=3
	s_add_i32 s68, s68, 1
	s_cmpk_lg_i32 s68, 0x2710
	s_cselect_b64 s[64:65], -1, 0
	s_and_b64 vcc, exec, s[64:65]
                                        ; implicit-def: $sgpr66_sgpr67
	s_cbranch_vccnz .LBB15_255
; %bb.254:                              ;   in Loop: Header=BB15_253 Depth=3
	s_trap 2
	ds_read_b64 v[4:5], v0
	s_andn2_b64 s[64:65], s[64:65], exec
	s_mov_b32 s68, 0
	s_mov_b64 s[66:67], -1
	s_waitcnt vmcnt(0) lgkmcnt(0)
	flat_load_dword v2, v[4:5] sc0 sc1
	s_waitcnt vmcnt(0) lgkmcnt(0)
	buffer_inv sc0 sc1
	v_cmp_eq_u32_e32 vcc, 0, v2
	s_and_b64 vcc, vcc, exec
	s_or_b64 s[64:65], s[64:65], vcc
.LBB15_255:                             ;   in Loop: Header=BB15_253 Depth=3
	s_andn2_b64 s[62:63], s[62:63], exec
	s_and_b64 s[66:67], s[66:67], exec
	s_mov_b64 vcc, -1
	s_or_b64 s[62:63], s[62:63], s[66:67]
	s_and_saveexec_b64 s[66:67], s[64:65]
	s_cbranch_execz .LBB15_252
; %bb.256:                              ;   in Loop: Header=BB15_253 Depth=3
	s_sleep 1
	s_trap 2
	ds_read_b64 v[4:5], v0
	s_andn2_b64 s[62:63], s[62:63], exec
	s_waitcnt lgkmcnt(0)
	v_cmp_ge_u64_e32 vcc, v[4:5], v[54:55]
	s_orn2_b64 vcc, vcc, exec
	s_branch .LBB15_252
.LBB15_257:                             ;   in Loop: Header=BB15_199 Depth=2
	s_or_b64 exec, exec, s[58:59]
	s_and_saveexec_b64 vcc, s[60:61]
	s_xor_b64 vcc, exec, vcc
	s_cbranch_execz .LBB15_259
; %bb.258:                              ;   in Loop: Header=BB15_199 Depth=2
	ds_write_b32 v0, v59
	s_trap 2
.LBB15_259:                             ;   in Loop: Header=BB15_199 Depth=2
	s_or_b64 exec, exec, s[56:57]
	;;#ASMSTART
	s_wakeup
	;;#ASMEND
.LBB15_260:                             ;   in Loop: Header=BB15_199 Depth=2
	s_or_b64 exec, exec, s[54:55]
.LBB15_261:                             ;   in Loop: Header=BB15_199 Depth=2
	s_andn2_saveexec_b64 s[28:29], s[28:29]
	s_cbranch_execz .LBB15_263
; %bb.262:                              ;   in Loop: Header=BB15_199 Depth=2
	;;#ASMSTART
	s_waitcnt lgkmcnt(0) vmcnt(0)
	;;#ASMEND
	s_barrier
.LBB15_263:                             ;   in Loop: Header=BB15_199 Depth=2
	s_or_b64 exec, exec, s[28:29]
	v_and_b32_e32 v2, 16, v28
	s_or_b64 exec, exec, s[22:23]
	v_cmp_ne_u32_e32 vcc, 0, v2
	s_and_saveexec_b64 s[22:23], vcc
	s_cbranch_execz .LBB15_198
.LBB15_264:                             ;   in Loop: Header=BB15_199 Depth=2
	s_and_saveexec_b64 s[28:29], s[10:11]
	s_cbranch_execz .LBB15_197
; %bb.265:                              ;   in Loop: Header=BB15_199 Depth=2
	flat_store_dword v[50:51], v59 sc0 sc1
	s_branch .LBB15_197
.LBB15_266:                             ;   in Loop: Header=BB15_47 Depth=1
	s_or_b64 exec, exec, s[26:27]
.LBB15_267:                             ;   in Loop: Header=BB15_47 Depth=1
	s_or_b64 exec, exec, s[24:25]
	v_cndmask_b32_e64 v2, 0, 1, s[46:47]
	v_accvgpr_read_b32 v26, a28
	v_cmp_ne_u32_e64 s[22:23], 1, v2
	s_andn2_b64 vcc, exec, s[46:47]
	v_accvgpr_read_b32 v27, a29
	s_cbranch_vccnz .LBB15_488
; %bb.268:                              ;   in Loop: Header=BB15_47 Depth=1
	s_mov_b32 s95, 2
	s_branch .LBB15_271
.LBB15_269:                             ;   in Loop: Header=BB15_271 Depth=2
	s_or_b64 exec, exec, s[28:29]
.LBB15_270:                             ;   in Loop: Header=BB15_271 Depth=2
	s_or_b64 exec, exec, s[26:27]
	s_add_i32 s95, s95, 1
	s_cmp_eq_u32 s95, s72
	s_cbranch_scc1 .LBB15_488
.LBB15_271:                             ;   Parent Loop BB15_47 Depth=1
                                        ; =>  This Loop Header: Depth=2
                                        ;       Child Loop BB15_274 Depth 3
                                        ;         Child Loop BB15_282 Depth 4
                                        ;         Child Loop BB15_308 Depth 4
	;; [unrolled: 1-line block ×9, first 2 shown]
                                        ;       Child Loop BB15_418 Depth 3
                                        ;         Child Loop BB15_424 Depth 4
                                        ;         Child Loop BB15_462 Depth 4
                                        ;         Child Loop BB15_450 Depth 4
	s_sub_i32 s24, s76, s95
	s_cmp_le_i32 s72, s24
	s_cselect_b32 s25, s72, 0
	s_sub_i32 s24, s24, s25
	v_accvgpr_read_b32 v6, a50
	s_ashr_i32 s25, s24, 31
	v_accvgpr_read_b32 v7, a51
	v_mul_lo_u32 v2, v6, s25
	v_mul_lo_u32 v4, v7, s24
	v_mad_u64_u32 v[24:25], s[24:25], v6, s24, 0
	v_add3_u32 v25, v25, v2, v4
	v_accvgpr_read_b32 v4, a52
	v_accvgpr_read_b32 v5, a53
	v_sub_co_u32_e32 v4, vcc, v4, v24
	s_nop 1
	v_subb_co_u32_e32 v5, vcc, v5, v25, vcc
	v_cmp_lt_i64_e32 vcc, v[6:7], v[4:5]
	s_nop 1
	v_cndmask_b32_e32 v2, v4, v6, vcc
	v_max_i32_e32 v22, 0, v2
	v_add_u32_e32 v4, 31, v22
	v_ashrrev_i32_e32 v5, 31, v4
	v_lshrrev_b32_e32 v5, 27, v5
	v_add_u32_e32 v4, v4, v5
	v_ashrrev_i32_e32 v4, 5, v4
	v_lshlrev_b32_e32 v4, 4, v4
	v_cmp_lt_i32_e32 vcc, 0, v2
	v_max_i32_e32 v46, s79, v4
	s_and_b64 s[24:25], s[50:51], vcc
	v_mov_b32_e32 v2, 0
	v_mov_b32_e32 v6, 0
	s_and_saveexec_b64 s[26:27], s[24:25]
	s_cbranch_execz .LBB15_415
; %bb.272:                              ;   in Loop: Header=BB15_271 Depth=2
	v_accvgpr_write_b32 a59, v25
	s_mov_b32 s96, 1
	s_mov_b64 s[54:55], -1
	s_mov_b64 s[28:29], 0
	v_mov_b32_e32 v6, 0
	v_accvgpr_write_b32 a56, v22
	v_accvgpr_write_b32 a58, v24
	s_branch .LBB15_274
.LBB15_273:                             ;   in Loop: Header=BB15_274 Depth=3
	s_or_b64 exec, exec, s[24:25]
	v_add_u32_e32 v6, v46, v6
	v_cmp_ge_i32_e32 vcc, v6, v22
	s_xor_b64 s[24:25], s[54:55], -1
	s_or_b64 s[24:25], s[24:25], vcc
	s_and_b64 s[24:25], exec, s[24:25]
	s_or_b64 s[28:29], s[24:25], s[28:29]
	s_mov_b64 s[54:55], 0
	v_mov_b32_e32 v2, s96
	s_mov_b32 s96, 2
	s_andn2_b64 exec, exec, s[28:29]
	s_cbranch_execz .LBB15_414
.LBB15_274:                             ;   Parent Loop BB15_47 Depth=1
                                        ;     Parent Loop BB15_271 Depth=2
                                        ; =>    This Loop Header: Depth=3
                                        ;         Child Loop BB15_282 Depth 4
                                        ;         Child Loop BB15_308 Depth 4
	;; [unrolled: 1-line block ×9, first 2 shown]
	s_and_saveexec_b64 s[24:25], s[0:1]
	s_cbranch_execz .LBB15_276
; %bb.275:                              ;   in Loop: Header=BB15_274 Depth=3
	s_trap 2
	ds_read_b64 v[4:5], v0
	v_accvgpr_read_b32 v8, a54
	v_accvgpr_read_b32 v9, a55
	v_ashrrev_i32_e32 v7, 31, v6
	v_mov_b32_e32 v2, v3
	s_waitcnt lgkmcnt(0)
	v_lshl_add_u64 v[4:5], v[8:9], 1, v[4:5]
	v_lshl_add_u64 v[4:5], v[24:25], 1, v[4:5]
	;; [unrolled: 1-line block ×3, first 2 shown]
	ds_write_b64 v0, v[4:5]
	ds_write_b64 v0, v[2:3]
.LBB15_276:                             ;   in Loop: Header=BB15_274 Depth=3
	s_or_b64 exec, exec, s[24:25]
	v_and_b32_e32 v2, 12, v28
	v_cmp_ne_u32_e32 vcc, 0, v2
	s_mov_b64 s[56:57], -1
	s_and_saveexec_b64 s[24:25], vcc
	s_cbranch_execz .LBB15_288
; %bb.277:                              ;   in Loop: Header=BB15_274 Depth=3
	v_and_b32_e32 v2, 8, v28
	v_lshl_add_u64 v[8:9], v[56:57], 0, v[2:3]
	v_lshl_add_u64 v[4:5], v[44:45], 0, 2
	v_cmp_lt_u64_e32 vcc, v[8:9], v[4:5]
	v_mov_b32_e32 v7, 1
	s_and_saveexec_b64 s[56:57], vcc
	s_cbranch_execz .LBB15_287
; %bb.278:                              ;   in Loop: Header=BB15_274 Depth=3
	s_mov_b64 s[58:59], 0
	v_mov_b32_e32 v7, 0
                                        ; implicit-def: $sgpr60_sgpr61
	s_branch .LBB15_282
.LBB15_279:                             ;   in Loop: Header=BB15_282 Depth=4
	s_or_b64 exec, exec, s[68:69]
	v_mov_b32_e32 v8, 0
	s_orn2_b64 s[66:67], s[66:67], exec
.LBB15_280:                             ;   in Loop: Header=BB15_282 Depth=4
	s_or_b64 exec, exec, s[64:65]
	s_andn2_b64 vcc, s[60:61], exec
	s_and_b64 s[60:61], s[66:67], exec
	s_or_b64 s[60:61], vcc, s[60:61]
	v_mov_b32_e32 v7, v8
.LBB15_281:                             ;   in Loop: Header=BB15_282 Depth=4
	s_or_b64 exec, exec, s[62:63]
	s_waitcnt vmcnt(0) lgkmcnt(0)
	v_lshl_add_u64 v[8:9], v[56:57], 0, v[2:3]
	v_cmp_ge_u64_e32 vcc, v[8:9], v[4:5]
	s_xor_b64 s[62:63], s[60:61], -1
	s_or_b64 vcc, s[62:63], vcc
	s_and_b64 vcc, exec, vcc
	s_or_b64 s[58:59], vcc, s[58:59]
	s_andn2_b64 exec, exec, s[58:59]
	s_cbranch_execz .LBB15_286
.LBB15_282:                             ;   Parent Loop BB15_47 Depth=1
                                        ;     Parent Loop BB15_271 Depth=2
                                        ;       Parent Loop BB15_274 Depth=3
                                        ; =>      This Inner Loop Header: Depth=4
	s_sleep 1
	flat_load_dwordx2 v[56:57], v[42:43] sc0 sc1
	v_and_b32_e32 v8, 64, v28
	v_cmp_eq_u32_e32 vcc, 0, v8
	s_andn2_b64 s[60:61], s[60:61], exec
	s_and_saveexec_b64 s[62:63], vcc
	s_cbranch_execz .LBB15_281
; %bb.283:                              ;   in Loop: Header=BB15_282 Depth=4
	v_add_u32_e32 v8, 1, v7
	v_cmp_lt_i32_e32 vcc, s83, v7
	s_mov_b64 s[66:67], -1
	s_and_saveexec_b64 s[64:65], vcc
	s_cbranch_execz .LBB15_280
; %bb.284:                              ;   in Loop: Header=BB15_282 Depth=4
	s_trap 2
	ds_read_b64 v[8:9], v0
	s_waitcnt vmcnt(0) lgkmcnt(0)
	flat_load_dword v7, v[8:9] sc0 sc1
	s_waitcnt vmcnt(0) lgkmcnt(0)
	buffer_inv sc0 sc1
	v_cmp_ne_u32_e32 vcc, 0, v7
	s_and_saveexec_b64 s[68:69], vcc
	s_cbranch_execz .LBB15_279
; %bb.285:                              ;   in Loop: Header=BB15_282 Depth=4
	v_or_b32_e32 v28, 64, v28
	s_xor_b64 s[66:67], exec, -1
	ds_write_b32 v0, v7
	s_trap 2
	s_branch .LBB15_279
.LBB15_286:                             ;   in Loop: Header=BB15_274 Depth=3
	s_or_b64 exec, exec, s[58:59]
	v_and_b32_e32 v7, 12, v28
.LBB15_287:                             ;   in Loop: Header=BB15_274 Depth=3
	s_or_b64 exec, exec, s[56:57]
	v_cmp_eq_u32_e32 vcc, 0, v7
	s_orn2_b64 s[56:57], vcc, exec
	;;#ASMSTART
	s_wakeup
	;;#ASMEND
.LBB15_288:                             ;   in Loop: Header=BB15_274 Depth=3
	s_or_b64 exec, exec, s[24:25]
	v_sub_u32_e32 v2, v22, v6
	s_xor_b64 s[24:25], s[56:57], -1
	v_min_i32_e32 v46, v46, v2
	s_and_saveexec_b64 s[56:57], s[24:25]
	s_cbranch_execz .LBB15_300
; %bb.289:                              ;   in Loop: Header=BB15_274 Depth=3
	v_and_b32_e32 v2, 0x108, v28
	v_cmp_ne_u32_e32 vcc, s84, v2
	v_and_b32_e32 v2, 7, v44
	s_and_saveexec_b64 s[24:25], vcc
	s_xor_b64 s[24:25], exec, s[24:25]
	s_andn2_saveexec_b64 s[24:25], s[24:25]
	s_cbranch_execz .LBB15_291
; %bb.290:                              ;   in Loop: Header=BB15_274 Depth=3
	v_ashrrev_i32_e32 v47, 31, v46
	v_mad_u64_u32 v[4:5], vcc, v2, 24, v[52:53]
	v_lshlrev_b64 v[8:9], 1, v[46:47]
	flat_store_dwordx2 v[4:5], v[8:9] offset:8
.LBB15_291:                             ;   in Loop: Header=BB15_274 Depth=3
	s_or_b64 exec, exec, s[24:25]
	v_and_b32_e32 v4, 0x100, v28
	v_cmp_ne_u32_e32 vcc, 0, v4
	s_mov_b64 s[24:25], -1
                                        ; implicit-def: $vgpr4_vgpr5
	s_and_saveexec_b64 s[58:59], vcc
	s_cbranch_execz .LBB15_295
; %bb.292:                              ;   in Loop: Header=BB15_274 Depth=3
	v_mad_u64_u32 v[8:9], s[24:25], v2, 24, v[52:53]
	v_mov_b32_e32 v4, v9
	v_mad_u64_u32 v[4:5], s[24:25], v3, 24, v[4:5]
	v_mov_b32_e32 v9, v4
	flat_load_dword v4, v[8:9]
	s_waitcnt vmcnt(0) lgkmcnt(0)
	v_cmp_ne_u32_e32 vcc, 1, v4
	v_cmp_eq_u32_e64 s[24:25], 1, v4
                                        ; implicit-def: $vgpr4_vgpr5
	s_and_saveexec_b64 s[60:61], s[24:25]
	s_cbranch_execz .LBB15_294
; %bb.293:                              ;   in Loop: Header=BB15_274 Depth=3
	flat_load_dword v4, v[8:9] offset:4 sc0 sc1
	s_waitcnt vmcnt(0) lgkmcnt(0)
	v_ashrrev_i32_e32 v5, 31, v4
	v_lshrrev_b64 v[4:5], 1, v[4:5]
.LBB15_294:                             ;   in Loop: Header=BB15_274 Depth=3
	s_or_b64 exec, exec, s[60:61]
	s_orn2_b64 s[24:25], vcc, exec
.LBB15_295:                             ;   in Loop: Header=BB15_274 Depth=3
	s_or_b64 exec, exec, s[58:59]
	s_and_saveexec_b64 vcc, s[24:25]
; %bb.296:                              ;   in Loop: Header=BB15_274 Depth=3
	v_mul_lo_u32 v7, v3, v40
	v_mul_lo_u32 v8, v2, v39
	v_mad_u64_u32 v[4:5], s[24:25], v2, v40, 0
	v_add3_u32 v5, v5, v8, v7
; %bb.297:                              ;   in Loop: Header=BB15_274 Depth=3
	s_or_b64 exec, exec, vcc
	v_and_b32_e32 v2, 0x2000, v28
	v_lshl_add_u64 v[4:5], v[4:5], 1, v[48:49]
	v_cmp_ne_u32_e32 vcc, 0, v2
	s_trap 2
	ds_write_b64 v0, v[4:5]
	s_and_saveexec_b64 s[24:25], vcc
	s_cbranch_execz .LBB15_299
; %bb.298:                              ;   in Loop: Header=BB15_274 Depth=3
	ds_read_b64 v[4:5], v0 offset:584
	s_waitcnt lgkmcnt(0)
	v_lshl_add_u64 v[4:5], v[4:5], 0, 1
	ds_write_b64 v0, v[4:5] offset:584
.LBB15_299:                             ;   in Loop: Header=BB15_274 Depth=3
	s_or_b64 exec, exec, s[24:25]
	v_lshl_add_u64 v[44:45], v[44:45], 0, 2
.LBB15_300:                             ;   in Loop: Header=BB15_274 Depth=3
	s_or_b64 exec, exec, s[56:57]
	s_and_saveexec_b64 s[24:25], s[4:5]
	s_cbranch_execz .LBB15_319
; %bb.301:                              ;   in Loop: Header=BB15_274 Depth=3
	s_and_saveexec_b64 vcc, s[38:39]
	s_xor_b64 s[56:57], exec, vcc
	s_cbranch_execz .LBB15_316
; %bb.302:                              ;   in Loop: Header=BB15_274 Depth=3
	s_and_saveexec_b64 s[58:59], s[12:13]
	s_cbranch_execz .LBB15_315
; %bb.303:                              ;   in Loop: Header=BB15_274 Depth=3
	s_mov_b64 s[62:63], exec
	v_mbcnt_lo_u32_b32 v2, s62, 0
	v_mbcnt_hi_u32_b32 v2, s63, v2
	v_cmp_eq_u32_e32 vcc, 0, v2
	s_waitcnt lgkmcnt(0)
	s_and_saveexec_b64 s[60:61], vcc
	s_cbranch_execz .LBB15_305
; %bb.304:                              ;   in Loop: Header=BB15_274 Depth=3
	s_bcnt1_i32_b64 vcc_lo, s[62:63]
	v_mov_b32_e32 v2, vcc_lo
	ds_add_u64 v0, v[2:3]
	s_trap 2
.LBB15_305:                             ;   in Loop: Header=BB15_274 Depth=3
	s_or_b64 exec, exec, s[60:61]
	s_trap 2
	ds_read_b64 v[4:5], v0
	v_lshl_add_u64 v[54:55], v[54:55], 0, v[36:37]
	s_waitcnt lgkmcnt(0)
	v_cmp_lt_u64_e32 vcc, v[4:5], v[54:55]
	s_and_saveexec_b64 s[60:61], vcc
	s_cbranch_execz .LBB15_314
; %bb.306:                              ;   in Loop: Header=BB15_274 Depth=3
	s_mov_b32 s97, 0
	s_mov_b64 s[62:63], 0
                                        ; implicit-def: $sgpr64_sgpr65
                                        ; implicit-def: $sgpr66_sgpr67
	s_branch .LBB15_308
.LBB15_307:                             ;   in Loop: Header=BB15_308 Depth=4
	s_or_b64 exec, exec, s[70:71]
	s_and_b64 vcc, exec, vcc
	s_or_b64 s[62:63], vcc, s[62:63]
	s_andn2_b64 vcc, s[64:65], exec
	s_and_b64 s[64:65], s[66:67], exec
	s_or_b64 s[64:65], vcc, s[64:65]
	s_andn2_b64 exec, exec, s[62:63]
	s_cbranch_execz .LBB15_312
.LBB15_308:                             ;   Parent Loop BB15_47 Depth=1
                                        ;     Parent Loop BB15_271 Depth=2
                                        ;       Parent Loop BB15_274 Depth=3
                                        ; =>      This Inner Loop Header: Depth=4
	s_add_i32 s97, s97, 1
	s_cmpk_lg_i32 s97, 0x2710
	s_cselect_b64 s[68:69], -1, 0
	s_and_b64 vcc, exec, s[68:69]
                                        ; implicit-def: $sgpr70_sgpr71
	s_cbranch_vccnz .LBB15_310
; %bb.309:                              ;   in Loop: Header=BB15_308 Depth=4
	s_trap 2
	ds_read_b64 v[4:5], v0
	s_andn2_b64 s[68:69], s[68:69], exec
	s_mov_b32 s97, 0
	s_mov_b64 s[70:71], -1
	s_waitcnt vmcnt(0) lgkmcnt(0)
	flat_load_dword v2, v[4:5] sc0 sc1
	s_waitcnt vmcnt(0) lgkmcnt(0)
	buffer_inv sc0 sc1
	v_cmp_eq_u32_e32 vcc, 0, v2
	s_and_b64 vcc, vcc, exec
	s_or_b64 s[68:69], s[68:69], vcc
.LBB15_310:                             ;   in Loop: Header=BB15_308 Depth=4
	s_andn2_b64 s[66:67], s[66:67], exec
	s_and_b64 s[70:71], s[70:71], exec
	s_mov_b64 vcc, -1
	s_or_b64 s[66:67], s[66:67], s[70:71]
	s_and_saveexec_b64 s[70:71], s[68:69]
	s_cbranch_execz .LBB15_307
; %bb.311:                              ;   in Loop: Header=BB15_308 Depth=4
	s_sleep 1
	s_trap 2
	ds_read_b64 v[4:5], v0
	s_andn2_b64 s[66:67], s[66:67], exec
	s_waitcnt lgkmcnt(0)
	v_cmp_ge_u64_e32 vcc, v[4:5], v[54:55]
	s_orn2_b64 vcc, vcc, exec
	s_branch .LBB15_307
.LBB15_312:                             ;   in Loop: Header=BB15_274 Depth=3
	s_or_b64 exec, exec, s[62:63]
	s_and_saveexec_b64 vcc, s[64:65]
	s_xor_b64 vcc, exec, vcc
	s_cbranch_execz .LBB15_314
; %bb.313:                              ;   in Loop: Header=BB15_274 Depth=3
	ds_write_b32 v0, v59
	s_trap 2
.LBB15_314:                             ;   in Loop: Header=BB15_274 Depth=3
	s_or_b64 exec, exec, s[60:61]
	;;#ASMSTART
	s_wakeup
	;;#ASMEND
.LBB15_315:                             ;   in Loop: Header=BB15_274 Depth=3
	s_or_b64 exec, exec, s[58:59]
.LBB15_316:                             ;   in Loop: Header=BB15_274 Depth=3
	s_andn2_saveexec_b64 vcc, s[56:57]
	s_cbranch_execz .LBB15_318
; %bb.317:                              ;   in Loop: Header=BB15_274 Depth=3
	s_waitcnt lgkmcnt(0)
	s_barrier
.LBB15_318:                             ;   in Loop: Header=BB15_274 Depth=3
	s_or_b64 exec, exec, vcc
.LBB15_319:                             ;   in Loop: Header=BB15_274 Depth=3
	s_or_b64 exec, exec, s[24:25]
	s_trap 2
	ds_read_b32 v5, v0
	v_and_b32_e32 v2, 0x4000, v28
	v_cmp_ne_u32_e32 vcc, 0, v2
	s_xor_b64 s[24:25], s[2:3], -1
	s_and_b64 vcc, s[24:25], vcc
	s_and_saveexec_b64 s[24:25], vcc
	s_cbranch_execz .LBB15_338
; %bb.320:                              ;   in Loop: Header=BB15_274 Depth=3
	s_and_saveexec_b64 vcc, s[38:39]
	s_xor_b64 s[56:57], exec, vcc
	s_cbranch_execz .LBB15_335
; %bb.321:                              ;   in Loop: Header=BB15_274 Depth=3
	s_and_saveexec_b64 s[58:59], s[12:13]
	s_cbranch_execz .LBB15_334
; %bb.322:                              ;   in Loop: Header=BB15_274 Depth=3
	s_mov_b64 s[62:63], exec
	v_mbcnt_lo_u32_b32 v2, s62, 0
	v_mbcnt_hi_u32_b32 v2, s63, v2
	v_cmp_eq_u32_e32 vcc, 0, v2
	s_waitcnt lgkmcnt(0)
	s_and_saveexec_b64 s[60:61], vcc
	s_cbranch_execz .LBB15_324
; %bb.323:                              ;   in Loop: Header=BB15_274 Depth=3
	s_bcnt1_i32_b64 vcc_lo, s[62:63]
	v_mov_b32_e32 v2, vcc_lo
	ds_add_u64 v0, v[2:3]
	s_trap 2
.LBB15_324:                             ;   in Loop: Header=BB15_274 Depth=3
	s_or_b64 exec, exec, s[60:61]
	s_trap 2
	ds_read_b64 v[8:9], v0
	v_lshl_add_u64 v[54:55], v[54:55], 0, v[36:37]
	s_waitcnt lgkmcnt(0)
	v_cmp_lt_u64_e32 vcc, v[8:9], v[54:55]
	s_and_saveexec_b64 s[60:61], vcc
	s_cbranch_execz .LBB15_333
; %bb.325:                              ;   in Loop: Header=BB15_274 Depth=3
	s_mov_b32 s97, 0
	s_mov_b64 s[62:63], 0
                                        ; implicit-def: $sgpr64_sgpr65
                                        ; implicit-def: $sgpr66_sgpr67
	s_branch .LBB15_327
.LBB15_326:                             ;   in Loop: Header=BB15_327 Depth=4
	s_or_b64 exec, exec, s[70:71]
	s_and_b64 vcc, exec, vcc
	s_or_b64 s[62:63], vcc, s[62:63]
	s_andn2_b64 vcc, s[64:65], exec
	s_and_b64 s[64:65], s[66:67], exec
	s_or_b64 s[64:65], vcc, s[64:65]
	s_andn2_b64 exec, exec, s[62:63]
	s_cbranch_execz .LBB15_331
.LBB15_327:                             ;   Parent Loop BB15_47 Depth=1
                                        ;     Parent Loop BB15_271 Depth=2
                                        ;       Parent Loop BB15_274 Depth=3
                                        ; =>      This Inner Loop Header: Depth=4
	s_add_i32 s97, s97, 1
	s_cmpk_lg_i32 s97, 0x2710
	s_cselect_b64 s[68:69], -1, 0
	s_and_b64 vcc, exec, s[68:69]
                                        ; implicit-def: $sgpr70_sgpr71
	s_cbranch_vccnz .LBB15_329
; %bb.328:                              ;   in Loop: Header=BB15_327 Depth=4
	s_trap 2
	ds_read_b64 v[8:9], v0
	s_andn2_b64 s[68:69], s[68:69], exec
	s_mov_b32 s97, 0
	s_mov_b64 s[70:71], -1
	s_waitcnt vmcnt(0) lgkmcnt(0)
	flat_load_dword v2, v[8:9] sc0 sc1
	s_waitcnt vmcnt(0) lgkmcnt(0)
	buffer_inv sc0 sc1
	v_cmp_eq_u32_e32 vcc, 0, v2
	s_and_b64 vcc, vcc, exec
	s_or_b64 s[68:69], s[68:69], vcc
.LBB15_329:                             ;   in Loop: Header=BB15_327 Depth=4
	s_andn2_b64 s[66:67], s[66:67], exec
	s_and_b64 s[70:71], s[70:71], exec
	s_mov_b64 vcc, -1
	s_or_b64 s[66:67], s[66:67], s[70:71]
	s_and_saveexec_b64 s[70:71], s[68:69]
	s_cbranch_execz .LBB15_326
; %bb.330:                              ;   in Loop: Header=BB15_327 Depth=4
	s_sleep 1
	s_trap 2
	ds_read_b64 v[8:9], v0
	s_andn2_b64 s[66:67], s[66:67], exec
	s_waitcnt lgkmcnt(0)
	v_cmp_ge_u64_e32 vcc, v[8:9], v[54:55]
	s_orn2_b64 vcc, vcc, exec
	s_branch .LBB15_326
.LBB15_331:                             ;   in Loop: Header=BB15_274 Depth=3
	s_or_b64 exec, exec, s[62:63]
	s_and_saveexec_b64 vcc, s[64:65]
	s_xor_b64 vcc, exec, vcc
	s_cbranch_execz .LBB15_333
; %bb.332:                              ;   in Loop: Header=BB15_274 Depth=3
	ds_write_b32 v0, v59
	s_trap 2
.LBB15_333:                             ;   in Loop: Header=BB15_274 Depth=3
	s_or_b64 exec, exec, s[60:61]
	;;#ASMSTART
	s_wakeup
	;;#ASMEND
.LBB15_334:                             ;   in Loop: Header=BB15_274 Depth=3
	s_or_b64 exec, exec, s[58:59]
.LBB15_335:                             ;   in Loop: Header=BB15_274 Depth=3
	s_andn2_saveexec_b64 vcc, s[56:57]
	s_cbranch_execz .LBB15_337
; %bb.336:                              ;   in Loop: Header=BB15_274 Depth=3
	s_waitcnt lgkmcnt(0)
	s_barrier
.LBB15_337:                             ;   in Loop: Header=BB15_274 Depth=3
	s_or_b64 exec, exec, vcc
.LBB15_338:                             ;   in Loop: Header=BB15_274 Depth=3
	s_or_b64 exec, exec, s[24:25]
	s_trap 2
	ds_read_b64 v[8:9], v0
	v_mov_b32_e32 v7, 0
	s_waitcnt lgkmcnt(0)
	v_readfirstlane_b32 s24, v8
	v_readfirstlane_b32 s25, v9
	s_cmp_eq_u64 s[24:25], 0
	s_cselect_b64 s[24:25], -1, 0
	s_or_b64 s[24:25], s[24:25], s[24:25]
	s_and_b64 vcc, exec, s[24:25]
	s_cbranch_vccnz .LBB15_358
; %bb.339:                              ;   in Loop: Header=BB15_274 Depth=3
	s_mov_b64 s[24:25], -1
	s_and_saveexec_b64 s[56:57], s[18:19]
	s_cbranch_execz .LBB15_341
; %bb.340:                              ;   in Loop: Header=BB15_274 Depth=3
	ds_read_b32 v2, v0 offset:720
	s_waitcnt lgkmcnt(0)
	v_and_b32_e32 v2, 15, v2
	v_cmp_eq_u32_e32 vcc, 0, v2
	s_orn2_b64 s[24:25], vcc, exec
.LBB15_341:                             ;   in Loop: Header=BB15_274 Depth=3
	s_or_b64 exec, exec, s[56:57]
	s_and_saveexec_b64 s[56:57], s[16:17]
	s_cbranch_execz .LBB15_343
; %bb.342:                              ;   in Loop: Header=BB15_274 Depth=3
	ds_read_b32 v2, v0 offset:784
	s_waitcnt lgkmcnt(0)
	v_and_b32_e32 v2, 15, v2
	v_cmp_eq_u32_e32 vcc, 0, v2
	s_and_b64 vcc, s[24:25], vcc
	s_andn2_b64 s[24:25], s[24:25], exec
	s_and_b64 vcc, vcc, exec
	s_or_b64 s[24:25], s[24:25], vcc
.LBB15_343:                             ;   in Loop: Header=BB15_274 Depth=3
	s_or_b64 exec, exec, s[56:57]
	v_cmp_eq_u32_e32 vcc, 0, v5
	s_xor_b64 s[24:25], s[24:25], -1
	v_cndmask_b32_e64 v5, 0, 1, s[24:25]
	v_cndmask_b32_e32 v7, 0, v46, vcc
	v_mov_b32_e32 v4, 0
	v_lshlrev_b32_e32 v2, 1, v7
	s_mov_b64 s[58:59], -1
	;;#ASMSTART
	;;#ASMEND
	s_nop 0
	v_cmp_ne_u32_e32 vcc, 0, v5
	s_cbranch_vccz .LBB15_359
; %bb.344:                              ;   in Loop: Header=BB15_274 Depth=3
	v_mov_b32_e32 v5, v58
	v_mov_b32_e32 v8, v38
	s_and_saveexec_b64 s[24:25], s[58:59]
	s_cbranch_execz .LBB15_372
.LBB15_345:                             ;   in Loop: Header=BB15_274 Depth=3
	v_ashrrev_i32_e32 v9, 31, v2
	v_lshrrev_b32_e32 v9, 21, v9
	v_add_u32_e32 v9, v2, v9
	v_ashrrev_i32_e32 v16, 11, v9
	v_sub_u32_e32 v14, v16, v8
	v_ashrrev_i32_e32 v9, 31, v5
	v_cmp_lt_i32_e32 vcc, 0, v14
	v_lshrrev_b32_e32 v15, 26, v9
	s_and_saveexec_b64 s[56:57], vcc
	s_cbranch_execz .LBB15_349
; %bb.346:                              ;   in Loop: Header=BB15_274 Depth=3
	v_add_u32_e32 v9, v5, v15
	s_trap 2
	v_and_b32_e32 v9, 0x7fffffc0, v9
	ds_read_b128 v[10:13], v0
	ds_read_b64 v[18:19], v0
	v_sub_u32_e32 v9, v5, v9
	v_lshlrev_b32_e32 v9, 1, v9
	v_lshlrev_b32_e32 v8, 11, v8
	s_waitcnt vmcnt(0)
	v_add3_u32 v20, v9, v4, v8
	v_ashrrev_i32_e32 v21, 31, v20
	v_accvgpr_write_b32 a22, v54
	v_accvgpr_write_b32 a12, v44
	s_waitcnt lgkmcnt(1)
	v_lshl_add_u64 v[8:9], v[10:11], 0, v[20:21]
	v_lshl_add_u64 v[10:11], v[12:13], 0, v[20:21]
	s_waitcnt lgkmcnt(0)
	v_lshl_add_u64 v[12:13], v[18:19], 0, s[52:53]
	v_accvgpr_read_b32 v0, a46
	v_accvgpr_write_b32 a3, v29
	v_accvgpr_write_b32 a23, v55
	;; [unrolled: 1-line block ×3, first 2 shown]
	v_lshl_add_u64 v[12:13], v[12:13], 0, v[20:21]
	s_mov_b64 s[58:59], 0
	v_accvgpr_read_b32 v1, a47
.LBB15_347:                             ;   Parent Loop BB15_47 Depth=1
                                        ;     Parent Loop BB15_271 Depth=2
                                        ;       Parent Loop BB15_274 Depth=3
                                        ; =>      This Inner Loop Header: Depth=4
	flat_load_ushort v17, v[8:9] nt
	flat_load_ushort v18, v[8:9] offset:128 nt
	flat_load_ushort v19, v[8:9] offset:256 nt
	;; [unrolled: 1-line block ×15, first 2 shown]
	flat_load_ushort v25, v[10:11] nt
	flat_load_ushort v35, v[10:11] offset:128 nt
	flat_load_ushort v36, v[10:11] offset:256 nt
	;; [unrolled: 1-line block ×15, first 2 shown]
	v_lshl_add_u64 v[8:9], v[8:9], 0, v[0:1]
	v_lshl_add_u64 v[10:11], v[10:11], 0, v[0:1]
	s_waitcnt vmcnt(0) lgkmcnt(0)
	v_mul_f16_e32 v44, v17, v25
	v_mul_f16_e32 v35, v18, v35
	;; [unrolled: 1-line block ×9, first 2 shown]
	v_add_co_u32_e32 v26, vcc, s85, v12
	v_mul_f16_e32 v23, v27, v51
	s_nop 0
	v_addc_co_u32_e32 v27, vcc, -1, v13, vcc
	flat_store_short v[26:27], v44 nt
	v_add_co_u32_e32 v26, vcc, s86, v12
	v_mul_f16_e32 v22, v29, v52
	s_nop 0
	v_addc_co_u32_e32 v27, vcc, -1, v13, vcc
	flat_store_short v[26:27], v35 nt
	;; [unrolled: 5-line block ×5, first 2 shown]
	v_add_co_u32_e32 v26, vcc, s90, v12
	v_accvgpr_read_b32 v36, a44
	s_nop 0
	v_addc_co_u32_e32 v27, vcc, -1, v13, vcc
	flat_store_short v[26:27], v39 nt
	v_add_co_u32_e32 v26, vcc, s91, v12
	v_sub_u32_e32 v14, v14, v36
	s_nop 0
	v_addc_co_u32_e32 v27, vcc, -1, v13, vcc
	flat_store_short v[26:27], v48 nt
	v_add_co_u32_e32 v26, vcc, s74, v12
	v_mul_f16_e32 v17, v33, v40
	s_nop 0
	v_addc_co_u32_e32 v27, vcc, -1, v13, vcc
	flat_store_short v[26:27], v25 nt
	v_add_co_u32_e32 v26, vcc, s92, v12
	v_mul_f16_e32 v18, v34, v41
	s_nop 0
	v_addc_co_u32_e32 v27, vcc, -1, v13, vcc
	flat_store_short v[26:27], v24 nt
	v_add_co_u32_e32 v24, vcc, s93, v12
	v_accvgpr_read_b32 v37, a45
	s_nop 0
	v_addc_co_u32_e32 v25, vcc, -1, v13, vcc
	flat_store_short v[24:25], v23 nt
	v_add_co_u32_e32 v24, vcc, s94, v12
	s_nop 1
	v_addc_co_u32_e32 v25, vcc, -1, v13, vcc
	flat_store_short v[24:25], v22 nt
	v_add_co_u32_e32 v22, vcc, 0xfffffe00, v12
	;; [unrolled: 4-line block ×5, first 2 shown]
	s_nop 1
	v_addc_co_u32_e32 v21, vcc, -1, v13, vcc
	v_cmp_gt_i32_e32 vcc, 1, v14
	flat_store_short v[20:21], v17 nt
	flat_store_short v[12:13], v18 nt
	v_lshl_add_u64 v[12:13], v[12:13], 0, v[0:1]
	s_or_b64 s[58:59], vcc, s[58:59]
	s_andn2_b64 exec, exec, s[58:59]
	s_cbranch_execnz .LBB15_347
; %bb.348:                              ;   in Loop: Header=BB15_274 Depth=3
	s_or_b64 exec, exec, s[58:59]
	scratch_load_dwordx2 v[20:21], off, s33 offset:172 ; 8-byte Folded Reload
	v_accvgpr_read_b32 v45, a13
	v_accvgpr_read_b32 v53, a15
	;; [unrolled: 1-line block ×30, first 2 shown]
.LBB15_349:                             ;   in Loop: Header=BB15_274 Depth=3
	s_or_b64 exec, exec, s[56:57]
	v_lshlrev_b32_e32 v8, 11, v16
	v_cmp_ne_u32_e32 vcc, v2, v8
	s_and_saveexec_b64 s[56:57], vcc
	s_cbranch_execz .LBB15_353
; %bb.350:                              ;   in Loop: Header=BB15_274 Depth=3
	v_add_u32_e32 v9, v5, v15
	v_and_b32_e32 v9, 0xffffffc0, v9
	v_sub_u32_e32 v5, v5, v9
	v_lshlrev_b32_e32 v9, 6, v14
	v_sub_u32_e32 v5, v5, v9
	v_ashrrev_i32_e32 v9, 31, v5
	v_lshrrev_b32_e32 v9, 26, v9
	v_add_u32_e32 v9, v5, v9
	v_and_b32_e32 v10, 0x7fffffc0, v9
	v_sub_u32_e32 v5, v5, v10
	v_lshlrev_b32_e32 v9, 1, v9
	v_and_b32_e32 v9, 0xffffff80, v9
	v_lshlrev_b32_e32 v5, 1, v5
	v_add3_u32 v5, v9, v5, v8
	v_sub_u32_e32 v2, v2, v5
	v_cmp_lt_i32_e32 vcc, 1, v2
	s_and_b64 exec, exec, vcc
	s_cbranch_execz .LBB15_353
; %bb.351:                              ;   in Loop: Header=BB15_274 Depth=3
	s_trap 2
	ds_read_b128 v[8:11], v0
	ds_read_b64 v[12:13], v0
	v_add_u32_e32 v14, v5, v4
	v_ashrrev_i32_e32 v15, 31, v14
	s_mov_b64 s[58:59], 0
	s_waitcnt lgkmcnt(0)
	v_lshl_add_u64 v[4:5], v[8:9], 0, v[14:15]
	v_lshl_add_u64 v[8:9], v[10:11], 0, v[14:15]
	;; [unrolled: 1-line block ×3, first 2 shown]
.LBB15_352:                             ;   Parent Loop BB15_47 Depth=1
                                        ;     Parent Loop BB15_271 Depth=2
                                        ;       Parent Loop BB15_274 Depth=3
                                        ; =>      This Inner Loop Header: Depth=4
	flat_load_ushort v12, v[4:5] nt
	flat_load_ushort v13, v[8:9] nt
	v_sub_u32_e32 v2, v2, v41
	v_cmp_gt_i32_e32 vcc, 2, v2
	v_lshl_add_u64 v[4:5], v[4:5], 0, v[34:35]
	v_lshl_add_u64 v[8:9], v[8:9], 0, v[34:35]
	s_or_b64 s[58:59], vcc, s[58:59]
	s_waitcnt vmcnt(0) lgkmcnt(0)
	v_mul_f16_e32 v12, v12, v13
	flat_store_short v[10:11], v12 nt
	v_lshl_add_u64 v[10:11], v[10:11], 0, v[34:35]
	s_andn2_b64 exec, exec, s[58:59]
	s_cbranch_execnz .LBB15_352
.LBB15_353:                             ;   in Loop: Header=BB15_274 Depth=3
	s_or_b64 exec, exec, s[56:57]
	s_or_b64 exec, exec, s[24:25]
	s_and_saveexec_b64 s[24:25], s[4:5]
	s_cbranch_execnz .LBB15_373
.LBB15_354:                             ;   in Loop: Header=BB15_274 Depth=3
	s_or_b64 exec, exec, s[24:25]
                                        ; implicit-def: $vgpr2
	s_and_saveexec_b64 s[24:25], s[20:21]
	s_xor_b64 s[56:57], exec, s[24:25]
	s_cbranch_execz .LBB15_391
.LBB15_355:                             ;   in Loop: Header=BB15_274 Depth=3
	v_and_b32_e32 v4, 16, v28
	v_cmp_lt_i32_e32 vcc, 0, v7
	v_cmp_ne_u32_e64 s[24:25], 0, v4
	v_and_b32_e32 v2, 16, v28
	s_and_b64 vcc, s[24:25], vcc
	s_and_saveexec_b64 s[24:25], vcc
	s_cbranch_execz .LBB15_357
; %bb.356:                              ;   in Loop: Header=BB15_274 Depth=3
	v_mov_b32_e32 v2, 1
	buffer_wbl2 sc1
	s_waitcnt vmcnt(0) lgkmcnt(0)
	buffer_inv sc1
.LBB15_357:                             ;   in Loop: Header=BB15_274 Depth=3
	s_or_b64 exec, exec, s[24:25]
	s_andn2_saveexec_b64 s[24:25], s[56:57]
	s_cbranch_execz .LBB15_410
	s_branch .LBB15_392
.LBB15_358:                             ;   in Loop: Header=BB15_274 Depth=3
	s_and_saveexec_b64 s[24:25], s[4:5]
	s_cbranch_execnz .LBB15_373
	s_branch .LBB15_354
.LBB15_359:                             ;   in Loop: Header=BB15_274 Depth=3
	v_ashrrev_i32_e32 v4, 31, v2
	v_lshrrev_b32_e32 v4, 20, v4
	v_add_u32_e32 v4, v2, v4
	v_accvgpr_write_b32 a26, v29
	v_ashrrev_i32_e32 v29, 12, v4
	v_sub_u32_e32 v47, v29, v38
	v_cmp_lt_i32_e32 vcc, 0, v47
	s_and_saveexec_b64 s[24:25], vcc
	s_cbranch_execz .LBB15_363
; %bb.360:                              ;   in Loop: Header=BB15_274 Depth=3
	s_trap 2
	ds_read_b128 v[8:11], v0
	ds_read_b64 v[12:13], v0
	v_accvgpr_read_b32 v14, a40
	v_accvgpr_write_b32 a22, v54
	v_accvgpr_write_b32 a12, v44
	v_accvgpr_read_b32 v15, a41
	v_accvgpr_read_b32 v0, a42
	v_accvgpr_write_b32 a23, v55
	v_accvgpr_write_b32 a13, v45
	;; [unrolled: 1-line block ×3, first 2 shown]
	s_waitcnt lgkmcnt(0)
	v_lshl_add_u64 v[4:5], v[8:9], 0, v[14:15]
	v_lshl_add_u64 v[44:45], v[10:11], 0, v[14:15]
	;; [unrolled: 1-line block ×3, first 2 shown]
	s_mov_b64 s[56:57], 0
	v_accvgpr_read_b32 v1, a43
	v_mov_b64_e32 v[60:61], v[36:37]
.LBB15_361:                             ;   Parent Loop BB15_47 Depth=1
                                        ;     Parent Loop BB15_271 Depth=2
                                        ;       Parent Loop BB15_274 Depth=3
                                        ; =>      This Inner Loop Header: Depth=4
	global_load_dwordx4 v[36:39], v[44:45], off nt
	global_load_dwordx4 v[48:51], v[4:5], off nt
	global_load_dwordx4 v[24:27], v[4:5], off offset:1024 nt
	global_load_dwordx4 v[32:35], v[44:45], off offset:1024 nt
	;; [unrolled: 1-line block ×6, first 2 shown]
	v_sub_u32_e32 v47, v47, v60
	v_cmp_gt_i32_e32 vcc, 1, v47
	v_lshl_add_u64 v[4:5], v[4:5], 0, v[0:1]
	v_lshl_add_u64 v[44:45], v[44:45], 0, v[0:1]
	s_or_b64 s[56:57], vcc, s[56:57]
	s_waitcnt vmcnt(0)
	v_mul_f16_e32 v52, v48, v36
	v_mul_f16_sdwa v36, v48, v36 dst_sel:WORD_1 dst_unused:UNUSED_PAD src0_sel:WORD_1 src1_sel:WORD_1
	v_mul_f16_e32 v48, v49, v37
	v_mul_f16_sdwa v37, v49, v37 dst_sel:WORD_1 dst_unused:UNUSED_PAD src0_sel:WORD_1 src1_sel:WORD_1
	;; [unrolled: 2-line block ×16, first 2 shown]
	v_or_b32_e32 v9, v37, v48
	v_or_b32_e32 v8, v36, v52
	;; [unrolled: 1-line block ×16, first 2 shown]
	global_store_dwordx4 v[30:31], v[8:11], off nt
	global_store_dwordx4 v[30:31], v[12:15], off offset:1024 nt
	global_store_dwordx4 v[30:31], v[16:19], off offset:2048 nt
	;; [unrolled: 1-line block ×3, first 2 shown]
	v_lshl_add_u64 v[30:31], v[30:31], 0, v[0:1]
	s_andn2_b64 exec, exec, s[56:57]
	s_cbranch_execnz .LBB15_361
; %bb.362:                              ;   in Loop: Header=BB15_274 Depth=3
	s_or_b64 exec, exec, s[56:57]
	scratch_load_dwordx2 v[20:21], off, s33 offset:172 ; 8-byte Folded Reload
	v_accvgpr_read_b32 v45, a13
	v_accvgpr_read_b32 v53, a15
	;; [unrolled: 1-line block ×27, first 2 shown]
	v_mov_b64_e32 v[36:37], v[60:61]
	v_accvgpr_read_b32 v1, a49
	v_mov_b32_e32 v59, 1
	v_accvgpr_read_b32 v22, a56
	v_accvgpr_read_b32 v25, a59
.LBB15_363:                             ;   in Loop: Header=BB15_274 Depth=3
	s_or_b64 exec, exec, s[24:25]
	v_lshlrev_b32_e32 v12, 12, v29
	s_mov_b64 s[58:59], 0
	v_mov_b32_e32 v4, 0
	v_cmp_ne_u32_e32 vcc, v2, v12
                                        ; implicit-def: $vgpr5
                                        ; implicit-def: $vgpr8
	s_mov_b64 s[56:57], exec
	s_and_b64 s[24:25], s[56:57], vcc
	v_accvgpr_read_b32 v29, a26
	s_mov_b64 exec, s[24:25]
	s_cbranch_execz .LBB15_371
; %bb.364:                              ;   in Loop: Header=BB15_274 Depth=3
	v_lshlrev_b32_e32 v4, 6, v47
	v_accvgpr_read_b32 v8, a33
	v_sub_u32_e32 v4, v8, v4
	v_ashrrev_i32_e32 v8, 31, v4
	v_lshrrev_b32_e32 v8, 26, v8
	v_add_u32_e32 v8, v4, v8
	v_sub_u32_e32 v5, v2, v12
	v_ashrrev_i32_e32 v9, 6, v8
	v_and_b32_e32 v8, 0xffffffc0, v8
	v_sub_u32_e32 v13, v4, v8
	v_ashrrev_i32_e32 v8, 31, v5
	v_lshrrev_b32_e32 v8, 22, v8
	v_add_u32_e32 v8, v5, v8
	v_and_b32_e32 v14, 0xfffffc00, v8
	v_lshlrev_b32_e32 v4, 4, v13
	v_sub_u32_e32 v16, v5, v14
	v_lshl_add_u32 v4, v9, 10, v4
	v_ashrrev_i32_e32 v10, 10, v8
	v_cmp_lt_i32_e32 vcc, 15, v16
	v_sub_u32_e32 v17, v5, v4
	s_nop 0
	v_addc_co_u32_e64 v5, s[24:25], 0, v10, vcc
	v_sub_u32_e32 v15, v5, v9
	v_cmp_lt_i32_e64 s[24:25], 15, v17
	s_and_saveexec_b64 s[58:59], s[24:25]
	s_cbranch_execz .LBB15_368
; %bb.365:                              ;   in Loop: Header=BB15_274 Depth=3
	s_trap 2
	ds_read_b128 v[8:11], v0
	ds_read_b64 v[18:19], v0
	s_waitcnt vmcnt(0)
	v_add_u32_e32 v20, v4, v12
	v_ashrrev_i32_e32 v21, 31, v20
	s_mov_b64 s[60:61], 0
	s_waitcnt lgkmcnt(1)
	v_lshl_add_u64 v[4:5], v[8:9], 0, v[20:21]
	v_lshl_add_u64 v[8:9], v[10:11], 0, v[20:21]
	s_waitcnt lgkmcnt(0)
	v_lshl_add_u64 v[10:11], v[18:19], 0, v[20:21]
.LBB15_366:                             ;   Parent Loop BB15_47 Depth=1
                                        ;     Parent Loop BB15_271 Depth=2
                                        ;       Parent Loop BB15_274 Depth=3
                                        ; =>      This Inner Loop Header: Depth=4
	global_load_dwordx4 v[18:21], v[4:5], off nt
	global_load_dwordx4 v[22:25], v[8:9], off nt
	v_sub_u32_e32 v17, v17, v29
	v_cmp_gt_i32_e64 s[24:25], 16, v17
	v_lshl_add_u64 v[4:5], v[4:5], 0, v[32:33]
	v_lshl_add_u64 v[8:9], v[8:9], 0, v[32:33]
	v_sub_u32_e32 v15, v15, v36
	s_or_b64 s[60:61], s[24:25], s[60:61]
	s_waitcnt vmcnt(0)
	v_mul_f16_e32 v26, v18, v22
	v_mul_f16_sdwa v18, v18, v22 dst_sel:WORD_1 dst_unused:UNUSED_PAD src0_sel:WORD_1 src1_sel:WORD_1
	v_mul_f16_e32 v22, v19, v23
	v_mul_f16_sdwa v19, v19, v23 dst_sel:WORD_1 dst_unused:UNUSED_PAD src0_sel:WORD_1 src1_sel:WORD_1
	;; [unrolled: 2-line block ×4, first 2 shown]
	v_or_b32_e32 v19, v19, v22
	v_or_b32_e32 v18, v18, v26
	;; [unrolled: 1-line block ×4, first 2 shown]
	global_store_dwordx4 v[10:11], v[18:21], off nt
	v_lshl_add_u64 v[10:11], v[10:11], 0, v[32:33]
	s_andn2_b64 exec, exec, s[60:61]
	s_cbranch_execnz .LBB15_366
; %bb.367:                              ;   in Loop: Header=BB15_274 Depth=3
	s_or_b64 exec, exec, s[60:61]
	scratch_load_dwordx2 v[20:21], off, s33 offset:172 ; 8-byte Folded Reload
	v_accvgpr_read_b32 v26, a28
	v_accvgpr_read_b32 v18, a34
	;; [unrolled: 1-line block ×9, first 2 shown]
.LBB15_368:                             ;   in Loop: Header=BB15_274 Depth=3
	s_or_b64 exec, exec, s[58:59]
	v_and_b32_e32 v9, 14, v2
	v_cndmask_b32_e32 v2, v16, v9, vcc
	v_cmp_ne_u32_e64 s[24:25], 0, v2
	s_mov_b64 s[58:59], 0
	v_mov_b32_e32 v4, 0
                                        ; implicit-def: $vgpr5
                                        ; implicit-def: $vgpr8
	s_and_saveexec_b64 s[60:61], s[24:25]
	s_cbranch_execz .LBB15_370
; %bb.369:                              ;   in Loop: Header=BB15_274 Depth=3
	v_sub_u32_e32 v4, v16, v9
	v_cndmask_b32_e32 v4, 0, v4, vcc
	v_cmp_lt_i32_e32 vcc, 0, v15
	s_mov_b64 s[58:59], exec
	v_add3_u32 v4, v14, v12, v4
	v_cndmask_b32_e32 v5, 0, v36, vcc
	v_sub_u32_e32 v5, v5, v15
	v_lshl_add_u32 v5, v5, 6, v13
	v_ashrrev_i32_e32 v8, 31, v5
	v_lshrrev_b32_e32 v8, 26, v8
	v_add_u32_e32 v8, v5, v8
	v_ashrrev_i32_e32 v8, 6, v8
.LBB15_370:                             ;   in Loop: Header=BB15_274 Depth=3
	s_or_b64 exec, exec, s[60:61]
	s_and_b64 s[58:59], s[58:59], exec
.LBB15_371:                             ;   in Loop: Header=BB15_274 Depth=3
	s_or_b64 exec, exec, s[56:57]
	s_and_saveexec_b64 s[24:25], s[58:59]
	s_cbranch_execnz .LBB15_345
.LBB15_372:                             ;   in Loop: Header=BB15_274 Depth=3
	s_or_b64 exec, exec, s[24:25]
	s_and_saveexec_b64 s[24:25], s[4:5]
	s_cbranch_execz .LBB15_354
.LBB15_373:                             ;   in Loop: Header=BB15_274 Depth=3
	s_and_saveexec_b64 vcc, s[38:39]
	s_xor_b64 s[56:57], exec, vcc
	s_cbranch_execz .LBB15_388
; %bb.374:                              ;   in Loop: Header=BB15_274 Depth=3
	s_and_saveexec_b64 s[58:59], s[12:13]
	s_cbranch_execz .LBB15_387
; %bb.375:                              ;   in Loop: Header=BB15_274 Depth=3
	s_mov_b64 s[62:63], exec
	v_mbcnt_lo_u32_b32 v2, s62, 0
	v_mbcnt_hi_u32_b32 v2, s63, v2
	v_cmp_eq_u32_e32 vcc, 0, v2
	s_waitcnt lgkmcnt(0)
	s_and_saveexec_b64 s[60:61], vcc
	s_cbranch_execz .LBB15_377
; %bb.376:                              ;   in Loop: Header=BB15_274 Depth=3
	s_bcnt1_i32_b64 vcc_lo, s[62:63]
	v_mov_b32_e32 v2, vcc_lo
	ds_add_u64 v0, v[2:3]
	s_trap 2
.LBB15_377:                             ;   in Loop: Header=BB15_274 Depth=3
	s_or_b64 exec, exec, s[60:61]
	s_trap 2
	ds_read_b64 v[4:5], v0
	v_lshl_add_u64 v[54:55], v[54:55], 0, v[36:37]
	s_waitcnt lgkmcnt(0)
	v_cmp_lt_u64_e32 vcc, v[4:5], v[54:55]
	s_and_saveexec_b64 s[60:61], vcc
	s_cbranch_execz .LBB15_386
; %bb.378:                              ;   in Loop: Header=BB15_274 Depth=3
	s_mov_b32 s97, 0
	s_mov_b64 s[62:63], 0
                                        ; implicit-def: $sgpr64_sgpr65
                                        ; implicit-def: $sgpr66_sgpr67
	s_branch .LBB15_380
.LBB15_379:                             ;   in Loop: Header=BB15_380 Depth=4
	s_or_b64 exec, exec, s[70:71]
	s_and_b64 vcc, exec, vcc
	s_or_b64 s[62:63], vcc, s[62:63]
	s_andn2_b64 vcc, s[64:65], exec
	s_and_b64 s[64:65], s[66:67], exec
	s_or_b64 s[64:65], vcc, s[64:65]
	s_andn2_b64 exec, exec, s[62:63]
	s_cbranch_execz .LBB15_384
.LBB15_380:                             ;   Parent Loop BB15_47 Depth=1
                                        ;     Parent Loop BB15_271 Depth=2
                                        ;       Parent Loop BB15_274 Depth=3
                                        ; =>      This Inner Loop Header: Depth=4
	s_add_i32 s97, s97, 1
	s_cmpk_lg_i32 s97, 0x2710
	s_cselect_b64 s[68:69], -1, 0
	s_and_b64 vcc, exec, s[68:69]
                                        ; implicit-def: $sgpr70_sgpr71
	s_cbranch_vccnz .LBB15_382
; %bb.381:                              ;   in Loop: Header=BB15_380 Depth=4
	s_trap 2
	ds_read_b64 v[4:5], v0
	s_andn2_b64 s[68:69], s[68:69], exec
	s_mov_b32 s97, 0
	s_mov_b64 s[70:71], -1
	s_waitcnt vmcnt(0) lgkmcnt(0)
	flat_load_dword v2, v[4:5] sc0 sc1
	s_waitcnt vmcnt(0) lgkmcnt(0)
	buffer_inv sc0 sc1
	v_cmp_eq_u32_e32 vcc, 0, v2
	s_and_b64 vcc, vcc, exec
	s_or_b64 s[68:69], s[68:69], vcc
.LBB15_382:                             ;   in Loop: Header=BB15_380 Depth=4
	s_andn2_b64 s[66:67], s[66:67], exec
	s_and_b64 s[70:71], s[70:71], exec
	s_mov_b64 vcc, -1
	s_or_b64 s[66:67], s[66:67], s[70:71]
	s_and_saveexec_b64 s[70:71], s[68:69]
	s_cbranch_execz .LBB15_379
; %bb.383:                              ;   in Loop: Header=BB15_380 Depth=4
	s_sleep 1
	s_trap 2
	ds_read_b64 v[4:5], v0
	s_andn2_b64 s[66:67], s[66:67], exec
	s_waitcnt lgkmcnt(0)
	v_cmp_ge_u64_e32 vcc, v[4:5], v[54:55]
	s_orn2_b64 vcc, vcc, exec
	s_branch .LBB15_379
.LBB15_384:                             ;   in Loop: Header=BB15_274 Depth=3
	s_or_b64 exec, exec, s[62:63]
	s_and_saveexec_b64 vcc, s[64:65]
	s_xor_b64 vcc, exec, vcc
	s_cbranch_execz .LBB15_386
; %bb.385:                              ;   in Loop: Header=BB15_274 Depth=3
	ds_write_b32 v0, v59
	s_trap 2
.LBB15_386:                             ;   in Loop: Header=BB15_274 Depth=3
	s_or_b64 exec, exec, s[60:61]
	;;#ASMSTART
	s_wakeup
	;;#ASMEND
.LBB15_387:                             ;   in Loop: Header=BB15_274 Depth=3
	s_or_b64 exec, exec, s[58:59]
.LBB15_388:                             ;   in Loop: Header=BB15_274 Depth=3
	s_andn2_saveexec_b64 vcc, s[56:57]
	s_cbranch_execz .LBB15_390
; %bb.389:                              ;   in Loop: Header=BB15_274 Depth=3
	s_waitcnt lgkmcnt(0)
	s_barrier
.LBB15_390:                             ;   in Loop: Header=BB15_274 Depth=3
	s_or_b64 exec, exec, vcc
	s_or_b64 exec, exec, s[24:25]
                                        ; implicit-def: $vgpr2
	s_and_saveexec_b64 s[24:25], s[20:21]
	s_xor_b64 s[56:57], exec, s[24:25]
	s_cbranch_execnz .LBB15_355
.LBB15_391:                             ;   in Loop: Header=BB15_274 Depth=3
	s_andn2_saveexec_b64 s[24:25], s[56:57]
	s_cbranch_execz .LBB15_410
.LBB15_392:                             ;   in Loop: Header=BB15_274 Depth=3
	s_and_saveexec_b64 vcc, s[38:39]
	s_xor_b64 s[56:57], exec, vcc
	s_cbranch_execz .LBB15_407
; %bb.393:                              ;   in Loop: Header=BB15_274 Depth=3
	s_and_saveexec_b64 s[58:59], s[12:13]
	s_cbranch_execz .LBB15_406
; %bb.394:                              ;   in Loop: Header=BB15_274 Depth=3
	s_mov_b64 s[62:63], exec
	v_mbcnt_lo_u32_b32 v2, s62, 0
	v_mbcnt_hi_u32_b32 v2, s63, v2
	v_cmp_eq_u32_e32 vcc, 0, v2
	;;#ASMSTART
	s_waitcnt lgkmcnt(0) vmcnt(0)
	;;#ASMEND
	s_and_saveexec_b64 s[60:61], vcc
	s_cbranch_execz .LBB15_396
; %bb.395:                              ;   in Loop: Header=BB15_274 Depth=3
	s_bcnt1_i32_b64 vcc_lo, s[62:63]
	v_mov_b32_e32 v2, vcc_lo
	ds_add_u64 v0, v[2:3]
	s_trap 2
.LBB15_396:                             ;   in Loop: Header=BB15_274 Depth=3
	s_or_b64 exec, exec, s[60:61]
	s_trap 2
	ds_read_b64 v[4:5], v0
	v_lshl_add_u64 v[54:55], v[54:55], 0, v[36:37]
	s_waitcnt lgkmcnt(0)
	v_cmp_lt_u64_e32 vcc, v[4:5], v[54:55]
	s_and_saveexec_b64 s[60:61], vcc
	s_cbranch_execz .LBB15_405
; %bb.397:                              ;   in Loop: Header=BB15_274 Depth=3
	s_mov_b32 s97, 0
	s_mov_b64 s[62:63], 0
                                        ; implicit-def: $sgpr64_sgpr65
                                        ; implicit-def: $sgpr66_sgpr67
	s_branch .LBB15_399
.LBB15_398:                             ;   in Loop: Header=BB15_399 Depth=4
	s_or_b64 exec, exec, s[70:71]
	s_and_b64 vcc, exec, vcc
	s_or_b64 s[62:63], vcc, s[62:63]
	s_andn2_b64 vcc, s[64:65], exec
	s_and_b64 s[64:65], s[66:67], exec
	s_or_b64 s[64:65], vcc, s[64:65]
	s_andn2_b64 exec, exec, s[62:63]
	s_cbranch_execz .LBB15_403
.LBB15_399:                             ;   Parent Loop BB15_47 Depth=1
                                        ;     Parent Loop BB15_271 Depth=2
                                        ;       Parent Loop BB15_274 Depth=3
                                        ; =>      This Inner Loop Header: Depth=4
	s_add_i32 s97, s97, 1
	s_cmpk_lg_i32 s97, 0x2710
	s_cselect_b64 s[68:69], -1, 0
	s_and_b64 vcc, exec, s[68:69]
                                        ; implicit-def: $sgpr70_sgpr71
	s_cbranch_vccnz .LBB15_401
; %bb.400:                              ;   in Loop: Header=BB15_399 Depth=4
	s_trap 2
	ds_read_b64 v[4:5], v0
	s_andn2_b64 s[68:69], s[68:69], exec
	s_mov_b32 s97, 0
	s_mov_b64 s[70:71], -1
	s_waitcnt vmcnt(0) lgkmcnt(0)
	flat_load_dword v2, v[4:5] sc0 sc1
	s_waitcnt vmcnt(0) lgkmcnt(0)
	buffer_inv sc0 sc1
	v_cmp_eq_u32_e32 vcc, 0, v2
	s_and_b64 vcc, vcc, exec
	s_or_b64 s[68:69], s[68:69], vcc
.LBB15_401:                             ;   in Loop: Header=BB15_399 Depth=4
	s_andn2_b64 s[66:67], s[66:67], exec
	s_and_b64 s[70:71], s[70:71], exec
	s_mov_b64 vcc, -1
	s_or_b64 s[66:67], s[66:67], s[70:71]
	s_and_saveexec_b64 s[70:71], s[68:69]
	s_cbranch_execz .LBB15_398
; %bb.402:                              ;   in Loop: Header=BB15_399 Depth=4
	s_sleep 1
	s_trap 2
	ds_read_b64 v[4:5], v0
	s_andn2_b64 s[66:67], s[66:67], exec
	s_waitcnt lgkmcnt(0)
	v_cmp_ge_u64_e32 vcc, v[4:5], v[54:55]
	s_orn2_b64 vcc, vcc, exec
	s_branch .LBB15_398
.LBB15_403:                             ;   in Loop: Header=BB15_274 Depth=3
	s_or_b64 exec, exec, s[62:63]
	s_and_saveexec_b64 vcc, s[64:65]
	s_xor_b64 vcc, exec, vcc
	s_cbranch_execz .LBB15_405
; %bb.404:                              ;   in Loop: Header=BB15_274 Depth=3
	ds_write_b32 v0, v59
	s_trap 2
.LBB15_405:                             ;   in Loop: Header=BB15_274 Depth=3
	s_or_b64 exec, exec, s[60:61]
	;;#ASMSTART
	s_wakeup
	;;#ASMEND
.LBB15_406:                             ;   in Loop: Header=BB15_274 Depth=3
	s_or_b64 exec, exec, s[58:59]
.LBB15_407:                             ;   in Loop: Header=BB15_274 Depth=3
	s_andn2_saveexec_b64 vcc, s[56:57]
	s_cbranch_execz .LBB15_409
; %bb.408:                              ;   in Loop: Header=BB15_274 Depth=3
	;;#ASMSTART
	s_waitcnt lgkmcnt(0) vmcnt(0)
	;;#ASMEND
	s_barrier
.LBB15_409:                             ;   in Loop: Header=BB15_274 Depth=3
	s_or_b64 exec, exec, vcc
	v_and_b32_e32 v2, 16, v28
.LBB15_410:                             ;   in Loop: Header=BB15_274 Depth=3
	s_or_b64 exec, exec, s[24:25]
	v_cmp_ne_u32_e32 vcc, 0, v2
	s_xor_b64 s[24:25], s[6:7], -1
	s_and_b64 vcc, vcc, s[24:25]
	s_and_saveexec_b64 s[24:25], vcc
	s_cbranch_execz .LBB15_412
; %bb.411:                              ;   in Loop: Header=BB15_274 Depth=3
	flat_store_dword v[50:51], v59 sc0 sc1
.LBB15_412:                             ;   in Loop: Header=BB15_274 Depth=3
	s_or_b64 exec, exec, s[24:25]
	v_and_b32_e32 v2, 48, v28
	v_cmp_ne_u32_e32 vcc, 0, v2
	s_and_saveexec_b64 s[24:25], vcc
	s_cbranch_execz .LBB15_273
; %bb.413:                              ;   in Loop: Header=BB15_274 Depth=3
	v_lshl_add_u64 v[44:45], v[44:45], 0, 2
	flat_store_dwordx2 v[42:43], v[44:45] sc0 sc1
	s_branch .LBB15_273
.LBB15_414:                             ;   in Loop: Header=BB15_271 Depth=2
	s_or_b64 exec, exec, s[28:29]
.LBB15_415:                             ;   in Loop: Header=BB15_271 Depth=2
	s_or_b64 exec, exec, s[26:27]
	v_cmp_gt_i32_e32 vcc, 2, v2
	s_and_saveexec_b64 s[26:27], vcc
	s_cbranch_execz .LBB15_270
; %bb.416:                              ;   in Loop: Header=BB15_271 Depth=2
	v_cmp_eq_u32_e64 s[24:25], 0, v2
	s_mov_b64 s[28:29], 0
	s_branch .LBB15_418
.LBB15_417:                             ;   in Loop: Header=BB15_418 Depth=3
	s_or_b64 exec, exec, s[24:25]
	v_add_u32_e32 v6, v46, v6
	s_mov_b64 s[24:25], 0
	s_andn2_b64 exec, exec, s[28:29]
	s_cbranch_execz .LBB15_269
.LBB15_418:                             ;   Parent Loop BB15_47 Depth=1
                                        ;     Parent Loop BB15_271 Depth=2
                                        ; =>    This Loop Header: Depth=3
                                        ;         Child Loop BB15_424 Depth 4
                                        ;         Child Loop BB15_462 Depth 4
	;; [unrolled: 1-line block ×3, first 2 shown]
	v_and_b32_e32 v2, 12, v28
	s_mov_b64 s[56:57], -1
	v_cmp_ne_u32_e32 vcc, 0, v2
	s_and_saveexec_b64 s[54:55], vcc
	s_cbranch_execz .LBB15_430
; %bb.419:                              ;   in Loop: Header=BB15_418 Depth=3
	v_and_b32_e32 v2, 8, v28
	v_lshl_add_u64 v[8:9], v[56:57], 0, v[2:3]
	v_lshl_add_u64 v[4:5], v[44:45], 0, 2
	v_cmp_lt_u64_e32 vcc, v[8:9], v[4:5]
	v_mov_b32_e32 v7, 1
	s_and_saveexec_b64 s[56:57], vcc
	s_cbranch_execz .LBB15_429
; %bb.420:                              ;   in Loop: Header=BB15_418 Depth=3
	s_mov_b64 s[58:59], 0
	v_mov_b32_e32 v7, 0
                                        ; implicit-def: $sgpr60_sgpr61
	s_branch .LBB15_424
.LBB15_421:                             ;   in Loop: Header=BB15_424 Depth=4
	s_or_b64 exec, exec, s[68:69]
	v_mov_b32_e32 v8, 0
	s_orn2_b64 s[66:67], s[66:67], exec
.LBB15_422:                             ;   in Loop: Header=BB15_424 Depth=4
	s_or_b64 exec, exec, s[64:65]
	s_andn2_b64 vcc, s[60:61], exec
	s_and_b64 s[60:61], s[66:67], exec
	s_or_b64 s[60:61], vcc, s[60:61]
	v_mov_b32_e32 v7, v8
.LBB15_423:                             ;   in Loop: Header=BB15_424 Depth=4
	s_or_b64 exec, exec, s[62:63]
	s_waitcnt vmcnt(0) lgkmcnt(0)
	v_lshl_add_u64 v[8:9], v[56:57], 0, v[2:3]
	v_cmp_ge_u64_e32 vcc, v[8:9], v[4:5]
	s_xor_b64 s[62:63], s[60:61], -1
	s_or_b64 vcc, s[62:63], vcc
	s_and_b64 vcc, exec, vcc
	s_or_b64 s[58:59], vcc, s[58:59]
	s_andn2_b64 exec, exec, s[58:59]
	s_cbranch_execz .LBB15_428
.LBB15_424:                             ;   Parent Loop BB15_47 Depth=1
                                        ;     Parent Loop BB15_271 Depth=2
                                        ;       Parent Loop BB15_418 Depth=3
                                        ; =>      This Inner Loop Header: Depth=4
	s_sleep 1
	flat_load_dwordx2 v[56:57], v[42:43] sc0 sc1
	v_and_b32_e32 v8, 64, v28
	v_cmp_eq_u32_e32 vcc, 0, v8
	s_andn2_b64 s[60:61], s[60:61], exec
	s_and_saveexec_b64 s[62:63], vcc
	s_cbranch_execz .LBB15_423
; %bb.425:                              ;   in Loop: Header=BB15_424 Depth=4
	v_add_u32_e32 v8, 1, v7
	v_cmp_lt_i32_e32 vcc, s83, v7
	s_mov_b64 s[66:67], -1
	s_and_saveexec_b64 s[64:65], vcc
	s_cbranch_execz .LBB15_422
; %bb.426:                              ;   in Loop: Header=BB15_424 Depth=4
	s_trap 2
	ds_read_b64 v[8:9], v0
	s_waitcnt vmcnt(0) lgkmcnt(0)
	flat_load_dword v7, v[8:9] sc0 sc1
	s_waitcnt vmcnt(0) lgkmcnt(0)
	buffer_inv sc0 sc1
	v_cmp_ne_u32_e32 vcc, 0, v7
	s_and_saveexec_b64 s[68:69], vcc
	s_cbranch_execz .LBB15_421
; %bb.427:                              ;   in Loop: Header=BB15_424 Depth=4
	v_or_b32_e32 v28, 64, v28
	s_xor_b64 s[66:67], exec, -1
	ds_write_b32 v0, v7
	s_trap 2
	s_branch .LBB15_421
.LBB15_428:                             ;   in Loop: Header=BB15_418 Depth=3
	s_or_b64 exec, exec, s[58:59]
	v_and_b32_e32 v7, 12, v28
.LBB15_429:                             ;   in Loop: Header=BB15_418 Depth=3
	s_or_b64 exec, exec, s[56:57]
	v_cmp_eq_u32_e32 vcc, 0, v7
	s_orn2_b64 s[56:57], vcc, exec
	;;#ASMSTART
	s_wakeup
	;;#ASMEND
.LBB15_430:                             ;   in Loop: Header=BB15_418 Depth=3
	s_or_b64 exec, exec, s[54:55]
	s_xor_b64 s[24:25], s[24:25], -1
	s_and_b64 s[24:25], exec, s[24:25]
	s_or_b64 s[28:29], s[24:25], s[28:29]
	v_sub_u32_e32 v2, v22, v6
	s_xor_b64 s[24:25], s[56:57], -1
	v_min_i32_e32 v46, v46, v2
	s_and_saveexec_b64 s[54:55], s[24:25]
	s_cbranch_execz .LBB15_454
; %bb.431:                              ;   in Loop: Header=BB15_418 Depth=3
	v_and_b32_e32 v2, 0x108, v28
	v_cmp_ne_u32_e32 vcc, s84, v2
	v_and_b32_e32 v2, 7, v44
	s_and_saveexec_b64 s[24:25], vcc
	s_xor_b64 s[24:25], exec, s[24:25]
	s_andn2_saveexec_b64 s[24:25], s[24:25]
	s_cbranch_execz .LBB15_433
; %bb.432:                              ;   in Loop: Header=BB15_418 Depth=3
	v_ashrrev_i32_e32 v47, 31, v46
	v_mad_u64_u32 v[4:5], vcc, v2, 24, v[52:53]
	v_lshlrev_b64 v[8:9], 1, v[46:47]
	flat_store_dwordx2 v[4:5], v[8:9] offset:8
.LBB15_433:                             ;   in Loop: Header=BB15_418 Depth=3
	s_or_b64 exec, exec, s[24:25]
	v_and_b32_e32 v4, 0x100, v28
	v_cmp_ne_u32_e32 vcc, 0, v4
	s_mov_b64 s[24:25], -1
                                        ; implicit-def: $vgpr4_vgpr5
	s_and_saveexec_b64 s[56:57], vcc
	s_cbranch_execz .LBB15_437
; %bb.434:                              ;   in Loop: Header=BB15_418 Depth=3
	v_mad_u64_u32 v[8:9], s[24:25], v2, 24, v[52:53]
	v_mov_b32_e32 v4, v9
	v_mad_u64_u32 v[4:5], s[24:25], v3, 24, v[4:5]
	v_mov_b32_e32 v9, v4
	flat_load_dword v4, v[8:9]
	s_waitcnt vmcnt(0) lgkmcnt(0)
	v_cmp_ne_u32_e32 vcc, 1, v4
	v_cmp_eq_u32_e64 s[24:25], 1, v4
                                        ; implicit-def: $vgpr4_vgpr5
	s_and_saveexec_b64 s[58:59], s[24:25]
	s_cbranch_execz .LBB15_436
; %bb.435:                              ;   in Loop: Header=BB15_418 Depth=3
	flat_load_dword v4, v[8:9] offset:4 sc0 sc1
	s_waitcnt vmcnt(0) lgkmcnt(0)
	v_ashrrev_i32_e32 v5, 31, v4
	v_lshrrev_b64 v[4:5], 1, v[4:5]
.LBB15_436:                             ;   in Loop: Header=BB15_418 Depth=3
	s_or_b64 exec, exec, s[58:59]
	s_orn2_b64 s[24:25], vcc, exec
.LBB15_437:                             ;   in Loop: Header=BB15_418 Depth=3
	s_or_b64 exec, exec, s[56:57]
	s_and_saveexec_b64 vcc, s[24:25]
; %bb.438:                              ;   in Loop: Header=BB15_418 Depth=3
	v_mul_lo_u32 v7, v3, v40
	v_mul_lo_u32 v8, v2, v39
	v_mad_u64_u32 v[4:5], s[24:25], v2, v40, 0
	v_add3_u32 v5, v5, v8, v7
; %bb.439:                              ;   in Loop: Header=BB15_418 Depth=3
	s_or_b64 exec, exec, vcc
	v_and_b32_e32 v2, 0x2000, v28
	v_lshl_add_u64 v[4:5], v[4:5], 1, v[48:49]
	v_cmp_ne_u32_e32 vcc, 0, v2
	s_trap 2
	ds_write_b64 v0, v[4:5]
	s_and_saveexec_b64 s[24:25], vcc
	s_cbranch_execz .LBB15_441
; %bb.440:                              ;   in Loop: Header=BB15_418 Depth=3
	ds_read_b64 v[4:5], v0 offset:584
	s_waitcnt lgkmcnt(0)
	v_lshl_add_u64 v[4:5], v[4:5], 0, 1
	ds_write_b64 v0, v[4:5] offset:584
.LBB15_441:                             ;   in Loop: Header=BB15_418 Depth=3
	s_or_b64 exec, exec, s[24:25]
	v_lshl_add_u64 v[44:45], v[44:45], 0, 2
	s_or_b64 exec, exec, s[54:55]
	s_and_saveexec_b64 s[24:25], s[4:5]
	s_cbranch_execnz .LBB15_455
.LBB15_442:                             ;   in Loop: Header=BB15_418 Depth=3
	s_or_b64 exec, exec, s[24:25]
                                        ; implicit-def: $vgpr2
	s_and_saveexec_b64 s[24:25], s[48:49]
	s_xor_b64 s[24:25], exec, s[24:25]
	s_cbranch_execz .LBB15_480
.LBB15_443:                             ;   in Loop: Header=BB15_418 Depth=3
	s_and_saveexec_b64 vcc, s[38:39]
	s_xor_b64 s[54:55], exec, vcc
	s_cbranch_execz .LBB15_470
; %bb.444:                              ;   in Loop: Header=BB15_418 Depth=3
	s_and_saveexec_b64 s[56:57], s[12:13]
	s_cbranch_execz .LBB15_469
; %bb.445:                              ;   in Loop: Header=BB15_418 Depth=3
	s_mov_b64 s[60:61], exec
	v_mbcnt_lo_u32_b32 v2, s60, 0
	v_mbcnt_hi_u32_b32 v2, s61, v2
	v_cmp_eq_u32_e32 vcc, 0, v2
	;;#ASMSTART
	s_waitcnt lgkmcnt(0) vmcnt(0)
	;;#ASMEND
	s_and_saveexec_b64 s[58:59], vcc
	s_cbranch_execz .LBB15_447
; %bb.446:                              ;   in Loop: Header=BB15_418 Depth=3
	s_bcnt1_i32_b64 vcc_lo, s[60:61]
	v_mov_b32_e32 v2, vcc_lo
	ds_add_u64 v0, v[2:3]
	s_trap 2
.LBB15_447:                             ;   in Loop: Header=BB15_418 Depth=3
	s_or_b64 exec, exec, s[58:59]
	s_trap 2
	ds_read_b64 v[4:5], v0
	v_lshl_add_u64 v[54:55], v[54:55], 0, v[36:37]
	s_waitcnt lgkmcnt(0)
	v_cmp_lt_u64_e32 vcc, v[4:5], v[54:55]
	s_and_saveexec_b64 s[58:59], vcc
	s_cbranch_execz .LBB15_468
; %bb.448:                              ;   in Loop: Header=BB15_418 Depth=3
	s_mov_b32 s70, 0
	s_mov_b64 s[60:61], 0
                                        ; implicit-def: $sgpr62_sgpr63
                                        ; implicit-def: $sgpr64_sgpr65
	s_branch .LBB15_450
.LBB15_449:                             ;   in Loop: Header=BB15_450 Depth=4
	s_or_b64 exec, exec, s[68:69]
	s_and_b64 vcc, exec, vcc
	s_or_b64 s[60:61], vcc, s[60:61]
	s_andn2_b64 vcc, s[62:63], exec
	s_and_b64 s[62:63], s[64:65], exec
	s_or_b64 s[62:63], vcc, s[62:63]
	s_andn2_b64 exec, exec, s[60:61]
	s_cbranch_execz .LBB15_466
.LBB15_450:                             ;   Parent Loop BB15_47 Depth=1
                                        ;     Parent Loop BB15_271 Depth=2
                                        ;       Parent Loop BB15_418 Depth=3
                                        ; =>      This Inner Loop Header: Depth=4
	s_add_i32 s70, s70, 1
	s_cmpk_lg_i32 s70, 0x2710
	s_cselect_b64 s[66:67], -1, 0
	s_and_b64 vcc, exec, s[66:67]
                                        ; implicit-def: $sgpr68_sgpr69
	s_cbranch_vccnz .LBB15_452
; %bb.451:                              ;   in Loop: Header=BB15_450 Depth=4
	s_trap 2
	ds_read_b64 v[4:5], v0
	s_andn2_b64 s[66:67], s[66:67], exec
	s_mov_b32 s70, 0
	s_mov_b64 s[68:69], -1
	s_waitcnt vmcnt(0) lgkmcnt(0)
	flat_load_dword v2, v[4:5] sc0 sc1
	s_waitcnt vmcnt(0) lgkmcnt(0)
	buffer_inv sc0 sc1
	v_cmp_eq_u32_e32 vcc, 0, v2
	s_and_b64 vcc, vcc, exec
	s_or_b64 s[66:67], s[66:67], vcc
.LBB15_452:                             ;   in Loop: Header=BB15_450 Depth=4
	s_andn2_b64 s[64:65], s[64:65], exec
	s_and_b64 s[68:69], s[68:69], exec
	s_mov_b64 vcc, -1
	s_or_b64 s[64:65], s[64:65], s[68:69]
	s_and_saveexec_b64 s[68:69], s[66:67]
	s_cbranch_execz .LBB15_449
; %bb.453:                              ;   in Loop: Header=BB15_450 Depth=4
	s_sleep 1
	s_trap 2
	ds_read_b64 v[4:5], v0
	s_andn2_b64 s[64:65], s[64:65], exec
	s_waitcnt lgkmcnt(0)
	v_cmp_ge_u64_e32 vcc, v[4:5], v[54:55]
	s_orn2_b64 vcc, vcc, exec
	s_branch .LBB15_449
.LBB15_454:                             ;   in Loop: Header=BB15_418 Depth=3
	s_or_b64 exec, exec, s[54:55]
	s_and_saveexec_b64 s[24:25], s[4:5]
	s_cbranch_execz .LBB15_442
.LBB15_455:                             ;   in Loop: Header=BB15_418 Depth=3
	s_and_saveexec_b64 vcc, s[38:39]
	s_xor_b64 s[54:55], exec, vcc
	s_cbranch_execz .LBB15_477
; %bb.456:                              ;   in Loop: Header=BB15_418 Depth=3
	s_and_saveexec_b64 s[56:57], s[12:13]
	s_cbranch_execz .LBB15_476
; %bb.457:                              ;   in Loop: Header=BB15_418 Depth=3
	s_mov_b64 s[60:61], exec
	v_mbcnt_lo_u32_b32 v2, s60, 0
	v_mbcnt_hi_u32_b32 v2, s61, v2
	v_cmp_eq_u32_e32 vcc, 0, v2
	s_waitcnt lgkmcnt(0)
	s_and_saveexec_b64 s[58:59], vcc
	s_cbranch_execz .LBB15_459
; %bb.458:                              ;   in Loop: Header=BB15_418 Depth=3
	s_bcnt1_i32_b64 vcc_lo, s[60:61]
	v_mov_b32_e32 v2, vcc_lo
	ds_add_u64 v0, v[2:3]
	s_trap 2
.LBB15_459:                             ;   in Loop: Header=BB15_418 Depth=3
	s_or_b64 exec, exec, s[58:59]
	s_trap 2
	ds_read_b64 v[4:5], v0
	v_lshl_add_u64 v[54:55], v[54:55], 0, v[36:37]
	s_waitcnt lgkmcnt(0)
	v_cmp_lt_u64_e32 vcc, v[4:5], v[54:55]
	s_and_saveexec_b64 s[58:59], vcc
	s_cbranch_execz .LBB15_475
; %bb.460:                              ;   in Loop: Header=BB15_418 Depth=3
	s_mov_b32 s70, 0
	s_mov_b64 s[60:61], 0
                                        ; implicit-def: $sgpr62_sgpr63
                                        ; implicit-def: $sgpr64_sgpr65
	s_branch .LBB15_462
.LBB15_461:                             ;   in Loop: Header=BB15_462 Depth=4
	s_or_b64 exec, exec, s[68:69]
	s_and_b64 vcc, exec, vcc
	s_or_b64 s[60:61], vcc, s[60:61]
	s_andn2_b64 vcc, s[62:63], exec
	s_and_b64 s[62:63], s[64:65], exec
	s_or_b64 s[62:63], vcc, s[62:63]
	s_andn2_b64 exec, exec, s[60:61]
	s_cbranch_execz .LBB15_473
.LBB15_462:                             ;   Parent Loop BB15_47 Depth=1
                                        ;     Parent Loop BB15_271 Depth=2
                                        ;       Parent Loop BB15_418 Depth=3
                                        ; =>      This Inner Loop Header: Depth=4
	s_add_i32 s70, s70, 1
	s_cmpk_lg_i32 s70, 0x2710
	s_cselect_b64 s[66:67], -1, 0
	s_and_b64 vcc, exec, s[66:67]
                                        ; implicit-def: $sgpr68_sgpr69
	s_cbranch_vccnz .LBB15_464
; %bb.463:                              ;   in Loop: Header=BB15_462 Depth=4
	s_trap 2
	ds_read_b64 v[4:5], v0
	s_andn2_b64 s[66:67], s[66:67], exec
	s_mov_b32 s70, 0
	s_mov_b64 s[68:69], -1
	s_waitcnt vmcnt(0) lgkmcnt(0)
	flat_load_dword v2, v[4:5] sc0 sc1
	s_waitcnt vmcnt(0) lgkmcnt(0)
	buffer_inv sc0 sc1
	v_cmp_eq_u32_e32 vcc, 0, v2
	s_and_b64 vcc, vcc, exec
	s_or_b64 s[66:67], s[66:67], vcc
.LBB15_464:                             ;   in Loop: Header=BB15_462 Depth=4
	s_andn2_b64 s[64:65], s[64:65], exec
	s_and_b64 s[68:69], s[68:69], exec
	s_mov_b64 vcc, -1
	s_or_b64 s[64:65], s[64:65], s[68:69]
	s_and_saveexec_b64 s[68:69], s[66:67]
	s_cbranch_execz .LBB15_461
; %bb.465:                              ;   in Loop: Header=BB15_462 Depth=4
	s_sleep 1
	s_trap 2
	ds_read_b64 v[4:5], v0
	s_andn2_b64 s[64:65], s[64:65], exec
	s_waitcnt lgkmcnt(0)
	v_cmp_ge_u64_e32 vcc, v[4:5], v[54:55]
	s_orn2_b64 vcc, vcc, exec
	s_branch .LBB15_461
.LBB15_466:                             ;   in Loop: Header=BB15_418 Depth=3
	s_or_b64 exec, exec, s[60:61]
	s_and_saveexec_b64 vcc, s[62:63]
	s_xor_b64 vcc, exec, vcc
	s_cbranch_execz .LBB15_468
; %bb.467:                              ;   in Loop: Header=BB15_418 Depth=3
	ds_write_b32 v0, v59
	s_trap 2
.LBB15_468:                             ;   in Loop: Header=BB15_418 Depth=3
	s_or_b64 exec, exec, s[58:59]
	;;#ASMSTART
	s_wakeup
	;;#ASMEND
.LBB15_469:                             ;   in Loop: Header=BB15_418 Depth=3
	s_or_b64 exec, exec, s[56:57]
.LBB15_470:                             ;   in Loop: Header=BB15_418 Depth=3
	s_andn2_saveexec_b64 vcc, s[54:55]
	s_cbranch_execz .LBB15_472
; %bb.471:                              ;   in Loop: Header=BB15_418 Depth=3
	;;#ASMSTART
	s_waitcnt lgkmcnt(0) vmcnt(0)
	;;#ASMEND
	s_barrier
.LBB15_472:                             ;   in Loop: Header=BB15_418 Depth=3
	s_or_b64 exec, exec, vcc
	v_and_b32_e32 v2, 16, v28
	s_andn2_saveexec_b64 s[24:25], s[24:25]
	s_cbranch_execz .LBB15_484
	s_branch .LBB15_481
.LBB15_473:                             ;   in Loop: Header=BB15_418 Depth=3
	s_or_b64 exec, exec, s[60:61]
	s_and_saveexec_b64 vcc, s[62:63]
	s_xor_b64 vcc, exec, vcc
	s_cbranch_execz .LBB15_475
; %bb.474:                              ;   in Loop: Header=BB15_418 Depth=3
	ds_write_b32 v0, v59
	s_trap 2
.LBB15_475:                             ;   in Loop: Header=BB15_418 Depth=3
	s_or_b64 exec, exec, s[58:59]
	;;#ASMSTART
	s_wakeup
	;;#ASMEND
.LBB15_476:                             ;   in Loop: Header=BB15_418 Depth=3
	s_or_b64 exec, exec, s[56:57]
.LBB15_477:                             ;   in Loop: Header=BB15_418 Depth=3
	s_andn2_saveexec_b64 vcc, s[54:55]
	s_cbranch_execz .LBB15_479
; %bb.478:                              ;   in Loop: Header=BB15_418 Depth=3
	s_waitcnt lgkmcnt(0)
	s_barrier
.LBB15_479:                             ;   in Loop: Header=BB15_418 Depth=3
	s_or_b64 exec, exec, vcc
	s_or_b64 exec, exec, s[24:25]
                                        ; implicit-def: $vgpr2
	s_and_saveexec_b64 s[24:25], s[48:49]
	s_xor_b64 s[24:25], exec, s[24:25]
	s_cbranch_execnz .LBB15_443
.LBB15_480:                             ;   in Loop: Header=BB15_418 Depth=3
	s_andn2_saveexec_b64 s[24:25], s[24:25]
	s_cbranch_execz .LBB15_484
.LBB15_481:                             ;   in Loop: Header=BB15_418 Depth=3
	s_trap 2
	ds_read_b32 v4, v0
	v_cmp_lt_i32_e32 vcc, 0, v46
	v_and_b32_e32 v5, 16, v28
	v_and_b32_e32 v2, 16, v28
	s_waitcnt lgkmcnt(0)
	v_readfirstlane_b32 s54, v4
	s_cmp_eq_u32 s54, 0
	s_cselect_b64 s[54:55], -1, 0
	s_and_b64 s[54:55], vcc, s[54:55]
	v_cmp_ne_u32_e32 vcc, 0, v5
	s_and_b64 s[54:55], vcc, s[54:55]
	s_and_saveexec_b64 vcc, s[54:55]
	s_cbranch_execz .LBB15_483
; %bb.482:                              ;   in Loop: Header=BB15_418 Depth=3
	v_mov_b32_e32 v2, 1
	buffer_wbl2 sc1
	s_waitcnt vmcnt(0)
	buffer_inv sc1
.LBB15_483:                             ;   in Loop: Header=BB15_418 Depth=3
	s_or_b64 exec, exec, vcc
.LBB15_484:                             ;   in Loop: Header=BB15_418 Depth=3
	s_or_b64 exec, exec, s[24:25]
	v_cmp_ne_u32_e32 vcc, 0, v2
	s_xor_b64 s[24:25], s[6:7], -1
	s_and_b64 vcc, vcc, s[24:25]
	s_and_saveexec_b64 s[24:25], vcc
	s_cbranch_execz .LBB15_486
; %bb.485:                              ;   in Loop: Header=BB15_418 Depth=3
	flat_store_dword v[50:51], v59 sc0 sc1
.LBB15_486:                             ;   in Loop: Header=BB15_418 Depth=3
	s_or_b64 exec, exec, s[24:25]
	v_and_b32_e32 v2, 48, v28
	v_cmp_ne_u32_e32 vcc, 0, v2
	s_and_saveexec_b64 s[24:25], vcc
	s_cbranch_execz .LBB15_417
; %bb.487:                              ;   in Loop: Header=BB15_418 Depth=3
	v_lshl_add_u64 v[44:45], v[44:45], 0, 2
	flat_store_dwordx2 v[42:43], v[44:45] sc0 sc1
	s_branch .LBB15_417
.LBB15_488:                             ;   in Loop: Header=BB15_47 Depth=1
	v_accvgpr_read_b32 v8, a50
	v_accvgpr_read_b32 v9, a51
	v_mul_lo_u32 v2, v9, s72
	v_mul_lo_u32 v6, v8, s73
	v_mad_u64_u32 v[4:5], s[24:25], v8, s72, 0
	v_add3_u32 v5, v5, v6, v2
	v_accvgpr_read_b32 v6, a52
	v_accvgpr_read_b32 v7, a53
	v_sub_co_u32_e32 v6, vcc, v6, v4
	v_mov_b32_e32 v46, 0
	s_nop 0
	v_subb_co_u32_e32 v7, vcc, v7, v5, vcc
	v_cmp_lt_i64_e32 vcc, v[8:9], v[6:7]
	s_nop 1
	v_cndmask_b32_e32 v2, v6, v8, vcc
	v_max_i32_e32 v25, 0, v2
	v_add_u32_e32 v6, 31, v25
	v_ashrrev_i32_e32 v7, 31, v6
	v_lshrrev_b32_e32 v7, 27, v7
	v_add_u32_e32 v6, v6, v7
	v_ashrrev_i32_e32 v6, 5, v6
	v_lshlrev_b32_e32 v6, 4, v6
	v_cmp_lt_i32_e32 vcc, 0, v2
	v_max_i32_e32 v22, s79, v6
	s_and_b64 s[24:25], s[50:51], vcc
	v_mov_b32_e32 v2, 0
	s_and_saveexec_b64 s[54:55], s[24:25]
	s_cbranch_execz .LBB15_667
; %bb.489:                              ;   in Loop: Header=BB15_47 Depth=1
	v_accvgpr_read_b32 v6, a54
	v_accvgpr_read_b32 v7, a55
	v_lshl_add_u64 v[4:5], v[4:5], 0, v[6:7]
	v_lshlrev_b64 v[4:5], 1, v[4:5]
	v_accvgpr_write_b32 a59, v5
	s_mov_b32 s95, 1
	s_mov_b64 s[58:59], -1
	s_mov_b64 s[56:57], 0
	v_mov_b32_e32 v46, 0
	v_accvgpr_write_b32 a58, v4
	v_accvgpr_write_b32 a56, v25
	s_branch .LBB15_491
.LBB15_490:                             ;   in Loop: Header=BB15_491 Depth=2
	s_or_b64 exec, exec, s[24:25]
	v_add_u32_e32 v46, v22, v46
	v_cmp_ge_i32_e32 vcc, v46, v25
	s_xor_b64 s[24:25], s[58:59], -1
	s_or_b64 s[24:25], s[24:25], vcc
	s_and_b64 s[24:25], exec, s[24:25]
	s_or_b64 s[56:57], s[24:25], s[56:57]
	s_mov_b64 s[58:59], 0
	v_mov_b32_e32 v2, s95
	s_mov_b32 s95, 2
	s_andn2_b64 exec, exec, s[56:57]
	s_cbranch_execz .LBB15_666
.LBB15_491:                             ;   Parent Loop BB15_47 Depth=1
                                        ; =>  This Loop Header: Depth=2
                                        ;       Child Loop BB15_499 Depth 3
                                        ;       Child Loop BB15_525 Depth 3
                                        ;       Child Loop BB15_544 Depth 3
                                        ;       Child Loop BB15_616 Depth 3
                                        ;       Child Loop BB15_621 Depth 3
                                        ;       Child Loop BB15_629 Depth 3
                                        ;       Child Loop BB15_634 Depth 3
                                        ;       Child Loop BB15_579 Depth 3
                                        ;       Child Loop BB15_584 Depth 3
                                        ;         Child Loop BB15_585 Depth 4
                                        ;       Child Loop BB15_594 Depth 3
                                        ;       Child Loop BB15_599 Depth 3
                                        ;         Child Loop BB15_600 Depth 4
                                        ;       Child Loop BB15_572 Depth 3
                                        ;       Child Loop BB15_651 Depth 3
	s_and_saveexec_b64 s[24:25], s[0:1]
	s_cbranch_execz .LBB15_493
; %bb.492:                              ;   in Loop: Header=BB15_491 Depth=2
	s_trap 2
	ds_read2_b64 v[4:7], v0 offset1:1
	ds_read_b64 v[8:9], v0
	v_accvgpr_read_b32 v12, a58
	v_ashrrev_i32_e32 v47, 31, v46
	v_accvgpr_read_b32 v13, a59
	v_lshlrev_b64 v[10:11], 1, v[46:47]
	s_waitcnt lgkmcnt(0)
	v_lshl_add_u64 v[4:5], v[4:5], 0, v[12:13]
	v_lshl_add_u64 v[4:5], v[4:5], 0, v[10:11]
	ds_write_b64 v0, v[4:5]
	v_lshl_add_u64 v[4:5], v[6:7], 0, v[12:13]
	v_lshl_add_u64 v[4:5], v[4:5], 0, v[10:11]
	ds_write_b64 v0, v[4:5]
	v_lshl_add_u64 v[4:5], v[8:9], 0, v[12:13]
	v_lshl_add_u64 v[4:5], v[4:5], 0, v[10:11]
	v_cmp_ne_u64_e32 vcc, 0, v[8:9]
	s_nop 1
	v_cndmask_b32_e32 v5, 0, v5, vcc
	v_cndmask_b32_e32 v4, 0, v4, vcc
	ds_write_b64 v0, v[4:5]
.LBB15_493:                             ;   in Loop: Header=BB15_491 Depth=2
	s_or_b64 exec, exec, s[24:25]
	v_and_b32_e32 v2, 12, v28
	v_cmp_ne_u32_e32 vcc, 0, v2
	s_mov_b64 s[26:27], -1
	s_and_saveexec_b64 s[24:25], vcc
	s_cbranch_execz .LBB15_505
; %bb.494:                              ;   in Loop: Header=BB15_491 Depth=2
	v_and_b32_e32 v2, 8, v28
	v_lshl_add_u64 v[6:7], v[56:57], 0, v[2:3]
	v_lshl_add_u64 v[4:5], v[44:45], 0, 2
	v_cmp_lt_u64_e32 vcc, v[6:7], v[4:5]
	v_mov_b32_e32 v6, 1
	s_and_saveexec_b64 s[26:27], vcc
	s_cbranch_execz .LBB15_504
; %bb.495:                              ;   in Loop: Header=BB15_491 Depth=2
	s_mov_b64 s[28:29], 0
	v_mov_b32_e32 v6, 0
                                        ; implicit-def: $sgpr60_sgpr61
	s_branch .LBB15_499
.LBB15_496:                             ;   in Loop: Header=BB15_499 Depth=3
	s_or_b64 exec, exec, s[68:69]
	v_mov_b32_e32 v7, 0
	s_orn2_b64 s[66:67], s[66:67], exec
.LBB15_497:                             ;   in Loop: Header=BB15_499 Depth=3
	s_or_b64 exec, exec, s[64:65]
	s_andn2_b64 vcc, s[60:61], exec
	s_and_b64 s[60:61], s[66:67], exec
	s_or_b64 s[60:61], vcc, s[60:61]
	v_mov_b32_e32 v6, v7
.LBB15_498:                             ;   in Loop: Header=BB15_499 Depth=3
	s_or_b64 exec, exec, s[62:63]
	s_waitcnt vmcnt(0) lgkmcnt(0)
	v_lshl_add_u64 v[8:9], v[56:57], 0, v[2:3]
	v_cmp_ge_u64_e32 vcc, v[8:9], v[4:5]
	s_xor_b64 s[62:63], s[60:61], -1
	s_or_b64 vcc, s[62:63], vcc
	s_and_b64 vcc, exec, vcc
	s_or_b64 s[28:29], vcc, s[28:29]
	s_andn2_b64 exec, exec, s[28:29]
	s_cbranch_execz .LBB15_503
.LBB15_499:                             ;   Parent Loop BB15_47 Depth=1
                                        ;     Parent Loop BB15_491 Depth=2
                                        ; =>    This Inner Loop Header: Depth=3
	s_sleep 1
	flat_load_dwordx2 v[56:57], v[42:43] sc0 sc1
	v_and_b32_e32 v7, 64, v28
	v_cmp_eq_u32_e32 vcc, 0, v7
	s_andn2_b64 s[60:61], s[60:61], exec
	s_and_saveexec_b64 s[62:63], vcc
	s_cbranch_execz .LBB15_498
; %bb.500:                              ;   in Loop: Header=BB15_499 Depth=3
	v_add_u32_e32 v7, 1, v6
	v_cmp_lt_i32_e32 vcc, s83, v6
	s_mov_b64 s[66:67], -1
	s_and_saveexec_b64 s[64:65], vcc
	s_cbranch_execz .LBB15_497
; %bb.501:                              ;   in Loop: Header=BB15_499 Depth=3
	s_trap 2
	ds_read_b64 v[6:7], v0
	s_waitcnt vmcnt(0) lgkmcnt(0)
	flat_load_dword v6, v[6:7] sc0 sc1
	s_waitcnt vmcnt(0) lgkmcnt(0)
	buffer_inv sc0 sc1
	v_cmp_ne_u32_e32 vcc, 0, v6
	s_and_saveexec_b64 s[68:69], vcc
	s_cbranch_execz .LBB15_496
; %bb.502:                              ;   in Loop: Header=BB15_499 Depth=3
	v_or_b32_e32 v28, 64, v28
	s_xor_b64 s[66:67], exec, -1
	ds_write_b32 v0, v6
	s_trap 2
	s_branch .LBB15_496
.LBB15_503:                             ;   in Loop: Header=BB15_491 Depth=2
	s_or_b64 exec, exec, s[28:29]
	v_and_b32_e32 v6, 12, v28
.LBB15_504:                             ;   in Loop: Header=BB15_491 Depth=2
	s_or_b64 exec, exec, s[26:27]
	v_cmp_eq_u32_e32 vcc, 0, v6
	s_orn2_b64 s[26:27], vcc, exec
	;;#ASMSTART
	s_wakeup
	;;#ASMEND
.LBB15_505:                             ;   in Loop: Header=BB15_491 Depth=2
	s_or_b64 exec, exec, s[24:25]
	v_sub_u32_e32 v2, v25, v46
	s_xor_b64 s[24:25], s[26:27], -1
	v_min_i32_e32 v22, v22, v2
	s_and_saveexec_b64 s[26:27], s[24:25]
	s_cbranch_execz .LBB15_517
; %bb.506:                              ;   in Loop: Header=BB15_491 Depth=2
	v_and_b32_e32 v2, 0x108, v28
	v_cmp_ne_u32_e32 vcc, s84, v2
	v_and_b32_e32 v2, 7, v44
	s_and_saveexec_b64 s[24:25], vcc
	s_xor_b64 s[24:25], exec, s[24:25]
	s_andn2_saveexec_b64 s[24:25], s[24:25]
	s_cbranch_execz .LBB15_508
; %bb.507:                              ;   in Loop: Header=BB15_491 Depth=2
	v_ashrrev_i32_e32 v23, 31, v22
	v_mad_u64_u32 v[4:5], s[28:29], v2, 24, v[52:53]
	v_lshlrev_b64 v[6:7], 1, v[22:23]
	flat_store_dwordx2 v[4:5], v[6:7] offset:8
.LBB15_508:                             ;   in Loop: Header=BB15_491 Depth=2
	s_or_b64 exec, exec, s[24:25]
	v_and_b32_e32 v4, 0x100, v28
	v_cmp_ne_u32_e32 vcc, 0, v4
	s_mov_b64 s[24:25], -1
                                        ; implicit-def: $vgpr4_vgpr5
	s_and_saveexec_b64 s[28:29], vcc
	s_cbranch_execz .LBB15_512
; %bb.509:                              ;   in Loop: Header=BB15_491 Depth=2
	v_mad_u64_u32 v[6:7], s[24:25], v2, 24, v[52:53]
	v_mov_b32_e32 v4, v7
	v_mad_u64_u32 v[4:5], s[24:25], v3, 24, v[4:5]
	v_mov_b32_e32 v7, v4
	flat_load_dword v4, v[6:7]
	s_waitcnt vmcnt(0) lgkmcnt(0)
	v_cmp_ne_u32_e32 vcc, 1, v4
	v_cmp_eq_u32_e64 s[24:25], 1, v4
                                        ; implicit-def: $vgpr4_vgpr5
	s_and_saveexec_b64 s[60:61], s[24:25]
	s_cbranch_execz .LBB15_511
; %bb.510:                              ;   in Loop: Header=BB15_491 Depth=2
	flat_load_dword v4, v[6:7] offset:4 sc0 sc1
	s_waitcnt vmcnt(0) lgkmcnt(0)
	v_ashrrev_i32_e32 v5, 31, v4
	v_lshrrev_b64 v[4:5], 1, v[4:5]
.LBB15_511:                             ;   in Loop: Header=BB15_491 Depth=2
	s_or_b64 exec, exec, s[60:61]
	s_orn2_b64 s[24:25], vcc, exec
.LBB15_512:                             ;   in Loop: Header=BB15_491 Depth=2
	s_or_b64 exec, exec, s[28:29]
	s_and_saveexec_b64 s[28:29], s[24:25]
; %bb.513:                              ;   in Loop: Header=BB15_491 Depth=2
	v_mul_lo_u32 v6, v3, v40
	v_mul_lo_u32 v7, v2, v39
	v_mad_u64_u32 v[4:5], s[24:25], v2, v40, 0
	v_add3_u32 v5, v5, v7, v6
; %bb.514:                              ;   in Loop: Header=BB15_491 Depth=2
	s_or_b64 exec, exec, s[28:29]
	v_and_b32_e32 v2, 0x2000, v28
	v_lshl_add_u64 v[4:5], v[4:5], 1, v[48:49]
	v_cmp_ne_u32_e32 vcc, 0, v2
	s_trap 2
	ds_write_b64 v0, v[4:5]
	s_and_saveexec_b64 s[24:25], vcc
	s_cbranch_execz .LBB15_516
; %bb.515:                              ;   in Loop: Header=BB15_491 Depth=2
	ds_read_b64 v[4:5], v0 offset:584
	s_waitcnt lgkmcnt(0)
	v_lshl_add_u64 v[4:5], v[4:5], 0, 1
	ds_write_b64 v0, v[4:5] offset:584
.LBB15_516:                             ;   in Loop: Header=BB15_491 Depth=2
	s_or_b64 exec, exec, s[24:25]
	v_lshl_add_u64 v[44:45], v[44:45], 0, 2
.LBB15_517:                             ;   in Loop: Header=BB15_491 Depth=2
	s_or_b64 exec, exec, s[26:27]
	s_and_saveexec_b64 s[24:25], s[4:5]
	s_cbranch_execz .LBB15_536
; %bb.518:                              ;   in Loop: Header=BB15_491 Depth=2
	s_and_saveexec_b64 s[26:27], s[38:39]
	s_xor_b64 s[26:27], exec, s[26:27]
	s_cbranch_execz .LBB15_533
; %bb.519:                              ;   in Loop: Header=BB15_491 Depth=2
	s_and_saveexec_b64 s[28:29], s[12:13]
	s_cbranch_execz .LBB15_532
; %bb.520:                              ;   in Loop: Header=BB15_491 Depth=2
	s_mov_b64 s[62:63], exec
	v_mbcnt_lo_u32_b32 v2, s62, 0
	v_mbcnt_hi_u32_b32 v2, s63, v2
	v_cmp_eq_u32_e32 vcc, 0, v2
	s_waitcnt lgkmcnt(0)
	s_and_saveexec_b64 s[60:61], vcc
	s_cbranch_execz .LBB15_522
; %bb.521:                              ;   in Loop: Header=BB15_491 Depth=2
	s_bcnt1_i32_b64 vcc_lo, s[62:63]
	v_mov_b32_e32 v2, vcc_lo
	ds_add_u64 v0, v[2:3]
	s_trap 2
.LBB15_522:                             ;   in Loop: Header=BB15_491 Depth=2
	s_or_b64 exec, exec, s[60:61]
	s_trap 2
	ds_read_b64 v[4:5], v0
	v_lshl_add_u64 v[54:55], v[54:55], 0, v[36:37]
	s_waitcnt lgkmcnt(0)
	v_cmp_lt_u64_e32 vcc, v[4:5], v[54:55]
	s_and_saveexec_b64 s[60:61], vcc
	s_cbranch_execz .LBB15_531
; %bb.523:                              ;   in Loop: Header=BB15_491 Depth=2
	s_mov_b32 s96, 0
	s_mov_b64 s[62:63], 0
                                        ; implicit-def: $sgpr64_sgpr65
                                        ; implicit-def: $sgpr66_sgpr67
	s_branch .LBB15_525
.LBB15_524:                             ;   in Loop: Header=BB15_525 Depth=3
	s_or_b64 exec, exec, s[70:71]
	s_and_b64 vcc, exec, vcc
	s_or_b64 s[62:63], vcc, s[62:63]
	s_andn2_b64 vcc, s[64:65], exec
	s_and_b64 s[64:65], s[66:67], exec
	s_or_b64 s[64:65], vcc, s[64:65]
	s_andn2_b64 exec, exec, s[62:63]
	s_cbranch_execz .LBB15_529
.LBB15_525:                             ;   Parent Loop BB15_47 Depth=1
                                        ;     Parent Loop BB15_491 Depth=2
                                        ; =>    This Inner Loop Header: Depth=3
	s_add_i32 s96, s96, 1
	s_cmpk_lg_i32 s96, 0x2710
	s_cselect_b64 s[68:69], -1, 0
	s_and_b64 vcc, exec, s[68:69]
                                        ; implicit-def: $sgpr70_sgpr71
	s_cbranch_vccnz .LBB15_527
; %bb.526:                              ;   in Loop: Header=BB15_525 Depth=3
	s_trap 2
	ds_read_b64 v[4:5], v0
	s_andn2_b64 s[68:69], s[68:69], exec
	s_mov_b32 s96, 0
	s_mov_b64 s[70:71], -1
	s_waitcnt vmcnt(0) lgkmcnt(0)
	flat_load_dword v2, v[4:5] sc0 sc1
	s_waitcnt vmcnt(0) lgkmcnt(0)
	buffer_inv sc0 sc1
	v_cmp_eq_u32_e32 vcc, 0, v2
	s_and_b64 vcc, vcc, exec
	s_or_b64 s[68:69], s[68:69], vcc
.LBB15_527:                             ;   in Loop: Header=BB15_525 Depth=3
	s_andn2_b64 s[66:67], s[66:67], exec
	s_and_b64 s[70:71], s[70:71], exec
	s_mov_b64 vcc, -1
	s_or_b64 s[66:67], s[66:67], s[70:71]
	s_and_saveexec_b64 s[70:71], s[68:69]
	s_cbranch_execz .LBB15_524
; %bb.528:                              ;   in Loop: Header=BB15_525 Depth=3
	s_sleep 1
	s_trap 2
	ds_read_b64 v[4:5], v0
	s_andn2_b64 s[66:67], s[66:67], exec
	s_waitcnt lgkmcnt(0)
	v_cmp_ge_u64_e32 vcc, v[4:5], v[54:55]
	s_orn2_b64 vcc, vcc, exec
	s_branch .LBB15_524
.LBB15_529:                             ;   in Loop: Header=BB15_491 Depth=2
	s_or_b64 exec, exec, s[62:63]
	s_and_saveexec_b64 vcc, s[64:65]
	s_xor_b64 vcc, exec, vcc
	s_cbranch_execz .LBB15_531
; %bb.530:                              ;   in Loop: Header=BB15_491 Depth=2
	ds_write_b32 v0, v59
	s_trap 2
.LBB15_531:                             ;   in Loop: Header=BB15_491 Depth=2
	s_or_b64 exec, exec, s[60:61]
	;;#ASMSTART
	s_wakeup
	;;#ASMEND
.LBB15_532:                             ;   in Loop: Header=BB15_491 Depth=2
	s_or_b64 exec, exec, s[28:29]
.LBB15_533:                             ;   in Loop: Header=BB15_491 Depth=2
	s_andn2_saveexec_b64 s[26:27], s[26:27]
	s_cbranch_execz .LBB15_535
; %bb.534:                              ;   in Loop: Header=BB15_491 Depth=2
	s_waitcnt lgkmcnt(0)
	s_barrier
.LBB15_535:                             ;   in Loop: Header=BB15_491 Depth=2
	s_or_b64 exec, exec, s[26:27]
.LBB15_536:                             ;   in Loop: Header=BB15_491 Depth=2
	s_or_b64 exec, exec, s[24:25]
	s_trap 2
	ds_read_b32 v4, v0
	v_and_b32_e32 v2, 0x4000, v28
	v_cmp_ne_u32_e32 vcc, 0, v2
	s_xor_b64 s[24:25], s[2:3], -1
	s_and_b64 s[26:27], s[24:25], vcc
	s_and_saveexec_b64 s[24:25], s[26:27]
	s_cbranch_execz .LBB15_555
; %bb.537:                              ;   in Loop: Header=BB15_491 Depth=2
	s_and_saveexec_b64 s[26:27], s[38:39]
	s_xor_b64 s[26:27], exec, s[26:27]
	s_cbranch_execz .LBB15_552
; %bb.538:                              ;   in Loop: Header=BB15_491 Depth=2
	s_and_saveexec_b64 s[28:29], s[12:13]
	s_cbranch_execz .LBB15_551
; %bb.539:                              ;   in Loop: Header=BB15_491 Depth=2
	s_mov_b64 s[62:63], exec
	v_mbcnt_lo_u32_b32 v2, s62, 0
	v_mbcnt_hi_u32_b32 v2, s63, v2
	v_cmp_eq_u32_e32 vcc, 0, v2
	s_waitcnt lgkmcnt(0)
	s_and_saveexec_b64 s[60:61], vcc
	s_cbranch_execz .LBB15_541
; %bb.540:                              ;   in Loop: Header=BB15_491 Depth=2
	s_bcnt1_i32_b64 vcc_lo, s[62:63]
	v_mov_b32_e32 v2, vcc_lo
	ds_add_u64 v0, v[2:3]
	s_trap 2
.LBB15_541:                             ;   in Loop: Header=BB15_491 Depth=2
	s_or_b64 exec, exec, s[60:61]
	s_trap 2
	ds_read_b64 v[6:7], v0
	v_lshl_add_u64 v[54:55], v[54:55], 0, v[36:37]
	s_waitcnt lgkmcnt(0)
	v_cmp_lt_u64_e32 vcc, v[6:7], v[54:55]
	s_and_saveexec_b64 s[60:61], vcc
	s_cbranch_execz .LBB15_550
; %bb.542:                              ;   in Loop: Header=BB15_491 Depth=2
	s_mov_b32 s96, 0
	s_mov_b64 s[62:63], 0
                                        ; implicit-def: $sgpr64_sgpr65
                                        ; implicit-def: $sgpr66_sgpr67
	s_branch .LBB15_544
.LBB15_543:                             ;   in Loop: Header=BB15_544 Depth=3
	s_or_b64 exec, exec, s[70:71]
	s_and_b64 vcc, exec, vcc
	s_or_b64 s[62:63], vcc, s[62:63]
	s_andn2_b64 vcc, s[64:65], exec
	s_and_b64 s[64:65], s[66:67], exec
	s_or_b64 s[64:65], vcc, s[64:65]
	s_andn2_b64 exec, exec, s[62:63]
	s_cbranch_execz .LBB15_548
.LBB15_544:                             ;   Parent Loop BB15_47 Depth=1
                                        ;     Parent Loop BB15_491 Depth=2
                                        ; =>    This Inner Loop Header: Depth=3
	s_add_i32 s96, s96, 1
	s_cmpk_lg_i32 s96, 0x2710
	s_cselect_b64 s[68:69], -1, 0
	s_and_b64 vcc, exec, s[68:69]
                                        ; implicit-def: $sgpr70_sgpr71
	s_cbranch_vccnz .LBB15_546
; %bb.545:                              ;   in Loop: Header=BB15_544 Depth=3
	s_trap 2
	ds_read_b64 v[6:7], v0
	s_andn2_b64 s[68:69], s[68:69], exec
	s_mov_b32 s96, 0
	s_mov_b64 s[70:71], -1
	s_waitcnt vmcnt(0) lgkmcnt(0)
	flat_load_dword v2, v[6:7] sc0 sc1
	s_waitcnt vmcnt(0) lgkmcnt(0)
	buffer_inv sc0 sc1
	v_cmp_eq_u32_e32 vcc, 0, v2
	s_and_b64 vcc, vcc, exec
	s_or_b64 s[68:69], s[68:69], vcc
.LBB15_546:                             ;   in Loop: Header=BB15_544 Depth=3
	s_andn2_b64 s[66:67], s[66:67], exec
	s_and_b64 s[70:71], s[70:71], exec
	s_mov_b64 vcc, -1
	s_or_b64 s[66:67], s[66:67], s[70:71]
	s_and_saveexec_b64 s[70:71], s[68:69]
	s_cbranch_execz .LBB15_543
; %bb.547:                              ;   in Loop: Header=BB15_544 Depth=3
	s_sleep 1
	s_trap 2
	ds_read_b64 v[6:7], v0
	s_andn2_b64 s[66:67], s[66:67], exec
	s_waitcnt lgkmcnt(0)
	v_cmp_ge_u64_e32 vcc, v[6:7], v[54:55]
	s_orn2_b64 vcc, vcc, exec
	s_branch .LBB15_543
.LBB15_548:                             ;   in Loop: Header=BB15_491 Depth=2
	s_or_b64 exec, exec, s[62:63]
	s_and_saveexec_b64 vcc, s[64:65]
	s_xor_b64 vcc, exec, vcc
	s_cbranch_execz .LBB15_550
; %bb.549:                              ;   in Loop: Header=BB15_491 Depth=2
	ds_write_b32 v0, v59
	s_trap 2
.LBB15_550:                             ;   in Loop: Header=BB15_491 Depth=2
	s_or_b64 exec, exec, s[60:61]
	;;#ASMSTART
	s_wakeup
	;;#ASMEND
.LBB15_551:                             ;   in Loop: Header=BB15_491 Depth=2
	s_or_b64 exec, exec, s[28:29]
.LBB15_552:                             ;   in Loop: Header=BB15_491 Depth=2
	s_andn2_saveexec_b64 s[26:27], s[26:27]
	s_cbranch_execz .LBB15_554
; %bb.553:                              ;   in Loop: Header=BB15_491 Depth=2
	s_waitcnt lgkmcnt(0)
	s_barrier
.LBB15_554:                             ;   in Loop: Header=BB15_491 Depth=2
	s_or_b64 exec, exec, s[26:27]
.LBB15_555:                             ;   in Loop: Header=BB15_491 Depth=2
	s_or_b64 exec, exec, s[24:25]
	s_trap 2
	ds_read_b64 v[6:7], v0
	v_mov_b32_e32 v47, 0
	s_waitcnt lgkmcnt(0)
	v_readfirstlane_b32 s24, v6
	v_readfirstlane_b32 s25, v7
	s_cmp_eq_u64 s[24:25], 0
	s_cselect_b64 s[24:25], -1, 0
	s_or_b64 s[24:25], s[24:25], s[24:25]
	s_and_b64 vcc, exec, s[24:25]
	s_cbranch_vccnz .LBB15_564
; %bb.556:                              ;   in Loop: Header=BB15_491 Depth=2
	s_trap 2
	ds_read_b64 v[6:7], v0
	v_cmp_eq_u32_e32 vcc, 0, v4
	s_nop 1
	v_cndmask_b32_e32 v47, 0, v22, vcc
	s_waitcnt lgkmcnt(0)
	v_cmp_ne_u64_e32 vcc, 0, v[6:7]
	v_lshlrev_b32_e32 v23, 1, v47
	s_cbranch_vccz .LBB15_576
; %bb.557:                              ;   in Loop: Header=BB15_491 Depth=2
	s_mov_b64 s[26:27], -1
	s_and_saveexec_b64 s[24:25], s[18:19]
	s_cbranch_execz .LBB15_559
; %bb.558:                              ;   in Loop: Header=BB15_491 Depth=2
	ds_read_b32 v4, v0 offset:720
	s_waitcnt lgkmcnt(0)
	v_and_b32_e32 v4, 15, v4
	v_cmp_eq_u32_e32 vcc, 0, v4
	s_orn2_b64 s[26:27], vcc, exec
.LBB15_559:                             ;   in Loop: Header=BB15_491 Depth=2
	s_or_b64 exec, exec, s[24:25]
	s_and_saveexec_b64 s[24:25], s[18:19]
	s_cbranch_execz .LBB15_561
; %bb.560:                              ;   in Loop: Header=BB15_491 Depth=2
	ds_read_b32 v4, v0 offset:784
	s_waitcnt lgkmcnt(0)
	v_and_b32_e32 v4, 15, v4
	v_cmp_eq_u32_e32 vcc, 0, v4
	s_and_b64 s[28:29], s[26:27], vcc
	s_andn2_b64 s[26:27], s[26:27], exec
	s_and_b64 s[28:29], s[28:29], exec
	s_or_b64 s[26:27], s[26:27], s[28:29]
.LBB15_561:                             ;   in Loop: Header=BB15_491 Depth=2
	s_or_b64 exec, exec, s[24:25]
	s_xor_b64 s[26:27], s[26:27], -1
	v_cndmask_b32_e64 v4, 0, 1, s[26:27]
	;;#ASMSTART
	;;#ASMEND
	s_mov_b64 s[24:25], -1
	v_cmp_ne_u32_e32 vcc, 0, v4
	v_mov_b32_e32 v12, 0
	v_mov_b32_e32 v13, v23
	;; [unrolled: 1-line block ×4, first 2 shown]
	s_cbranch_vccz .LBB15_577
; %bb.562:                              ;   in Loop: Header=BB15_491 Depth=2
	s_and_saveexec_b64 s[28:29], s[24:25]
	s_cbranch_execnz .LBB15_592
.LBB15_563:                             ;   in Loop: Header=BB15_491 Depth=2
	s_or_b64 exec, exec, s[28:29]
.LBB15_564:                             ;   in Loop: Header=BB15_491 Depth=2
	s_and_saveexec_b64 s[24:25], s[4:5]
	s_cbranch_execz .LBB15_610
.LBB15_565:                             ;   in Loop: Header=BB15_491 Depth=2
	s_and_saveexec_b64 s[26:27], s[38:39]
	s_xor_b64 s[26:27], exec, s[26:27]
	s_cbranch_execz .LBB15_640
; %bb.566:                              ;   in Loop: Header=BB15_491 Depth=2
	s_and_saveexec_b64 s[28:29], s[12:13]
	s_cbranch_execz .LBB15_639
; %bb.567:                              ;   in Loop: Header=BB15_491 Depth=2
	s_mov_b64 s[62:63], exec
	v_mbcnt_lo_u32_b32 v2, s62, 0
	v_mbcnt_hi_u32_b32 v2, s63, v2
	v_cmp_eq_u32_e32 vcc, 0, v2
	s_waitcnt lgkmcnt(0)
	s_and_saveexec_b64 s[60:61], vcc
	s_cbranch_execz .LBB15_569
; %bb.568:                              ;   in Loop: Header=BB15_491 Depth=2
	s_bcnt1_i32_b64 vcc_lo, s[62:63]
	v_mov_b32_e32 v2, vcc_lo
	ds_add_u64 v0, v[2:3]
	s_trap 2
.LBB15_569:                             ;   in Loop: Header=BB15_491 Depth=2
	s_or_b64 exec, exec, s[60:61]
	s_trap 2
	ds_read_b64 v[4:5], v0
	v_lshl_add_u64 v[54:55], v[54:55], 0, v[36:37]
	s_waitcnt lgkmcnt(0)
	v_cmp_lt_u64_e32 vcc, v[4:5], v[54:55]
	s_and_saveexec_b64 s[60:61], vcc
	s_cbranch_execz .LBB15_638
; %bb.570:                              ;   in Loop: Header=BB15_491 Depth=2
	s_mov_b32 s96, 0
	s_mov_b64 s[62:63], 0
                                        ; implicit-def: $sgpr64_sgpr65
                                        ; implicit-def: $sgpr66_sgpr67
	s_branch .LBB15_572
.LBB15_571:                             ;   in Loop: Header=BB15_572 Depth=3
	s_or_b64 exec, exec, s[70:71]
	s_and_b64 vcc, exec, vcc
	s_or_b64 s[62:63], vcc, s[62:63]
	s_andn2_b64 vcc, s[64:65], exec
	s_and_b64 s[64:65], s[66:67], exec
	s_or_b64 s[64:65], vcc, s[64:65]
	s_andn2_b64 exec, exec, s[62:63]
	s_cbranch_execz .LBB15_636
.LBB15_572:                             ;   Parent Loop BB15_47 Depth=1
                                        ;     Parent Loop BB15_491 Depth=2
                                        ; =>    This Inner Loop Header: Depth=3
	s_add_i32 s96, s96, 1
	s_cmpk_lg_i32 s96, 0x2710
	s_cselect_b64 s[68:69], -1, 0
	s_and_b64 vcc, exec, s[68:69]
                                        ; implicit-def: $sgpr70_sgpr71
	s_cbranch_vccnz .LBB15_574
; %bb.573:                              ;   in Loop: Header=BB15_572 Depth=3
	s_trap 2
	ds_read_b64 v[4:5], v0
	s_andn2_b64 s[68:69], s[68:69], exec
	s_mov_b32 s96, 0
	s_mov_b64 s[70:71], -1
	s_waitcnt vmcnt(0) lgkmcnt(0)
	flat_load_dword v2, v[4:5] sc0 sc1
	s_waitcnt vmcnt(0) lgkmcnt(0)
	buffer_inv sc0 sc1
	v_cmp_eq_u32_e32 vcc, 0, v2
	s_and_b64 vcc, vcc, exec
	s_or_b64 s[68:69], s[68:69], vcc
.LBB15_574:                             ;   in Loop: Header=BB15_572 Depth=3
	s_andn2_b64 s[66:67], s[66:67], exec
	s_and_b64 s[70:71], s[70:71], exec
	s_mov_b64 vcc, -1
	s_or_b64 s[66:67], s[66:67], s[70:71]
	s_and_saveexec_b64 s[70:71], s[68:69]
	s_cbranch_execz .LBB15_571
; %bb.575:                              ;   in Loop: Header=BB15_572 Depth=3
	s_sleep 1
	s_trap 2
	ds_read_b64 v[4:5], v0
	s_andn2_b64 s[66:67], s[66:67], exec
	s_waitcnt lgkmcnt(0)
	v_cmp_ge_u64_e32 vcc, v[4:5], v[54:55]
	s_orn2_b64 vcc, vcc, exec
	s_branch .LBB15_571
.LBB15_576:                             ;   in Loop: Header=BB15_491 Depth=2
	s_cbranch_execnz .LBB15_603
	s_branch .LBB15_564
.LBB15_577:                             ;   in Loop: Header=BB15_491 Depth=2
	v_ashrrev_i32_e32 v4, 31, v23
	v_lshrrev_b32_e32 v4, 20, v4
	v_add_u32_e32 v4, v23, v4
	v_ashrrev_i32_e32 v2, 12, v4
	v_mov_b32_e32 v61, v47
	v_sub_u32_e32 v47, v2, v38
	v_cmp_lt_i32_e32 vcc, 0, v47
	s_and_saveexec_b64 s[24:25], vcc
	s_cbranch_execz .LBB15_581
; %bb.578:                              ;   in Loop: Header=BB15_491 Depth=2
	s_trap 2
	ds_read_b128 v[4:7], v0
	v_accvgpr_read_b32 v8, a40
	v_accvgpr_write_b32 a12, v44
	v_accvgpr_read_b32 v9, a41
	v_accvgpr_write_b32 a3, v58
	v_accvgpr_write_b32 a22, v54
	;; [unrolled: 1-line block ×3, first 2 shown]
	s_waitcnt lgkmcnt(0)
	v_lshl_add_u64 v[44:45], v[4:5], 0, v[8:9]
	v_lshl_add_u64 v[4:5], v[6:7], 0, v[8:9]
	v_accvgpr_read_b32 v59, a43
	v_accvgpr_write_b32 a60, v2
	v_accvgpr_write_b32 a57, v23
	v_mov_b32_e32 v60, v22
	v_accvgpr_write_b32 a26, v29
	v_accvgpr_write_b32 a23, v55
	s_mov_b64 s[26:27], 0
	v_mov_b64_e32 v[6:7], v[44:45]
	v_mov_b64_e32 v[30:31], v[4:5]
	v_accvgpr_read_b32 v58, a42
	v_mov_b64_e32 v[0:1], v[36:37]
.LBB15_579:                             ;   Parent Loop BB15_47 Depth=1
                                        ;     Parent Loop BB15_491 Depth=2
                                        ; =>    This Inner Loop Header: Depth=3
	global_load_dwordx4 v[36:39], v[4:5], off nt
	global_load_dwordx4 v[48:51], v[44:45], off nt
	global_load_dwordx4 v[24:27], v[44:45], off offset:1024 nt
	global_load_dwordx4 v[32:35], v[4:5], off offset:1024 nt
	global_load_dwordx4 v[16:19], v[4:5], off offset:2048 nt
	global_load_dwordx4 v[20:23], v[44:45], off offset:2048 nt
	global_load_dwordx4 v[8:11], v[44:45], off offset:3072 nt
	global_load_dwordx4 v[12:15], v[4:5], off offset:3072 nt
	v_sub_u32_e32 v47, v47, v0
	v_cmp_gt_i32_e32 vcc, 1, v47
	v_lshl_add_u64 v[44:45], v[44:45], 0, v[58:59]
	v_lshl_add_u64 v[4:5], v[4:5], 0, v[58:59]
	s_or_b64 s[26:27], vcc, s[26:27]
	s_waitcnt vmcnt(0)
	v_mul_f16_e32 v52, v48, v36
	v_mul_f16_sdwa v36, v48, v36 dst_sel:WORD_1 dst_unused:UNUSED_PAD src0_sel:WORD_1 src1_sel:WORD_1
	v_mul_f16_e32 v48, v49, v37
	v_mul_f16_sdwa v37, v49, v37 dst_sel:WORD_1 dst_unused:UNUSED_PAD src0_sel:WORD_1 src1_sel:WORD_1
	;; [unrolled: 2-line block ×16, first 2 shown]
	v_or_b32_e32 v9, v37, v48
	v_or_b32_e32 v8, v36, v52
	;; [unrolled: 1-line block ×16, first 2 shown]
	global_store_dwordx4 v[6:7], v[8:11], off nt
	global_store_dwordx4 v[6:7], v[12:15], off offset:1024 nt
	global_store_dwordx4 v[6:7], v[16:19], off offset:2048 nt
	global_store_dwordx4 v[6:7], v[20:23], off offset:3072 nt
	global_store_dwordx4 v[30:31], v[8:11], off nt
	global_store_dwordx4 v[30:31], v[12:15], off offset:1024 nt
	global_store_dwordx4 v[30:31], v[16:19], off offset:2048 nt
	;; [unrolled: 1-line block ×3, first 2 shown]
	v_lshl_add_u64 v[6:7], v[6:7], 0, v[58:59]
	v_lshl_add_u64 v[30:31], v[30:31], 0, v[58:59]
	s_andn2_b64 exec, exec, s[26:27]
	s_cbranch_execnz .LBB15_579
; %bb.580:                              ;   in Loop: Header=BB15_491 Depth=2
	s_or_b64 exec, exec, s[26:27]
	scratch_load_dwordx2 v[20:21], off, s33 offset:172 ; 8-byte Folded Reload
	v_accvgpr_read_b32 v45, a13
	v_accvgpr_read_b32 v53, a15
	;; [unrolled: 1-line block ×10, first 2 shown]
	v_mov_b64_e32 v[36:37], v[0:1]
	v_accvgpr_read_b32 v0, a48
	v_accvgpr_read_b32 v44, a12
	;; [unrolled: 1-line block ×17, first 2 shown]
	v_mov_b32_e32 v59, 1
	v_accvgpr_read_b32 v29, a26
	v_accvgpr_read_b32 v25, a56
	v_mov_b32_e32 v22, v60
	v_accvgpr_read_b32 v23, a57
	v_accvgpr_read_b32 v2, a60
.LBB15_581:                             ;   in Loop: Header=BB15_491 Depth=2
	s_or_b64 exec, exec, s[24:25]
	v_lshlrev_b32_e32 v16, 12, v2
	v_cmp_ne_u32_e32 vcc, v23, v16
	s_mov_b64 s[24:25], 0
	v_mov_b32_e32 v12, 0
                                        ; implicit-def: $vgpr13
                                        ; implicit-def: $vgpr14
                                        ; implicit-def: $vgpr4
	s_and_saveexec_b64 s[60:61], vcc
	s_cbranch_execz .LBB15_591
; %bb.582:                              ;   in Loop: Header=BB15_491 Depth=2
	v_lshlrev_b32_e32 v4, 6, v47
	v_accvgpr_read_b32 v5, a33
	v_sub_u32_e32 v4, v5, v4
	v_ashrrev_i32_e32 v5, 31, v4
	v_lshrrev_b32_e32 v5, 26, v5
	v_add_u32_e32 v5, v4, v5
	v_sub_u32_e32 v2, v23, v16
	v_ashrrev_i32_e32 v6, 6, v5
	v_and_b32_e32 v5, 0xffffffc0, v5
	v_sub_u32_e32 v17, v4, v5
	v_ashrrev_i32_e32 v5, 31, v2
	v_lshrrev_b32_e32 v5, 22, v5
	v_add_u32_e32 v5, v2, v5
	v_and_b32_e32 v18, 0xfffffc00, v5
	v_lshlrev_b32_e32 v4, 4, v17
	s_waitcnt vmcnt(0)
	v_sub_u32_e32 v20, v2, v18
	v_lshl_add_u32 v4, v6, 10, v4
	v_ashrrev_i32_e32 v7, 10, v5
	v_cmp_lt_i32_e64 s[24:25], 15, v20
	v_sub_u32_e32 v21, v2, v4
	s_nop 0
	v_addc_co_u32_e64 v2, vcc, 0, v7, s[24:25]
	v_sub_u32_e32 v19, v2, v6
	v_cmp_lt_i32_e32 vcc, 15, v21
	s_and_saveexec_b64 s[62:63], vcc
	s_cbranch_execz .LBB15_588
; %bb.583:                              ;   in Loop: Header=BB15_491 Depth=2
	s_trap 2
	ds_read_b128 v[6:9], v0
	v_add_u32_e32 v10, v4, v16
	v_ashrrev_i32_e32 v11, 31, v10
	v_accvgpr_write_b32 a3, v23
	v_accvgpr_write_b32 a12, v22
	s_waitcnt lgkmcnt(0)
	v_lshl_add_u64 v[4:5], v[6:7], 0, v[10:11]
	v_lshl_add_u64 v[6:7], v[8:9], 0, v[10:11]
	s_mov_b64 s[64:65], 0
	v_mov_b64_e32 v[12:13], v[4:5]
	v_mov_b64_e32 v[14:15], v[6:7]
.LBB15_584:                             ;   Parent Loop BB15_47 Depth=1
                                        ;     Parent Loop BB15_491 Depth=2
                                        ; =>    This Loop Header: Depth=3
                                        ;         Child Loop BB15_585 Depth 4
	global_load_dwordx4 v[8:11], v[12:13], off nt
	global_load_dwordx4 v[22:25], v[14:15], off nt
	s_mov_b64 s[68:69], -1
	s_mov_b64 s[66:67], 0
	s_waitcnt vmcnt(0)
	v_mul_f16_e32 v2, v8, v22
	v_mul_f16_sdwa v8, v8, v22 dst_sel:WORD_1 dst_unused:UNUSED_PAD src0_sel:WORD_1 src1_sel:WORD_1
	v_mul_f16_e32 v22, v9, v23
	v_mul_f16_sdwa v9, v9, v23 dst_sel:WORD_1 dst_unused:UNUSED_PAD src0_sel:WORD_1 src1_sel:WORD_1
	;; [unrolled: 2-line block ×4, first 2 shown]
	v_or_b32_e32 v9, v9, v22
	v_or_b32_e32 v8, v8, v2
	;; [unrolled: 1-line block ×4, first 2 shown]
.LBB15_585:                             ;   Parent Loop BB15_47 Depth=1
                                        ;     Parent Loop BB15_491 Depth=2
                                        ;       Parent Loop BB15_584 Depth=3
                                        ; =>      This Inner Loop Header: Depth=4
	s_cmp_eq_u32 s66, 0
	s_cselect_b64 s[26:27], -1, 0
	s_cmp_eq_u32 s66, 1
	s_cselect_b64 s[28:29], -1, 0
	v_cndmask_b32_e64 v2, 0, 1, s[68:69]
	v_cndmask_b32_e64 v23, v5, v7, s[28:29]
	;; [unrolled: 1-line block ×3, first 2 shown]
	v_cmp_ne_u32_e32 vcc, 1, v2
	global_store_dwordx4 v[22:23], v[8:11], off nt
	v_lshl_add_u64 v[22:23], v[22:23], 0, s[40:41]
	s_mov_b64 s[68:69], 0
	s_mov_b64 s[66:67], 1
	s_and_b64 vcc, exec, vcc
	v_cndmask_b32_e64 v7, v7, v23, s[28:29]
	v_cndmask_b32_e64 v6, v6, v22, s[28:29]
	;; [unrolled: 1-line block ×4, first 2 shown]
	s_cbranch_vccz .LBB15_585
; %bb.586:                              ;   in Loop: Header=BB15_584 Depth=3
	v_sub_u32_e32 v21, v21, v29
	v_cmp_gt_i32_e32 vcc, 16, v21
	v_lshl_add_u64 v[12:13], v[12:13], 0, v[32:33]
	v_lshl_add_u64 v[14:15], v[14:15], 0, v[32:33]
	;; [unrolled: 1-line block ×4, first 2 shown]
	s_or_b64 s[64:65], vcc, s[64:65]
	v_sub_u32_e32 v19, v19, v36
	s_andn2_b64 exec, exec, s[64:65]
	s_cbranch_execnz .LBB15_584
; %bb.587:                              ;   in Loop: Header=BB15_491 Depth=2
	s_or_b64 exec, exec, s[64:65]
	v_accvgpr_read_b32 v0, a48
	v_accvgpr_read_b32 v1, a49
	;; [unrolled: 1-line block ×5, first 2 shown]
.LBB15_588:                             ;   in Loop: Header=BB15_491 Depth=2
	s_or_b64 exec, exec, s[62:63]
	v_and_b32_e32 v5, 14, v23
	v_cndmask_b32_e64 v13, v20, v5, s[24:25]
	v_cmp_ne_u32_e32 vcc, 0, v13
	s_mov_b64 s[26:27], 0
	v_mov_b32_e32 v12, 0
                                        ; implicit-def: $vgpr14
                                        ; implicit-def: $vgpr4
	s_and_saveexec_b64 s[28:29], vcc
	s_cbranch_execz .LBB15_590
; %bb.589:                              ;   in Loop: Header=BB15_491 Depth=2
	v_sub_u32_e32 v2, v20, v5
	v_cndmask_b32_e64 v2, 0, v2, s[24:25]
	v_cmp_lt_i32_e32 vcc, 0, v19
	v_add3_u32 v12, v18, v16, v2
	s_mov_b64 s[26:27], exec
	v_cndmask_b32_e32 v2, 0, v36, vcc
	v_sub_u32_e32 v2, v2, v19
	v_lshl_add_u32 v14, v2, 6, v17
	v_ashrrev_i32_e32 v2, 31, v14
	v_lshrrev_b32_e32 v2, 26, v2
	v_add_u32_e32 v2, v14, v2
	v_ashrrev_i32_e32 v4, 6, v2
.LBB15_590:                             ;   in Loop: Header=BB15_491 Depth=2
	s_or_b64 exec, exec, s[28:29]
	scratch_load_dwordx2 v[20:21], off, s33 offset:172 ; 8-byte Folded Reload
	v_accvgpr_read_b32 v18, a34
	s_and_b64 s[24:25], s[26:27], exec
	v_accvgpr_read_b32 v19, a35
.LBB15_591:                             ;   in Loop: Header=BB15_491 Depth=2
	s_or_b64 exec, exec, s[60:61]
	v_mov_b32_e32 v47, v61
	s_and_saveexec_b64 s[28:29], s[24:25]
	s_cbranch_execz .LBB15_563
.LBB15_592:                             ;   in Loop: Header=BB15_491 Depth=2
	v_ashrrev_i32_e32 v2, 31, v13
	v_lshrrev_b32_e32 v2, 21, v2
	v_add_u32_e32 v2, v13, v2
	v_ashrrev_i32_e32 v17, 11, v2
	v_sub_u32_e32 v15, v17, v4
	v_ashrrev_i32_e32 v2, 31, v14
	v_cmp_lt_i32_e32 vcc, 0, v15
	v_lshrrev_b32_e32 v16, 26, v2
	s_and_saveexec_b64 s[24:25], vcc
	s_cbranch_execz .LBB15_596
; %bb.593:                              ;   in Loop: Header=BB15_491 Depth=2
	v_add_u32_e32 v2, v14, v16
	s_trap 2
	v_and_b32_e32 v2, 0x7fffffc0, v2
	ds_read_b128 v[6:9], v0
	v_sub_u32_e32 v2, v14, v2
	v_lshlrev_b32_e32 v2, 1, v2
	v_lshlrev_b32_e32 v4, 11, v4
	v_add3_u32 v4, v2, v12, v4
	v_ashrrev_i32_e32 v5, 31, v4
	v_accvgpr_write_b32 a12, v54
	s_waitcnt lgkmcnt(0)
	v_lshl_add_u64 v[6:7], v[6:7], 0, v[4:5]
	v_lshl_add_u64 v[4:5], v[8:9], 0, v[4:5]
	v_accvgpr_read_b32 v61, a47
	v_accvgpr_write_b32 a23, v23
	v_accvgpr_write_b32 a22, v22
	;; [unrolled: 1-line block ×4, first 2 shown]
	s_mov_b64 s[26:27], 0
	v_mov_b64_e32 v[8:9], v[6:7]
	v_mov_b64_e32 v[10:11], v[4:5]
	;; [unrolled: 1-line block ×3, first 2 shown]
	v_accvgpr_read_b32 v60, a46
.LBB15_594:                             ;   Parent Loop BB15_47 Depth=1
                                        ;     Parent Loop BB15_491 Depth=2
                                        ; =>    This Inner Loop Header: Depth=3
	flat_load_ushort v2, v[6:7] nt
	flat_load_ushort v18, v[6:7] offset:128 nt
	flat_load_ushort v19, v[6:7] offset:256 nt
	s_waitcnt vmcnt(0)
	flat_load_ushort v20, v[6:7] offset:384 nt
	flat_load_ushort v21, v[6:7] offset:512 nt
	;; [unrolled: 1-line block ×13, first 2 shown]
	flat_load_ushort v34, v[4:5] nt
	flat_load_ushort v35, v[4:5] offset:128 nt
	flat_load_ushort v36, v[4:5] offset:256 nt
	;; [unrolled: 1-line block ×15, first 2 shown]
	v_sub_u32_e32 v15, v15, v0
	v_cmp_gt_i32_e32 vcc, 1, v15
	v_lshl_add_u64 v[6:7], v[6:7], 0, v[60:61]
	v_lshl_add_u64 v[4:5], v[4:5], 0, v[60:61]
	s_or_b64 s[26:27], vcc, s[26:27]
	s_waitcnt vmcnt(0) lgkmcnt(0)
	v_mul_f16_e32 v2, v2, v34
	v_mul_f16_e32 v18, v18, v35
	;; [unrolled: 1-line block ×16, first 2 shown]
	flat_store_short v[8:9], v2 nt
	flat_store_short v[8:9], v18 offset:128 nt
	flat_store_short v[8:9], v19 offset:256 nt
	;; [unrolled: 1-line block ×15, first 2 shown]
	flat_store_short v[10:11], v2 nt
	flat_store_short v[10:11], v18 offset:128 nt
	flat_store_short v[10:11], v19 offset:256 nt
	;; [unrolled: 1-line block ×15, first 2 shown]
	v_lshl_add_u64 v[8:9], v[8:9], 0, v[60:61]
	v_lshl_add_u64 v[10:11], v[10:11], 0, v[60:61]
	s_andn2_b64 exec, exec, s[26:27]
	s_cbranch_execnz .LBB15_594
; %bb.595:                              ;   in Loop: Header=BB15_491 Depth=2
	s_or_b64 exec, exec, s[26:27]
	scratch_load_dwordx2 v[20:21], off, s33 offset:172 ; 8-byte Folded Reload
	v_accvgpr_read_b32 v53, a15
	v_accvgpr_read_b32 v49, a19
	;; [unrolled: 1-line block ×9, first 2 shown]
	v_mov_b64_e32 v[36:37], v[0:1]
	v_accvgpr_read_b32 v0, a48
	v_accvgpr_read_b32 v52, a14
	;; [unrolled: 1-line block ×19, first 2 shown]
.LBB15_596:                             ;   in Loop: Header=BB15_491 Depth=2
	s_or_b64 exec, exec, s[24:25]
	v_lshlrev_b32_e32 v4, 11, v17
	v_cmp_ne_u32_e32 vcc, v13, v4
	s_and_saveexec_b64 s[60:61], vcc
	s_cbranch_execz .LBB15_602
; %bb.597:                              ;   in Loop: Header=BB15_491 Depth=2
	v_add_u32_e32 v2, v14, v16
	v_and_b32_e32 v2, 0xffffffc0, v2
	v_sub_u32_e32 v2, v14, v2
	v_lshlrev_b32_e32 v5, 6, v15
	v_sub_u32_e32 v2, v2, v5
	v_ashrrev_i32_e32 v5, 31, v2
	v_lshrrev_b32_e32 v5, 26, v5
	v_add_u32_e32 v5, v2, v5
	v_and_b32_e32 v6, 0x7fffffc0, v5
	v_sub_u32_e32 v2, v2, v6
	v_lshlrev_b32_e32 v5, 1, v5
	v_and_b32_e32 v5, 0xffffff80, v5
	v_lshlrev_b32_e32 v2, 1, v2
	v_add3_u32 v4, v5, v2, v4
	v_sub_u32_e32 v13, v13, v4
	v_cmp_lt_i32_e32 vcc, 1, v13
	s_and_b64 exec, exec, vcc
	s_cbranch_execz .LBB15_602
; %bb.598:                              ;   in Loop: Header=BB15_491 Depth=2
	s_trap 2
	ds_read_b128 v[6:9], v0
	v_add_u32_e32 v10, v4, v12
	v_ashrrev_i32_e32 v11, 31, v10
	s_mov_b64 s[62:63], 0
	s_waitcnt lgkmcnt(0)
	v_lshl_add_u64 v[4:5], v[6:7], 0, v[10:11]
	v_lshl_add_u64 v[6:7], v[8:9], 0, v[10:11]
	v_mov_b64_e32 v[8:9], v[4:5]
	v_mov_b64_e32 v[10:11], v[6:7]
.LBB15_599:                             ;   Parent Loop BB15_47 Depth=1
                                        ;     Parent Loop BB15_491 Depth=2
                                        ; =>    This Loop Header: Depth=3
                                        ;         Child Loop BB15_600 Depth 4
	flat_load_ushort v2, v[8:9] nt
	flat_load_ushort v12, v[10:11] nt
	s_mov_b64 s[66:67], -1
	s_mov_b64 s[64:65], 0
	s_waitcnt vmcnt(0) lgkmcnt(0)
	v_mul_f16_e32 v12, v2, v12
.LBB15_600:                             ;   Parent Loop BB15_47 Depth=1
                                        ;     Parent Loop BB15_491 Depth=2
                                        ;       Parent Loop BB15_599 Depth=3
                                        ; =>      This Inner Loop Header: Depth=4
	s_cmp_eq_u32 s64, 0
	s_cselect_b64 s[24:25], -1, 0
	s_cmp_eq_u32 s64, 1
	s_cselect_b64 s[26:27], -1, 0
	v_cndmask_b32_e64 v2, 0, 1, s[66:67]
	v_cndmask_b32_e64 v15, v5, v7, s[26:27]
	;; [unrolled: 1-line block ×3, first 2 shown]
	v_cmp_ne_u32_e32 vcc, 1, v2
	flat_store_short v[14:15], v12 nt
	v_lshl_add_u64 v[14:15], v[14:15], 0, s[42:43]
	s_mov_b64 s[66:67], 0
	s_mov_b64 s[64:65], 1
	s_and_b64 vcc, exec, vcc
	v_cndmask_b32_e64 v7, v7, v15, s[26:27]
	v_cndmask_b32_e64 v6, v6, v14, s[26:27]
	;; [unrolled: 1-line block ×4, first 2 shown]
	s_cbranch_vccz .LBB15_600
; %bb.601:                              ;   in Loop: Header=BB15_599 Depth=3
	v_sub_u32_e32 v13, v13, v41
	v_cmp_gt_i32_e32 vcc, 2, v13
	v_lshl_add_u64 v[8:9], v[8:9], 0, v[34:35]
	v_lshl_add_u64 v[10:11], v[10:11], 0, v[34:35]
	;; [unrolled: 1-line block ×3, first 2 shown]
	s_or_b64 s[62:63], vcc, s[62:63]
	v_lshl_add_u64 v[6:7], v[6:7], 0, v[30:31]
	s_andn2_b64 exec, exec, s[62:63]
	s_cbranch_execnz .LBB15_599
.LBB15_602:                             ;   in Loop: Header=BB15_491 Depth=2
	s_or_b64 exec, exec, s[60:61]
	s_or_b64 exec, exec, s[28:29]
	s_branch .LBB15_564
.LBB15_603:                             ;   in Loop: Header=BB15_491 Depth=2
	s_mov_b64 s[24:25], -1
	s_and_saveexec_b64 s[26:27], s[18:19]
	s_cbranch_execz .LBB15_605
; %bb.604:                              ;   in Loop: Header=BB15_491 Depth=2
	ds_read_b32 v4, v0 offset:720
	s_waitcnt lgkmcnt(0)
	v_and_b32_e32 v4, 15, v4
	v_cmp_eq_u32_e32 vcc, 0, v4
	s_orn2_b64 s[24:25], vcc, exec
.LBB15_605:                             ;   in Loop: Header=BB15_491 Depth=2
	s_or_b64 exec, exec, s[26:27]
	s_and_saveexec_b64 s[26:27], s[14:15]
	s_cbranch_execz .LBB15_607
; %bb.606:                              ;   in Loop: Header=BB15_491 Depth=2
	ds_read_b32 v4, v0 offset:784
	s_waitcnt lgkmcnt(0)
	v_and_b32_e32 v4, 15, v4
	v_cmp_eq_u32_e32 vcc, 0, v4
	s_and_b64 s[28:29], s[24:25], vcc
	s_andn2_b64 s[24:25], s[24:25], exec
	s_and_b64 s[28:29], s[28:29], exec
	s_or_b64 s[24:25], s[24:25], s[28:29]
.LBB15_607:                             ;   in Loop: Header=BB15_491 Depth=2
	s_or_b64 exec, exec, s[26:27]
	s_xor_b64 s[24:25], s[24:25], -1
	v_cndmask_b32_e64 v4, 0, 1, s[24:25]
	;;#ASMSTART
	;;#ASMEND
	s_mov_b64 s[28:29], -1
	v_cmp_ne_u32_e32 vcc, 0, v4
	v_mov_b32_e32 v4, 0
	s_cbranch_vccz .LBB15_614
; %bb.608:                              ;   in Loop: Header=BB15_491 Depth=2
	v_mov_b32_e32 v5, v58
	v_mov_b32_e32 v6, v38
	s_and_saveexec_b64 s[24:25], s[28:29]
	s_cbranch_execnz .LBB15_627
.LBB15_609:                             ;   in Loop: Header=BB15_491 Depth=2
	s_or_b64 exec, exec, s[24:25]
	s_and_saveexec_b64 s[24:25], s[4:5]
	s_cbranch_execnz .LBB15_565
.LBB15_610:                             ;   in Loop: Header=BB15_491 Depth=2
	s_or_b64 exec, exec, s[24:25]
                                        ; implicit-def: $vgpr2
	s_and_saveexec_b64 s[24:25], s[20:21]
	s_xor_b64 s[26:27], exec, s[24:25]
	s_cbranch_execz .LBB15_643
.LBB15_611:                             ;   in Loop: Header=BB15_491 Depth=2
	v_and_b32_e32 v4, 16, v28
	v_cmp_lt_i32_e32 vcc, 0, v47
	v_cmp_ne_u32_e64 s[24:25], 0, v4
	v_and_b32_e32 v2, 16, v28
	s_and_b64 s[28:29], s[24:25], vcc
	s_and_saveexec_b64 s[24:25], s[28:29]
	s_cbranch_execz .LBB15_613
; %bb.612:                              ;   in Loop: Header=BB15_491 Depth=2
	v_mov_b32_e32 v2, 1
	buffer_wbl2 sc1
	s_waitcnt vmcnt(0) lgkmcnt(0)
	buffer_inv sc1
.LBB15_613:                             ;   in Loop: Header=BB15_491 Depth=2
	s_or_b64 exec, exec, s[24:25]
	s_andn2_saveexec_b64 s[24:25], s[26:27]
	s_cbranch_execz .LBB15_662
	s_branch .LBB15_644
.LBB15_614:                             ;   in Loop: Header=BB15_491 Depth=2
	v_ashrrev_i32_e32 v4, 31, v23
	v_lshrrev_b32_e32 v4, 20, v4
	v_add_u32_e32 v4, v23, v4
	v_accvgpr_write_b32 a12, v44
	v_ashrrev_i32_e32 v2, 12, v4
	v_accvgpr_write_b32 a13, v45
	v_sub_u32_e32 v44, v2, v38
	v_cmp_lt_i32_e32 vcc, 0, v44
	s_and_saveexec_b64 s[24:25], vcc
	s_cbranch_execz .LBB15_618
; %bb.615:                              ;   in Loop: Header=BB15_491 Depth=2
	v_mov_b32_e32 v0, v58
	s_trap 2
	ds_read_b128 v[4:7], v0
	ds_read_b64 v[8:9], v0
	v_accvgpr_read_b32 v10, a40
	v_accvgpr_write_b32 a22, v54
	v_accvgpr_read_b32 v11, a41
	v_accvgpr_read_b32 v59, a43
	v_accvgpr_write_b32 a57, v2
	v_accvgpr_write_b32 a26, v23
	;; [unrolled: 1-line block ×3, first 2 shown]
	v_mov_b32_e32 v2, v22
	v_accvgpr_write_b32 a23, v55
	s_waitcnt lgkmcnt(0)
	v_lshl_add_u64 v[4:5], v[4:5], 0, v[10:11]
	v_lshl_add_u64 v[6:7], v[6:7], 0, v[10:11]
	;; [unrolled: 1-line block ×3, first 2 shown]
	s_mov_b64 s[26:27], 0
	v_accvgpr_read_b32 v58, a42
	v_mov_b64_e32 v[60:61], v[36:37]
.LBB15_616:                             ;   Parent Loop BB15_47 Depth=1
                                        ;     Parent Loop BB15_491 Depth=2
                                        ; =>    This Inner Loop Header: Depth=3
	global_load_dwordx4 v[36:39], v[6:7], off nt
	global_load_dwordx4 v[48:51], v[4:5], off nt
	global_load_dwordx4 v[24:27], v[4:5], off offset:1024 nt
	global_load_dwordx4 v[32:35], v[6:7], off offset:1024 nt
	;; [unrolled: 1-line block ×6, first 2 shown]
	v_sub_u32_e32 v44, v44, v60
	v_cmp_gt_i32_e32 vcc, 1, v44
	v_lshl_add_u64 v[4:5], v[4:5], 0, v[58:59]
	v_lshl_add_u64 v[6:7], v[6:7], 0, v[58:59]
	s_or_b64 s[26:27], vcc, s[26:27]
	s_waitcnt vmcnt(0)
	v_mul_f16_e32 v52, v48, v36
	v_mul_f16_sdwa v36, v48, v36 dst_sel:WORD_1 dst_unused:UNUSED_PAD src0_sel:WORD_1 src1_sel:WORD_1
	v_mul_f16_e32 v48, v49, v37
	v_mul_f16_sdwa v37, v49, v37 dst_sel:WORD_1 dst_unused:UNUSED_PAD src0_sel:WORD_1 src1_sel:WORD_1
	;; [unrolled: 2-line block ×16, first 2 shown]
	v_or_b32_e32 v9, v37, v48
	v_or_b32_e32 v8, v36, v52
	;; [unrolled: 1-line block ×16, first 2 shown]
	global_store_dwordx4 v[30:31], v[8:11], off nt
	global_store_dwordx4 v[30:31], v[12:15], off offset:1024 nt
	global_store_dwordx4 v[30:31], v[16:19], off offset:2048 nt
	;; [unrolled: 1-line block ×3, first 2 shown]
	v_lshl_add_u64 v[30:31], v[30:31], 0, v[58:59]
	s_andn2_b64 exec, exec, s[26:27]
	s_cbranch_execnz .LBB15_616
; %bb.617:                              ;   in Loop: Header=BB15_491 Depth=2
	s_or_b64 exec, exec, s[26:27]
	scratch_load_dwordx2 v[20:21], off, s33 offset:172 ; 8-byte Folded Reload
	v_accvgpr_read_b32 v53, a15
	v_accvgpr_read_b32 v49, a19
	v_accvgpr_read_b32 v51, a21
	v_accvgpr_read_b32 v55, a23
	v_accvgpr_read_b32 v26, a28
	v_accvgpr_read_b32 v30, a30
	v_accvgpr_read_b32 v18, a34
	v_accvgpr_read_b32 v32, a36
	v_accvgpr_read_b32 v34, a38
	v_mov_b32_e32 v58, v0
	v_accvgpr_read_b32 v0, a48
	v_accvgpr_read_b32 v52, a14
	;; [unrolled: 1-line block ×14, first 2 shown]
	v_mov_b64_e32 v[36:37], v[60:61]
	v_accvgpr_read_b32 v1, a49
	v_mov_b32_e32 v59, 1
	v_accvgpr_read_b32 v25, a56
	v_mov_b32_e32 v22, v2
	v_accvgpr_read_b32 v47, a3
	v_accvgpr_read_b32 v23, a26
	;; [unrolled: 1-line block ×3, first 2 shown]
.LBB15_618:                             ;   in Loop: Header=BB15_491 Depth=2
	s_or_b64 exec, exec, s[24:25]
	v_lshlrev_b32_e32 v10, 12, v2
	v_cmp_ne_u32_e32 vcc, v23, v10
	s_mov_b64 s[28:29], 0
	v_mov_b32_e32 v4, 0
                                        ; implicit-def: $vgpr5
                                        ; implicit-def: $vgpr6
	s_and_saveexec_b64 s[26:27], vcc
	s_cbranch_execz .LBB15_626
; %bb.619:                              ;   in Loop: Header=BB15_491 Depth=2
	v_lshlrev_b32_e32 v4, 6, v44
	v_accvgpr_read_b32 v2, a33
	v_sub_u32_e32 v4, v2, v4
	v_ashrrev_i32_e32 v6, 31, v4
	v_lshrrev_b32_e32 v6, 26, v6
	v_add_u32_e32 v6, v4, v6
	v_sub_u32_e32 v5, v23, v10
	v_ashrrev_i32_e32 v7, 6, v6
	v_and_b32_e32 v6, 0xffffffc0, v6
	v_sub_u32_e32 v11, v4, v6
	v_ashrrev_i32_e32 v6, 31, v5
	v_lshrrev_b32_e32 v6, 22, v6
	v_add_u32_e32 v6, v5, v6
	v_and_b32_e32 v12, 0xfffffc00, v6
	v_lshlrev_b32_e32 v4, 4, v11
	v_sub_u32_e32 v14, v5, v12
	v_lshl_add_u32 v4, v7, 10, v4
	v_ashrrev_i32_e32 v8, 10, v6
	v_cmp_lt_i32_e32 vcc, 15, v14
	v_sub_u32_e32 v15, v5, v4
	s_nop 0
	v_addc_co_u32_e64 v5, s[24:25], 0, v8, vcc
	v_sub_u32_e32 v13, v5, v7
	v_cmp_lt_i32_e64 s[24:25], 15, v15
	s_and_saveexec_b64 s[28:29], s[24:25]
	s_cbranch_execz .LBB15_623
; %bb.620:                              ;   in Loop: Header=BB15_491 Depth=2
	s_trap 2
	ds_read_b128 v[6:9], v0
	ds_read_b64 v[16:17], v0
	v_add_u32_e32 v18, v4, v10
	v_ashrrev_i32_e32 v19, 31, v18
	v_accvgpr_write_b32 a3, v23
	v_mov_b32_e32 v2, v22
	s_waitcnt lgkmcnt(0)
	v_lshl_add_u64 v[4:5], v[6:7], 0, v[18:19]
	v_lshl_add_u64 v[6:7], v[8:9], 0, v[18:19]
	;; [unrolled: 1-line block ×3, first 2 shown]
	s_mov_b64 s[60:61], 0
.LBB15_621:                             ;   Parent Loop BB15_47 Depth=1
                                        ;     Parent Loop BB15_491 Depth=2
                                        ; =>    This Inner Loop Header: Depth=3
	global_load_dwordx4 v[16:19], v[4:5], off nt
	global_load_dwordx4 v[20:23], v[6:7], off nt
	v_sub_u32_e32 v15, v15, v29
	v_cmp_gt_i32_e64 s[24:25], 16, v15
	v_lshl_add_u64 v[4:5], v[4:5], 0, v[32:33]
	v_lshl_add_u64 v[6:7], v[6:7], 0, v[32:33]
	v_sub_u32_e32 v13, v13, v36
	s_or_b64 s[60:61], s[24:25], s[60:61]
	s_waitcnt vmcnt(0)
	v_mul_f16_e32 v24, v16, v20
	v_mul_f16_sdwa v16, v16, v20 dst_sel:WORD_1 dst_unused:UNUSED_PAD src0_sel:WORD_1 src1_sel:WORD_1
	v_mul_f16_e32 v20, v17, v21
	v_mul_f16_sdwa v17, v17, v21 dst_sel:WORD_1 dst_unused:UNUSED_PAD src0_sel:WORD_1 src1_sel:WORD_1
	;; [unrolled: 2-line block ×4, first 2 shown]
	v_or_b32_e32 v17, v17, v20
	v_or_b32_e32 v16, v16, v24
	;; [unrolled: 1-line block ×4, first 2 shown]
	global_store_dwordx4 v[8:9], v[16:19], off nt
	v_lshl_add_u64 v[8:9], v[8:9], 0, v[32:33]
	s_andn2_b64 exec, exec, s[60:61]
	s_cbranch_execnz .LBB15_621
; %bb.622:                              ;   in Loop: Header=BB15_491 Depth=2
	s_or_b64 exec, exec, s[60:61]
	scratch_load_dwordx2 v[20:21], off, s33 offset:172 ; 8-byte Folded Reload
	v_accvgpr_read_b32 v18, a34
	v_accvgpr_read_b32 v0, a48
	;; [unrolled: 1-line block ×4, first 2 shown]
	v_mov_b32_e32 v22, v2
	v_accvgpr_read_b32 v23, a3
.LBB15_623:                             ;   in Loop: Header=BB15_491 Depth=2
	s_or_b64 exec, exec, s[28:29]
	v_and_b32_e32 v7, 14, v23
	v_cndmask_b32_e32 v23, v14, v7, vcc
	v_cmp_ne_u32_e64 s[24:25], 0, v23
	s_mov_b64 s[28:29], 0
	v_mov_b32_e32 v4, 0
                                        ; implicit-def: $vgpr5
                                        ; implicit-def: $vgpr6
	s_and_saveexec_b64 s[60:61], s[24:25]
	s_cbranch_execz .LBB15_625
; %bb.624:                              ;   in Loop: Header=BB15_491 Depth=2
	v_sub_u32_e32 v4, v14, v7
	v_cndmask_b32_e32 v4, 0, v4, vcc
	v_cmp_lt_i32_e32 vcc, 0, v13
	s_mov_b64 s[28:29], exec
	v_add3_u32 v4, v12, v10, v4
	v_cndmask_b32_e32 v5, 0, v36, vcc
	v_sub_u32_e32 v5, v5, v13
	v_lshl_add_u32 v5, v5, 6, v11
	v_ashrrev_i32_e32 v6, 31, v5
	v_lshrrev_b32_e32 v6, 26, v6
	v_add_u32_e32 v6, v5, v6
	v_ashrrev_i32_e32 v6, 6, v6
.LBB15_625:                             ;   in Loop: Header=BB15_491 Depth=2
	s_or_b64 exec, exec, s[60:61]
	s_and_b64 s[28:29], s[28:29], exec
.LBB15_626:                             ;   in Loop: Header=BB15_491 Depth=2
	s_or_b64 exec, exec, s[26:27]
	v_accvgpr_read_b32 v45, a13
	v_accvgpr_read_b32 v44, a12
	s_and_saveexec_b64 s[24:25], s[28:29]
	s_cbranch_execz .LBB15_609
.LBB15_627:                             ;   in Loop: Header=BB15_491 Depth=2
	v_ashrrev_i32_e32 v7, 31, v23
	v_lshrrev_b32_e32 v7, 21, v7
	v_add_u32_e32 v7, v23, v7
	v_ashrrev_i32_e32 v13, 11, v7
	v_sub_u32_e32 v12, v13, v6
	v_cmp_lt_i32_e32 vcc, 0, v12
	s_and_saveexec_b64 s[26:27], vcc
	s_cbranch_execz .LBB15_631
; %bb.628:                              ;   in Loop: Header=BB15_491 Depth=2
	v_ashrrev_i32_e32 v7, 31, v5
	v_lshrrev_b32_e32 v7, 26, v7
	v_add_u32_e32 v7, v5, v7
	s_trap 2
	v_and_b32_e32 v7, 0x7fffffc0, v7
	ds_read_b128 v[8:11], v0
	ds_read_b64 v[14:15], v0
	v_sub_u32_e32 v7, v5, v7
	v_lshlrev_b32_e32 v7, 1, v7
	v_lshlrev_b32_e32 v6, 11, v6
	v_add3_u32 v16, v7, v4, v6
	v_ashrrev_i32_e32 v17, 31, v16
	v_accvgpr_write_b32 a12, v54
	s_waitcnt lgkmcnt(0)
	v_lshl_add_u64 v[6:7], v[8:9], 0, v[16:17]
	v_lshl_add_u64 v[8:9], v[10:11], 0, v[16:17]
	;; [unrolled: 1-line block ×3, first 2 shown]
	v_accvgpr_read_b32 v0, a46
	v_accvgpr_write_b32 a3, v23
	v_mov_b32_e32 v2, v22
	v_accvgpr_write_b32 a13, v55
	v_lshl_add_u64 v[10:11], v[10:11], 0, v[16:17]
	s_mov_b64 s[28:29], 0
	v_accvgpr_read_b32 v1, a47
.LBB15_629:                             ;   Parent Loop BB15_47 Depth=1
                                        ;     Parent Loop BB15_491 Depth=2
                                        ; =>    This Inner Loop Header: Depth=3
	flat_load_ushort v14, v[6:7] nt
	flat_load_ushort v15, v[6:7] offset:128 nt
	flat_load_ushort v16, v[6:7] offset:256 nt
	;; [unrolled: 1-line block ×5, first 2 shown]
	s_waitcnt vmcnt(0)
	flat_load_ushort v20, v[6:7] offset:768 nt
	flat_load_ushort v21, v[6:7] offset:896 nt
	flat_load_ushort v23, v[6:7] offset:1024 nt
	flat_load_ushort v24, v[6:7] offset:1152 nt
	flat_load_ushort v25, v[6:7] offset:1280 nt
	flat_load_ushort v26, v[6:7] offset:1408 nt
	flat_load_ushort v27, v[6:7] offset:1536 nt
	flat_load_ushort v30, v[6:7] offset:1664 nt
	flat_load_ushort v31, v[6:7] offset:1792 nt
	flat_load_ushort v32, v[6:7] offset:1920 nt
	flat_load_ushort v22, v[8:9] nt
	flat_load_ushort v33, v[8:9] offset:128 nt
	flat_load_ushort v34, v[8:9] offset:256 nt
	;; [unrolled: 1-line block ×15, first 2 shown]
	v_lshl_add_u64 v[6:7], v[6:7], 0, v[0:1]
	v_lshl_add_u64 v[8:9], v[8:9], 0, v[0:1]
	s_waitcnt vmcnt(0) lgkmcnt(0)
	v_mul_f16_e32 v40, v14, v22
	v_mul_f16_e32 v33, v15, v33
	;; [unrolled: 1-line block ×10, first 2 shown]
	v_add_co_u32_e32 v24, vcc, s85, v10
	v_mul_f16_e32 v19, v25, v50
	s_nop 0
	v_addc_co_u32_e32 v25, vcc, -1, v11, vcc
	flat_store_short v[24:25], v40 nt
	v_add_co_u32_e32 v24, vcc, s86, v10
	v_mul_f16_e32 v18, v26, v51
	s_nop 0
	v_addc_co_u32_e32 v25, vcc, -1, v11, vcc
	flat_store_short v[24:25], v33 nt
	;; [unrolled: 5-line block ×6, first 2 shown]
	v_add_co_u32_e32 v24, vcc, s91, v10
	v_accvgpr_read_b32 v36, a44
	s_nop 0
	v_addc_co_u32_e32 v25, vcc, -1, v11, vcc
	flat_store_short v[24:25], v38 nt
	v_add_co_u32_e32 v24, vcc, s74, v10
	v_sub_u32_e32 v12, v12, v36
	s_nop 0
	v_addc_co_u32_e32 v25, vcc, -1, v11, vcc
	flat_store_short v[24:25], v22 nt
	v_add_co_u32_e32 v22, vcc, s92, v10
	v_accvgpr_read_b32 v37, a45
	s_nop 0
	v_addc_co_u32_e32 v23, vcc, -1, v11, vcc
	flat_store_short v[22:23], v21 nt
	v_add_co_u32_e32 v22, vcc, s93, v10
	s_nop 1
	v_addc_co_u32_e32 v23, vcc, -1, v11, vcc
	flat_store_short v[22:23], v20 nt
	v_add_co_u32_e32 v20, vcc, s94, v10
	;; [unrolled: 4-line block ×6, first 2 shown]
	s_nop 1
	v_addc_co_u32_e32 v17, vcc, -1, v11, vcc
	v_cmp_gt_i32_e32 vcc, 1, v12
	flat_store_short v[16:17], v14 nt
	flat_store_short v[10:11], v15 nt
	v_lshl_add_u64 v[10:11], v[10:11], 0, v[0:1]
	s_or_b64 s[28:29], vcc, s[28:29]
	s_andn2_b64 exec, exec, s[28:29]
	s_cbranch_execnz .LBB15_629
; %bb.630:                              ;   in Loop: Header=BB15_491 Depth=2
	s_or_b64 exec, exec, s[28:29]
	scratch_load_dwordx2 v[20:21], off, s33 offset:172 ; 8-byte Folded Reload
	v_accvgpr_read_b32 v53, a15
	v_accvgpr_read_b32 v49, a19
	;; [unrolled: 1-line block ×24, first 2 shown]
	v_mov_b32_e32 v22, v2
	v_accvgpr_read_b32 v23, a3
.LBB15_631:                             ;   in Loop: Header=BB15_491 Depth=2
	s_or_b64 exec, exec, s[26:27]
	v_lshlrev_b32_e32 v6, 11, v13
	v_cmp_ne_u32_e32 vcc, v23, v6
	s_and_saveexec_b64 s[26:27], vcc
	s_cbranch_execz .LBB15_635
; %bb.632:                              ;   in Loop: Header=BB15_491 Depth=2
	v_ashrrev_i32_e32 v7, 31, v5
	v_lshrrev_b32_e32 v7, 26, v7
	v_add_u32_e32 v7, v5, v7
	v_and_b32_e32 v7, 0xffffffc0, v7
	v_sub_u32_e32 v5, v5, v7
	v_lshlrev_b32_e32 v7, 6, v12
	v_sub_u32_e32 v5, v5, v7
	v_ashrrev_i32_e32 v7, 31, v5
	v_lshrrev_b32_e32 v7, 26, v7
	v_add_u32_e32 v7, v5, v7
	v_and_b32_e32 v8, 0x7fffffc0, v7
	v_sub_u32_e32 v5, v5, v8
	v_lshlrev_b32_e32 v7, 1, v7
	v_and_b32_e32 v7, 0xffffff80, v7
	v_lshlrev_b32_e32 v5, 1, v5
	v_add3_u32 v5, v7, v5, v6
	v_sub_u32_e32 v2, v23, v5
	v_cmp_lt_i32_e32 vcc, 1, v2
	s_and_b64 exec, exec, vcc
	s_cbranch_execz .LBB15_635
; %bb.633:                              ;   in Loop: Header=BB15_491 Depth=2
	s_trap 2
	ds_read_b128 v[6:9], v0
	ds_read_b64 v[10:11], v0
	v_add_u32_e32 v12, v5, v4
	v_ashrrev_i32_e32 v13, 31, v12
	s_mov_b64 s[28:29], 0
	s_waitcnt lgkmcnt(0)
	v_lshl_add_u64 v[4:5], v[6:7], 0, v[12:13]
	v_lshl_add_u64 v[6:7], v[8:9], 0, v[12:13]
	;; [unrolled: 1-line block ×3, first 2 shown]
.LBB15_634:                             ;   Parent Loop BB15_47 Depth=1
                                        ;     Parent Loop BB15_491 Depth=2
                                        ; =>    This Inner Loop Header: Depth=3
	flat_load_ushort v10, v[4:5] nt
	flat_load_ushort v11, v[6:7] nt
	v_sub_u32_e32 v2, v2, v41
	v_cmp_gt_i32_e32 vcc, 2, v2
	v_lshl_add_u64 v[4:5], v[4:5], 0, v[34:35]
	v_lshl_add_u64 v[6:7], v[6:7], 0, v[34:35]
	s_or_b64 s[28:29], vcc, s[28:29]
	s_waitcnt vmcnt(0) lgkmcnt(0)
	v_mul_f16_e32 v10, v10, v11
	flat_store_short v[8:9], v10 nt
	v_lshl_add_u64 v[8:9], v[8:9], 0, v[34:35]
	s_andn2_b64 exec, exec, s[28:29]
	s_cbranch_execnz .LBB15_634
.LBB15_635:                             ;   in Loop: Header=BB15_491 Depth=2
	s_or_b64 exec, exec, s[26:27]
	s_or_b64 exec, exec, s[24:25]
	s_and_saveexec_b64 s[24:25], s[4:5]
	s_cbranch_execnz .LBB15_565
	s_branch .LBB15_610
.LBB15_636:                             ;   in Loop: Header=BB15_491 Depth=2
	s_or_b64 exec, exec, s[62:63]
	s_and_saveexec_b64 vcc, s[64:65]
	s_xor_b64 vcc, exec, vcc
	s_cbranch_execz .LBB15_638
; %bb.637:                              ;   in Loop: Header=BB15_491 Depth=2
	ds_write_b32 v0, v59
	s_trap 2
.LBB15_638:                             ;   in Loop: Header=BB15_491 Depth=2
	s_or_b64 exec, exec, s[60:61]
	;;#ASMSTART
	s_wakeup
	;;#ASMEND
.LBB15_639:                             ;   in Loop: Header=BB15_491 Depth=2
	s_or_b64 exec, exec, s[28:29]
.LBB15_640:                             ;   in Loop: Header=BB15_491 Depth=2
	s_andn2_saveexec_b64 s[26:27], s[26:27]
	s_cbranch_execz .LBB15_642
; %bb.641:                              ;   in Loop: Header=BB15_491 Depth=2
	s_waitcnt lgkmcnt(0)
	s_barrier
.LBB15_642:                             ;   in Loop: Header=BB15_491 Depth=2
	s_or_b64 exec, exec, s[26:27]
	s_or_b64 exec, exec, s[24:25]
                                        ; implicit-def: $vgpr2
	s_and_saveexec_b64 s[24:25], s[20:21]
	s_xor_b64 s[26:27], exec, s[24:25]
	s_cbranch_execnz .LBB15_611
.LBB15_643:                             ;   in Loop: Header=BB15_491 Depth=2
	s_andn2_saveexec_b64 s[24:25], s[26:27]
	s_cbranch_execz .LBB15_662
.LBB15_644:                             ;   in Loop: Header=BB15_491 Depth=2
	s_and_saveexec_b64 s[26:27], s[38:39]
	s_xor_b64 s[26:27], exec, s[26:27]
	s_cbranch_execz .LBB15_659
; %bb.645:                              ;   in Loop: Header=BB15_491 Depth=2
	s_and_saveexec_b64 s[28:29], s[12:13]
	s_cbranch_execz .LBB15_658
; %bb.646:                              ;   in Loop: Header=BB15_491 Depth=2
	s_mov_b64 s[62:63], exec
	v_mbcnt_lo_u32_b32 v2, s62, 0
	v_mbcnt_hi_u32_b32 v2, s63, v2
	v_cmp_eq_u32_e32 vcc, 0, v2
	;;#ASMSTART
	s_waitcnt lgkmcnt(0) vmcnt(0)
	;;#ASMEND
	s_and_saveexec_b64 s[60:61], vcc
	s_cbranch_execz .LBB15_648
; %bb.647:                              ;   in Loop: Header=BB15_491 Depth=2
	s_bcnt1_i32_b64 vcc_lo, s[62:63]
	v_mov_b32_e32 v2, vcc_lo
	ds_add_u64 v0, v[2:3]
	s_trap 2
.LBB15_648:                             ;   in Loop: Header=BB15_491 Depth=2
	s_or_b64 exec, exec, s[60:61]
	s_trap 2
	ds_read_b64 v[4:5], v0
	v_lshl_add_u64 v[54:55], v[54:55], 0, v[36:37]
	s_waitcnt lgkmcnt(0)
	v_cmp_lt_u64_e32 vcc, v[4:5], v[54:55]
	s_and_saveexec_b64 s[60:61], vcc
	s_cbranch_execz .LBB15_657
; %bb.649:                              ;   in Loop: Header=BB15_491 Depth=2
	s_mov_b32 s96, 0
	s_mov_b64 s[62:63], 0
                                        ; implicit-def: $sgpr64_sgpr65
                                        ; implicit-def: $sgpr66_sgpr67
	s_branch .LBB15_651
.LBB15_650:                             ;   in Loop: Header=BB15_651 Depth=3
	s_or_b64 exec, exec, s[70:71]
	s_and_b64 vcc, exec, vcc
	s_or_b64 s[62:63], vcc, s[62:63]
	s_andn2_b64 vcc, s[64:65], exec
	s_and_b64 s[64:65], s[66:67], exec
	s_or_b64 s[64:65], vcc, s[64:65]
	s_andn2_b64 exec, exec, s[62:63]
	s_cbranch_execz .LBB15_655
.LBB15_651:                             ;   Parent Loop BB15_47 Depth=1
                                        ;     Parent Loop BB15_491 Depth=2
                                        ; =>    This Inner Loop Header: Depth=3
	s_add_i32 s96, s96, 1
	s_cmpk_lg_i32 s96, 0x2710
	s_cselect_b64 s[68:69], -1, 0
	s_and_b64 vcc, exec, s[68:69]
                                        ; implicit-def: $sgpr70_sgpr71
	s_cbranch_vccnz .LBB15_653
; %bb.652:                              ;   in Loop: Header=BB15_651 Depth=3
	s_trap 2
	ds_read_b64 v[4:5], v0
	s_andn2_b64 s[68:69], s[68:69], exec
	s_mov_b32 s96, 0
	s_mov_b64 s[70:71], -1
	s_waitcnt vmcnt(0) lgkmcnt(0)
	flat_load_dword v2, v[4:5] sc0 sc1
	s_waitcnt vmcnt(0) lgkmcnt(0)
	buffer_inv sc0 sc1
	v_cmp_eq_u32_e32 vcc, 0, v2
	s_and_b64 vcc, vcc, exec
	s_or_b64 s[68:69], s[68:69], vcc
.LBB15_653:                             ;   in Loop: Header=BB15_651 Depth=3
	s_andn2_b64 s[66:67], s[66:67], exec
	s_and_b64 s[70:71], s[70:71], exec
	s_mov_b64 vcc, -1
	s_or_b64 s[66:67], s[66:67], s[70:71]
	s_and_saveexec_b64 s[70:71], s[68:69]
	s_cbranch_execz .LBB15_650
; %bb.654:                              ;   in Loop: Header=BB15_651 Depth=3
	s_sleep 1
	s_trap 2
	ds_read_b64 v[4:5], v0
	s_andn2_b64 s[66:67], s[66:67], exec
	s_waitcnt lgkmcnt(0)
	v_cmp_ge_u64_e32 vcc, v[4:5], v[54:55]
	s_orn2_b64 vcc, vcc, exec
	s_branch .LBB15_650
.LBB15_655:                             ;   in Loop: Header=BB15_491 Depth=2
	s_or_b64 exec, exec, s[62:63]
	s_and_saveexec_b64 vcc, s[64:65]
	s_xor_b64 vcc, exec, vcc
	s_cbranch_execz .LBB15_657
; %bb.656:                              ;   in Loop: Header=BB15_491 Depth=2
	ds_write_b32 v0, v59
	s_trap 2
.LBB15_657:                             ;   in Loop: Header=BB15_491 Depth=2
	s_or_b64 exec, exec, s[60:61]
	;;#ASMSTART
	s_wakeup
	;;#ASMEND
.LBB15_658:                             ;   in Loop: Header=BB15_491 Depth=2
	s_or_b64 exec, exec, s[28:29]
.LBB15_659:                             ;   in Loop: Header=BB15_491 Depth=2
	s_andn2_saveexec_b64 s[26:27], s[26:27]
	s_cbranch_execz .LBB15_661
; %bb.660:                              ;   in Loop: Header=BB15_491 Depth=2
	;;#ASMSTART
	s_waitcnt lgkmcnt(0) vmcnt(0)
	;;#ASMEND
	s_barrier
.LBB15_661:                             ;   in Loop: Header=BB15_491 Depth=2
	s_or_b64 exec, exec, s[26:27]
	v_and_b32_e32 v2, 16, v28
.LBB15_662:                             ;   in Loop: Header=BB15_491 Depth=2
	s_or_b64 exec, exec, s[24:25]
	v_cmp_ne_u32_e32 vcc, 0, v2
	s_xor_b64 s[24:25], s[6:7], -1
	s_and_b64 s[26:27], vcc, s[24:25]
	s_and_saveexec_b64 s[24:25], s[26:27]
	s_cbranch_execz .LBB15_664
; %bb.663:                              ;   in Loop: Header=BB15_491 Depth=2
	flat_store_dword v[50:51], v59 sc0 sc1
.LBB15_664:                             ;   in Loop: Header=BB15_491 Depth=2
	s_or_b64 exec, exec, s[24:25]
	v_and_b32_e32 v2, 48, v28
	v_cmp_ne_u32_e32 vcc, 0, v2
	s_and_saveexec_b64 s[24:25], vcc
	s_cbranch_execz .LBB15_490
; %bb.665:                              ;   in Loop: Header=BB15_491 Depth=2
	v_lshl_add_u64 v[44:45], v[44:45], 0, 2
	flat_store_dwordx2 v[42:43], v[44:45] sc0 sc1
	s_branch .LBB15_490
.LBB15_666:                             ;   in Loop: Header=BB15_47 Depth=1
	s_or_b64 exec, exec, s[56:57]
.LBB15_667:                             ;   in Loop: Header=BB15_47 Depth=1
	s_or_b64 exec, exec, s[54:55]
	v_cmp_gt_i32_e32 vcc, 2, v2
	s_and_saveexec_b64 s[26:27], vcc
	s_cbranch_execz .LBB15_741
; %bb.668:                              ;   in Loop: Header=BB15_47 Depth=1
	v_cmp_eq_u32_e64 s[24:25], 0, v2
	s_mov_b64 s[28:29], 0
	s_branch .LBB15_670
.LBB15_669:                             ;   in Loop: Header=BB15_670 Depth=2
	s_or_b64 exec, exec, s[24:25]
	v_add_u32_e32 v46, v22, v46
	s_mov_b64 s[24:25], 0
	s_andn2_b64 exec, exec, s[28:29]
	s_cbranch_execz .LBB15_740
.LBB15_670:                             ;   Parent Loop BB15_47 Depth=1
                                        ; =>  This Loop Header: Depth=2
                                        ;       Child Loop BB15_676 Depth 3
                                        ;       Child Loop BB15_706 Depth 3
	;; [unrolled: 1-line block ×3, first 2 shown]
	v_and_b32_e32 v2, 12, v28
	s_mov_b64 s[56:57], -1
	v_cmp_ne_u32_e32 vcc, 0, v2
	s_and_saveexec_b64 s[54:55], vcc
	s_cbranch_execz .LBB15_682
; %bb.671:                              ;   in Loop: Header=BB15_670 Depth=2
	v_and_b32_e32 v2, 8, v28
	v_lshl_add_u64 v[6:7], v[56:57], 0, v[2:3]
	v_lshl_add_u64 v[4:5], v[44:45], 0, 2
	v_cmp_lt_u64_e32 vcc, v[6:7], v[4:5]
	v_mov_b32_e32 v6, 1
	s_and_saveexec_b64 s[56:57], vcc
	s_cbranch_execz .LBB15_681
; %bb.672:                              ;   in Loop: Header=BB15_670 Depth=2
	s_mov_b64 s[58:59], 0
	v_mov_b32_e32 v6, 0
                                        ; implicit-def: $sgpr60_sgpr61
	s_branch .LBB15_676
.LBB15_673:                             ;   in Loop: Header=BB15_676 Depth=3
	s_or_b64 exec, exec, s[68:69]
	v_mov_b32_e32 v7, 0
	s_orn2_b64 s[66:67], s[66:67], exec
.LBB15_674:                             ;   in Loop: Header=BB15_676 Depth=3
	s_or_b64 exec, exec, s[64:65]
	s_andn2_b64 vcc, s[60:61], exec
	s_and_b64 s[60:61], s[66:67], exec
	s_or_b64 s[60:61], vcc, s[60:61]
	v_mov_b32_e32 v6, v7
.LBB15_675:                             ;   in Loop: Header=BB15_676 Depth=3
	s_or_b64 exec, exec, s[62:63]
	s_waitcnt vmcnt(0) lgkmcnt(0)
	v_lshl_add_u64 v[8:9], v[56:57], 0, v[2:3]
	v_cmp_ge_u64_e32 vcc, v[8:9], v[4:5]
	s_xor_b64 s[62:63], s[60:61], -1
	s_or_b64 vcc, s[62:63], vcc
	s_and_b64 vcc, exec, vcc
	s_or_b64 s[58:59], vcc, s[58:59]
	s_andn2_b64 exec, exec, s[58:59]
	s_cbranch_execz .LBB15_680
.LBB15_676:                             ;   Parent Loop BB15_47 Depth=1
                                        ;     Parent Loop BB15_670 Depth=2
                                        ; =>    This Inner Loop Header: Depth=3
	s_sleep 1
	flat_load_dwordx2 v[56:57], v[42:43] sc0 sc1
	v_and_b32_e32 v7, 64, v28
	v_cmp_eq_u32_e32 vcc, 0, v7
	s_andn2_b64 s[60:61], s[60:61], exec
	s_and_saveexec_b64 s[62:63], vcc
	s_cbranch_execz .LBB15_675
; %bb.677:                              ;   in Loop: Header=BB15_676 Depth=3
	v_add_u32_e32 v7, 1, v6
	v_cmp_lt_i32_e32 vcc, s83, v6
	s_mov_b64 s[66:67], -1
	s_and_saveexec_b64 s[64:65], vcc
	s_cbranch_execz .LBB15_674
; %bb.678:                              ;   in Loop: Header=BB15_676 Depth=3
	s_trap 2
	ds_read_b64 v[6:7], v0
	s_waitcnt vmcnt(0) lgkmcnt(0)
	flat_load_dword v6, v[6:7] sc0 sc1
	s_waitcnt vmcnt(0) lgkmcnt(0)
	buffer_inv sc0 sc1
	v_cmp_ne_u32_e32 vcc, 0, v6
	s_and_saveexec_b64 s[68:69], vcc
	s_cbranch_execz .LBB15_673
; %bb.679:                              ;   in Loop: Header=BB15_676 Depth=3
	v_or_b32_e32 v28, 64, v28
	s_xor_b64 s[66:67], exec, -1
	ds_write_b32 v0, v6
	s_trap 2
	s_branch .LBB15_673
.LBB15_680:                             ;   in Loop: Header=BB15_670 Depth=2
	s_or_b64 exec, exec, s[58:59]
	v_and_b32_e32 v6, 12, v28
.LBB15_681:                             ;   in Loop: Header=BB15_670 Depth=2
	s_or_b64 exec, exec, s[56:57]
	v_cmp_eq_u32_e32 vcc, 0, v6
	s_orn2_b64 s[56:57], vcc, exec
	;;#ASMSTART
	s_wakeup
	;;#ASMEND
.LBB15_682:                             ;   in Loop: Header=BB15_670 Depth=2
	s_or_b64 exec, exec, s[54:55]
	s_xor_b64 s[24:25], s[24:25], -1
	s_and_b64 s[24:25], exec, s[24:25]
	s_or_b64 s[28:29], s[24:25], s[28:29]
	v_sub_u32_e32 v2, v25, v46
	s_xor_b64 s[24:25], s[56:57], -1
	v_min_i32_e32 v22, v22, v2
	s_and_saveexec_b64 s[54:55], s[24:25]
	s_cbranch_execz .LBB15_698
; %bb.683:                              ;   in Loop: Header=BB15_670 Depth=2
	v_and_b32_e32 v2, 0x108, v28
	v_cmp_ne_u32_e32 vcc, s84, v2
	v_and_b32_e32 v2, 7, v44
	s_and_saveexec_b64 s[24:25], vcc
	s_xor_b64 s[24:25], exec, s[24:25]
	s_andn2_saveexec_b64 s[24:25], s[24:25]
	s_cbranch_execz .LBB15_685
; %bb.684:                              ;   in Loop: Header=BB15_670 Depth=2
	v_ashrrev_i32_e32 v23, 31, v22
	v_mad_u64_u32 v[4:5], vcc, v2, 24, v[52:53]
	v_lshlrev_b64 v[6:7], 1, v[22:23]
	flat_store_dwordx2 v[4:5], v[6:7] offset:8
.LBB15_685:                             ;   in Loop: Header=BB15_670 Depth=2
	s_or_b64 exec, exec, s[24:25]
	v_and_b32_e32 v4, 0x100, v28
	v_cmp_ne_u32_e32 vcc, 0, v4
	s_mov_b64 s[24:25], -1
                                        ; implicit-def: $vgpr4_vgpr5
	s_and_saveexec_b64 s[56:57], vcc
	s_cbranch_execz .LBB15_689
; %bb.686:                              ;   in Loop: Header=BB15_670 Depth=2
	v_mad_u64_u32 v[6:7], s[24:25], v2, 24, v[52:53]
	v_mov_b32_e32 v4, v7
	v_mad_u64_u32 v[4:5], s[24:25], v3, 24, v[4:5]
	v_mov_b32_e32 v7, v4
	flat_load_dword v4, v[6:7]
	s_waitcnt vmcnt(0) lgkmcnt(0)
	v_cmp_ne_u32_e32 vcc, 1, v4
	v_cmp_eq_u32_e64 s[24:25], 1, v4
                                        ; implicit-def: $vgpr4_vgpr5
	s_and_saveexec_b64 s[58:59], s[24:25]
	s_cbranch_execz .LBB15_688
; %bb.687:                              ;   in Loop: Header=BB15_670 Depth=2
	flat_load_dword v4, v[6:7] offset:4 sc0 sc1
	s_waitcnt vmcnt(0) lgkmcnt(0)
	v_ashrrev_i32_e32 v5, 31, v4
	v_lshrrev_b64 v[4:5], 1, v[4:5]
.LBB15_688:                             ;   in Loop: Header=BB15_670 Depth=2
	s_or_b64 exec, exec, s[58:59]
	s_orn2_b64 s[24:25], vcc, exec
.LBB15_689:                             ;   in Loop: Header=BB15_670 Depth=2
	s_or_b64 exec, exec, s[56:57]
	s_and_saveexec_b64 vcc, s[24:25]
; %bb.690:                              ;   in Loop: Header=BB15_670 Depth=2
	v_mul_lo_u32 v6, v3, v40
	v_mul_lo_u32 v7, v2, v39
	v_mad_u64_u32 v[4:5], s[24:25], v2, v40, 0
	v_add3_u32 v5, v5, v7, v6
; %bb.691:                              ;   in Loop: Header=BB15_670 Depth=2
	s_or_b64 exec, exec, vcc
	v_and_b32_e32 v2, 0x2000, v28
	v_lshl_add_u64 v[4:5], v[4:5], 1, v[48:49]
	v_cmp_ne_u32_e32 vcc, 0, v2
	s_trap 2
	ds_write_b64 v0, v[4:5]
	s_and_saveexec_b64 s[24:25], vcc
	s_cbranch_execz .LBB15_693
; %bb.692:                              ;   in Loop: Header=BB15_670 Depth=2
	ds_read_b64 v[4:5], v0 offset:584
	s_waitcnt lgkmcnt(0)
	v_lshl_add_u64 v[4:5], v[4:5], 0, 1
	ds_write_b64 v0, v[4:5] offset:584
.LBB15_693:                             ;   in Loop: Header=BB15_670 Depth=2
	s_or_b64 exec, exec, s[24:25]
	v_lshl_add_u64 v[44:45], v[44:45], 0, 2
	s_or_b64 exec, exec, s[54:55]
	s_and_saveexec_b64 s[24:25], s[4:5]
	s_cbranch_execnz .LBB15_699
.LBB15_694:                             ;   in Loop: Header=BB15_670 Depth=2
	s_or_b64 exec, exec, s[24:25]
                                        ; implicit-def: $vgpr2
	s_and_saveexec_b64 s[24:25], s[20:21]
	s_xor_b64 s[24:25], exec, s[24:25]
	s_cbranch_execz .LBB15_717
.LBB15_695:                             ;   in Loop: Header=BB15_670 Depth=2
	s_trap 2
	ds_read_b32 v4, v0
	v_cmp_lt_i32_e32 vcc, 0, v22
	v_and_b32_e32 v5, 16, v28
	v_and_b32_e32 v2, 16, v28
	s_waitcnt lgkmcnt(0)
	v_readfirstlane_b32 s54, v4
	s_cmp_eq_u32 s54, 0
	s_cselect_b64 s[54:55], -1, 0
	s_and_b64 s[54:55], vcc, s[54:55]
	v_cmp_ne_u32_e32 vcc, 0, v5
	s_and_b64 s[54:55], vcc, s[54:55]
	s_and_saveexec_b64 vcc, s[54:55]
	s_cbranch_execz .LBB15_697
; %bb.696:                              ;   in Loop: Header=BB15_670 Depth=2
	v_mov_b32_e32 v2, 1
	buffer_wbl2 sc1
	s_waitcnt vmcnt(0)
	buffer_inv sc1
.LBB15_697:                             ;   in Loop: Header=BB15_670 Depth=2
	s_or_b64 exec, exec, vcc
	s_andn2_saveexec_b64 s[24:25], s[24:25]
	s_cbranch_execz .LBB15_736
	s_branch .LBB15_718
.LBB15_698:                             ;   in Loop: Header=BB15_670 Depth=2
	s_or_b64 exec, exec, s[54:55]
	s_and_saveexec_b64 s[24:25], s[4:5]
	s_cbranch_execz .LBB15_694
.LBB15_699:                             ;   in Loop: Header=BB15_670 Depth=2
	s_and_saveexec_b64 vcc, s[38:39]
	s_xor_b64 s[54:55], exec, vcc
	s_cbranch_execz .LBB15_714
; %bb.700:                              ;   in Loop: Header=BB15_670 Depth=2
	s_and_saveexec_b64 s[56:57], s[12:13]
	s_cbranch_execz .LBB15_713
; %bb.701:                              ;   in Loop: Header=BB15_670 Depth=2
	s_mov_b64 s[60:61], exec
	v_mbcnt_lo_u32_b32 v2, s60, 0
	v_mbcnt_hi_u32_b32 v2, s61, v2
	v_cmp_eq_u32_e32 vcc, 0, v2
	s_waitcnt lgkmcnt(0)
	s_and_saveexec_b64 s[58:59], vcc
	s_cbranch_execz .LBB15_703
; %bb.702:                              ;   in Loop: Header=BB15_670 Depth=2
	s_bcnt1_i32_b64 vcc_lo, s[60:61]
	v_mov_b32_e32 v2, vcc_lo
	ds_add_u64 v0, v[2:3]
	s_trap 2
.LBB15_703:                             ;   in Loop: Header=BB15_670 Depth=2
	s_or_b64 exec, exec, s[58:59]
	s_trap 2
	ds_read_b64 v[4:5], v0
	v_lshl_add_u64 v[54:55], v[54:55], 0, v[36:37]
	s_waitcnt lgkmcnt(0)
	v_cmp_lt_u64_e32 vcc, v[4:5], v[54:55]
	s_and_saveexec_b64 s[58:59], vcc
	s_cbranch_execz .LBB15_712
; %bb.704:                              ;   in Loop: Header=BB15_670 Depth=2
	s_mov_b32 s70, 0
	s_mov_b64 s[60:61], 0
                                        ; implicit-def: $sgpr62_sgpr63
                                        ; implicit-def: $sgpr64_sgpr65
	s_branch .LBB15_706
.LBB15_705:                             ;   in Loop: Header=BB15_706 Depth=3
	s_or_b64 exec, exec, s[68:69]
	s_and_b64 vcc, exec, vcc
	s_or_b64 s[60:61], vcc, s[60:61]
	s_andn2_b64 vcc, s[62:63], exec
	s_and_b64 s[62:63], s[64:65], exec
	s_or_b64 s[62:63], vcc, s[62:63]
	s_andn2_b64 exec, exec, s[60:61]
	s_cbranch_execz .LBB15_710
.LBB15_706:                             ;   Parent Loop BB15_47 Depth=1
                                        ;     Parent Loop BB15_670 Depth=2
                                        ; =>    This Inner Loop Header: Depth=3
	s_add_i32 s70, s70, 1
	s_cmpk_lg_i32 s70, 0x2710
	s_cselect_b64 s[66:67], -1, 0
	s_and_b64 vcc, exec, s[66:67]
                                        ; implicit-def: $sgpr68_sgpr69
	s_cbranch_vccnz .LBB15_708
; %bb.707:                              ;   in Loop: Header=BB15_706 Depth=3
	s_trap 2
	ds_read_b64 v[4:5], v0
	s_andn2_b64 s[66:67], s[66:67], exec
	s_mov_b32 s70, 0
	s_mov_b64 s[68:69], -1
	s_waitcnt vmcnt(0) lgkmcnt(0)
	flat_load_dword v2, v[4:5] sc0 sc1
	s_waitcnt vmcnt(0) lgkmcnt(0)
	buffer_inv sc0 sc1
	v_cmp_eq_u32_e32 vcc, 0, v2
	s_and_b64 vcc, vcc, exec
	s_or_b64 s[66:67], s[66:67], vcc
.LBB15_708:                             ;   in Loop: Header=BB15_706 Depth=3
	s_andn2_b64 s[64:65], s[64:65], exec
	s_and_b64 s[68:69], s[68:69], exec
	s_mov_b64 vcc, -1
	s_or_b64 s[64:65], s[64:65], s[68:69]
	s_and_saveexec_b64 s[68:69], s[66:67]
	s_cbranch_execz .LBB15_705
; %bb.709:                              ;   in Loop: Header=BB15_706 Depth=3
	s_sleep 1
	s_trap 2
	ds_read_b64 v[4:5], v0
	s_andn2_b64 s[64:65], s[64:65], exec
	s_waitcnt lgkmcnt(0)
	v_cmp_ge_u64_e32 vcc, v[4:5], v[54:55]
	s_orn2_b64 vcc, vcc, exec
	s_branch .LBB15_705
.LBB15_710:                             ;   in Loop: Header=BB15_670 Depth=2
	s_or_b64 exec, exec, s[60:61]
	s_and_saveexec_b64 vcc, s[62:63]
	s_xor_b64 vcc, exec, vcc
	s_cbranch_execz .LBB15_712
; %bb.711:                              ;   in Loop: Header=BB15_670 Depth=2
	ds_write_b32 v0, v59
	s_trap 2
.LBB15_712:                             ;   in Loop: Header=BB15_670 Depth=2
	s_or_b64 exec, exec, s[58:59]
	;;#ASMSTART
	s_wakeup
	;;#ASMEND
.LBB15_713:                             ;   in Loop: Header=BB15_670 Depth=2
	s_or_b64 exec, exec, s[56:57]
.LBB15_714:                             ;   in Loop: Header=BB15_670 Depth=2
	s_andn2_saveexec_b64 vcc, s[54:55]
	s_cbranch_execz .LBB15_716
; %bb.715:                              ;   in Loop: Header=BB15_670 Depth=2
	s_waitcnt lgkmcnt(0)
	s_barrier
.LBB15_716:                             ;   in Loop: Header=BB15_670 Depth=2
	s_or_b64 exec, exec, vcc
	s_or_b64 exec, exec, s[24:25]
                                        ; implicit-def: $vgpr2
	s_and_saveexec_b64 s[24:25], s[20:21]
	s_xor_b64 s[24:25], exec, s[24:25]
	s_cbranch_execnz .LBB15_695
.LBB15_717:                             ;   in Loop: Header=BB15_670 Depth=2
	s_andn2_saveexec_b64 s[24:25], s[24:25]
	s_cbranch_execz .LBB15_736
.LBB15_718:                             ;   in Loop: Header=BB15_670 Depth=2
	s_and_saveexec_b64 vcc, s[38:39]
	s_xor_b64 s[54:55], exec, vcc
	s_cbranch_execz .LBB15_733
; %bb.719:                              ;   in Loop: Header=BB15_670 Depth=2
	s_and_saveexec_b64 s[56:57], s[12:13]
	s_cbranch_execz .LBB15_732
; %bb.720:                              ;   in Loop: Header=BB15_670 Depth=2
	s_mov_b64 s[60:61], exec
	v_mbcnt_lo_u32_b32 v2, s60, 0
	v_mbcnt_hi_u32_b32 v2, s61, v2
	v_cmp_eq_u32_e32 vcc, 0, v2
	;;#ASMSTART
	s_waitcnt lgkmcnt(0) vmcnt(0)
	;;#ASMEND
	s_and_saveexec_b64 s[58:59], vcc
	s_cbranch_execz .LBB15_722
; %bb.721:                              ;   in Loop: Header=BB15_670 Depth=2
	s_bcnt1_i32_b64 vcc_lo, s[60:61]
	v_mov_b32_e32 v2, vcc_lo
	ds_add_u64 v0, v[2:3]
	s_trap 2
.LBB15_722:                             ;   in Loop: Header=BB15_670 Depth=2
	s_or_b64 exec, exec, s[58:59]
	s_trap 2
	ds_read_b64 v[4:5], v0
	v_lshl_add_u64 v[54:55], v[54:55], 0, v[36:37]
	s_waitcnt lgkmcnt(0)
	v_cmp_lt_u64_e32 vcc, v[4:5], v[54:55]
	s_and_saveexec_b64 s[58:59], vcc
	s_cbranch_execz .LBB15_731
; %bb.723:                              ;   in Loop: Header=BB15_670 Depth=2
	s_mov_b32 s70, 0
	s_mov_b64 s[60:61], 0
                                        ; implicit-def: $sgpr62_sgpr63
                                        ; implicit-def: $sgpr64_sgpr65
	s_branch .LBB15_725
.LBB15_724:                             ;   in Loop: Header=BB15_725 Depth=3
	s_or_b64 exec, exec, s[68:69]
	s_and_b64 vcc, exec, vcc
	s_or_b64 s[60:61], vcc, s[60:61]
	s_andn2_b64 vcc, s[62:63], exec
	s_and_b64 s[62:63], s[64:65], exec
	s_or_b64 s[62:63], vcc, s[62:63]
	s_andn2_b64 exec, exec, s[60:61]
	s_cbranch_execz .LBB15_729
.LBB15_725:                             ;   Parent Loop BB15_47 Depth=1
                                        ;     Parent Loop BB15_670 Depth=2
                                        ; =>    This Inner Loop Header: Depth=3
	s_add_i32 s70, s70, 1
	s_cmpk_lg_i32 s70, 0x2710
	s_cselect_b64 s[66:67], -1, 0
	s_and_b64 vcc, exec, s[66:67]
                                        ; implicit-def: $sgpr68_sgpr69
	s_cbranch_vccnz .LBB15_727
; %bb.726:                              ;   in Loop: Header=BB15_725 Depth=3
	s_trap 2
	ds_read_b64 v[4:5], v0
	s_andn2_b64 s[66:67], s[66:67], exec
	s_mov_b32 s70, 0
	s_mov_b64 s[68:69], -1
	s_waitcnt vmcnt(0) lgkmcnt(0)
	flat_load_dword v2, v[4:5] sc0 sc1
	s_waitcnt vmcnt(0) lgkmcnt(0)
	buffer_inv sc0 sc1
	v_cmp_eq_u32_e32 vcc, 0, v2
	s_and_b64 vcc, vcc, exec
	s_or_b64 s[66:67], s[66:67], vcc
.LBB15_727:                             ;   in Loop: Header=BB15_725 Depth=3
	s_andn2_b64 s[64:65], s[64:65], exec
	s_and_b64 s[68:69], s[68:69], exec
	s_mov_b64 vcc, -1
	s_or_b64 s[64:65], s[64:65], s[68:69]
	s_and_saveexec_b64 s[68:69], s[66:67]
	s_cbranch_execz .LBB15_724
; %bb.728:                              ;   in Loop: Header=BB15_725 Depth=3
	s_sleep 1
	s_trap 2
	ds_read_b64 v[4:5], v0
	s_andn2_b64 s[64:65], s[64:65], exec
	s_waitcnt lgkmcnt(0)
	v_cmp_ge_u64_e32 vcc, v[4:5], v[54:55]
	s_orn2_b64 vcc, vcc, exec
	s_branch .LBB15_724
.LBB15_729:                             ;   in Loop: Header=BB15_670 Depth=2
	s_or_b64 exec, exec, s[60:61]
	s_and_saveexec_b64 vcc, s[62:63]
	s_xor_b64 vcc, exec, vcc
	s_cbranch_execz .LBB15_731
; %bb.730:                              ;   in Loop: Header=BB15_670 Depth=2
	ds_write_b32 v0, v59
	s_trap 2
.LBB15_731:                             ;   in Loop: Header=BB15_670 Depth=2
	s_or_b64 exec, exec, s[58:59]
	;;#ASMSTART
	s_wakeup
	;;#ASMEND
.LBB15_732:                             ;   in Loop: Header=BB15_670 Depth=2
	s_or_b64 exec, exec, s[56:57]
.LBB15_733:                             ;   in Loop: Header=BB15_670 Depth=2
	s_andn2_saveexec_b64 vcc, s[54:55]
	s_cbranch_execz .LBB15_735
; %bb.734:                              ;   in Loop: Header=BB15_670 Depth=2
	;;#ASMSTART
	s_waitcnt lgkmcnt(0) vmcnt(0)
	;;#ASMEND
	s_barrier
.LBB15_735:                             ;   in Loop: Header=BB15_670 Depth=2
	s_or_b64 exec, exec, vcc
	v_and_b32_e32 v2, 16, v28
.LBB15_736:                             ;   in Loop: Header=BB15_670 Depth=2
	s_or_b64 exec, exec, s[24:25]
	v_cmp_ne_u32_e32 vcc, 0, v2
	s_xor_b64 s[24:25], s[6:7], -1
	s_and_b64 vcc, vcc, s[24:25]
	s_and_saveexec_b64 s[24:25], vcc
	s_cbranch_execz .LBB15_738
; %bb.737:                              ;   in Loop: Header=BB15_670 Depth=2
	flat_store_dword v[50:51], v59 sc0 sc1
.LBB15_738:                             ;   in Loop: Header=BB15_670 Depth=2
	s_or_b64 exec, exec, s[24:25]
	v_and_b32_e32 v2, 48, v28
	v_cmp_ne_u32_e32 vcc, 0, v2
	s_and_saveexec_b64 s[24:25], vcc
	s_cbranch_execz .LBB15_669
; %bb.739:                              ;   in Loop: Header=BB15_670 Depth=2
	v_lshl_add_u64 v[44:45], v[44:45], 0, 2
	flat_store_dwordx2 v[42:43], v[44:45] sc0 sc1
	s_branch .LBB15_669
.LBB15_740:                             ;   in Loop: Header=BB15_47 Depth=1
	s_or_b64 exec, exec, s[28:29]
.LBB15_741:                             ;   in Loop: Header=BB15_47 Depth=1
	s_or_b64 exec, exec, s[26:27]
	v_accvgpr_read_b32 v47, a25
	s_and_b64 vcc, exec, s[22:23]
	v_accvgpr_read_b32 v46, a24
	s_cbranch_vccnz .LBB15_999
; %bb.742:                              ;   in Loop: Header=BB15_47 Depth=1
	s_mov_b32 s70, 1
.LBB15_743:                             ;   Parent Loop BB15_47 Depth=1
                                        ; =>  This Loop Header: Depth=2
                                        ;       Child Loop BB15_746 Depth 3
                                        ;         Child Loop BB15_754 Depth 4
                                        ;         Child Loop BB15_780 Depth 4
	;; [unrolled: 1-line block ×9, first 2 shown]
                                        ;           Child Loop BB15_840 Depth 5
                                        ;         Child Loop BB15_849 Depth 4
                                        ;         Child Loop BB15_854 Depth 4
                                        ;           Child Loop BB15_855 Depth 5
                                        ;         Child Loop BB15_827 Depth 4
                                        ;         Child Loop BB15_906 Depth 4
                                        ;       Child Loop BB15_925 Depth 3
                                        ;         Child Loop BB15_931 Depth 4
                                        ;         Child Loop BB15_961 Depth 4
	;; [unrolled: 1-line block ×3, first 2 shown]
	s_sub_i32 s22, s76, s70
	s_cmp_le_i32 s72, s22
	s_cselect_b32 s23, s72, 0
	s_sub_i32 s22, s22, s23
	v_accvgpr_read_b32 v8, a50
	s_ashr_i32 s23, s22, 31
	v_accvgpr_read_b32 v9, a51
	v_mul_lo_u32 v2, v8, s23
	v_mul_lo_u32 v6, v9, s22
	v_mad_u64_u32 v[4:5], s[22:23], v8, s22, 0
	v_add3_u32 v5, v5, v2, v6
	v_accvgpr_read_b32 v6, a52
	v_accvgpr_read_b32 v7, a53
	v_sub_co_u32_e32 v6, vcc, v6, v4
	v_mov_b32_e32 v14, 0
	s_nop 0
	v_subb_co_u32_e32 v7, vcc, v7, v5, vcc
	v_cmp_lt_i64_e32 vcc, v[8:9], v[6:7]
	s_nop 1
	v_cndmask_b32_e32 v2, v6, v8, vcc
	v_max_i32_e32 v60, 0, v2
	v_add_u32_e32 v6, 31, v60
	v_ashrrev_i32_e32 v7, 31, v6
	v_lshrrev_b32_e32 v7, 27, v7
	v_add_u32_e32 v6, v6, v7
	v_ashrrev_i32_e32 v6, 5, v6
	v_lshlrev_b32_e32 v6, 4, v6
	v_max_i32_e32 v12, s79, v6
	v_cmp_lt_i32_e32 vcc, 0, v2
	v_mov_b32_e32 v2, 0
	s_and_b64 s[22:23], s[50:51], vcc
	s_mov_b64 s[28:29], exec
	s_waitcnt vmcnt(0)
	v_accvgpr_read_b32 v20, a42
	s_and_b64 s[22:23], s[28:29], s[22:23]
	v_accvgpr_read_b32 v21, a43
	s_mov_b64 exec, s[22:23]
	s_cbranch_execz .LBB15_922
; %bb.744:                              ;   in Loop: Header=BB15_743 Depth=2
	v_accvgpr_read_b32 v6, a54
	v_accvgpr_read_b32 v7, a55
	v_lshl_add_u64 v[4:5], v[4:5], 0, v[6:7]
	v_lshlrev_b64 v[4:5], 1, v[4:5]
	v_accvgpr_write_b32 a57, v5
	s_mov_b32 s71, 1
	s_mov_b64 s[56:57], -1
	s_mov_b64 s[54:55], 0
	v_mov_b32_e32 v14, 0
	v_accvgpr_write_b32 a56, v4
	v_accvgpr_write_b32 a26, v60
	s_branch .LBB15_746
.LBB15_745:                             ;   in Loop: Header=BB15_746 Depth=3
	s_or_b64 exec, exec, s[22:23]
	v_add_u32_e32 v14, v12, v14
	v_cmp_ge_i32_e32 vcc, v14, v60
	s_xor_b64 s[22:23], s[56:57], -1
	s_or_b64 s[22:23], s[22:23], vcc
	s_and_b64 s[22:23], exec, s[22:23]
	s_or_b64 s[54:55], s[22:23], s[54:55]
	s_mov_b64 s[56:57], 0
	v_mov_b32_e32 v2, s71
	s_mov_b32 s71, 2
	s_andn2_b64 exec, exec, s[54:55]
	s_cbranch_execz .LBB15_921
.LBB15_746:                             ;   Parent Loop BB15_47 Depth=1
                                        ;     Parent Loop BB15_743 Depth=2
                                        ; =>    This Loop Header: Depth=3
                                        ;         Child Loop BB15_754 Depth 4
                                        ;         Child Loop BB15_780 Depth 4
	;; [unrolled: 1-line block ×9, first 2 shown]
                                        ;           Child Loop BB15_840 Depth 5
                                        ;         Child Loop BB15_849 Depth 4
                                        ;         Child Loop BB15_854 Depth 4
                                        ;           Child Loop BB15_855 Depth 5
                                        ;         Child Loop BB15_827 Depth 4
                                        ;         Child Loop BB15_906 Depth 4
	s_and_saveexec_b64 s[22:23], s[0:1]
	s_cbranch_execz .LBB15_748
; %bb.747:                              ;   in Loop: Header=BB15_746 Depth=3
	s_trap 2
	ds_read_b128 v[8:11], v0
	v_accvgpr_read_b32 v6, a56
	v_ashrrev_i32_e32 v15, 31, v14
	v_accvgpr_read_b32 v7, a57
	v_lshlrev_b64 v[4:5], 1, v[14:15]
	s_waitcnt lgkmcnt(0)
	v_lshl_add_u64 v[8:9], v[8:9], 0, v[6:7]
	v_lshl_add_u64 v[16:17], v[10:11], 0, v[6:7]
	;; [unrolled: 1-line block ×4, first 2 shown]
	v_cmp_ne_u64_e32 vcc, 0, v[10:11]
	ds_write_b64 v0, v[8:9]
	s_nop 0
	v_cndmask_b32_e32 v5, 0, v5, vcc
	v_cndmask_b32_e32 v4, 0, v4, vcc
	ds_write_b64 v0, v[4:5]
.LBB15_748:                             ;   in Loop: Header=BB15_746 Depth=3
	s_or_b64 exec, exec, s[22:23]
	v_and_b32_e32 v2, 12, v28
	v_cmp_ne_u32_e32 vcc, 0, v2
	s_mov_b64 s[24:25], -1
	s_and_saveexec_b64 s[22:23], vcc
	s_cbranch_execz .LBB15_760
; %bb.749:                              ;   in Loop: Header=BB15_746 Depth=3
	v_and_b32_e32 v2, 8, v28
	v_lshl_add_u64 v[8:9], v[56:57], 0, v[2:3]
	v_lshl_add_u64 v[4:5], v[44:45], 0, 2
	v_cmp_lt_u64_e32 vcc, v[8:9], v[4:5]
	v_mov_b32_e32 v8, 1
	s_and_saveexec_b64 s[24:25], vcc
	s_cbranch_execz .LBB15_759
; %bb.750:                              ;   in Loop: Header=BB15_746 Depth=3
	s_mov_b64 s[26:27], 0
	v_mov_b32_e32 v8, 0
                                        ; implicit-def: $sgpr58_sgpr59
	s_branch .LBB15_754
.LBB15_751:                             ;   in Loop: Header=BB15_754 Depth=4
	s_or_b64 exec, exec, s[66:67]
	v_mov_b32_e32 v9, 0
	s_orn2_b64 s[64:65], s[64:65], exec
.LBB15_752:                             ;   in Loop: Header=BB15_754 Depth=4
	s_or_b64 exec, exec, s[62:63]
	s_andn2_b64 vcc, s[58:59], exec
	s_and_b64 s[58:59], s[64:65], exec
	s_or_b64 s[58:59], vcc, s[58:59]
	v_mov_b32_e32 v8, v9
.LBB15_753:                             ;   in Loop: Header=BB15_754 Depth=4
	s_or_b64 exec, exec, s[60:61]
	s_waitcnt vmcnt(0) lgkmcnt(0)
	v_lshl_add_u64 v[10:11], v[56:57], 0, v[2:3]
	v_cmp_ge_u64_e32 vcc, v[10:11], v[4:5]
	s_xor_b64 s[60:61], s[58:59], -1
	s_or_b64 vcc, s[60:61], vcc
	s_and_b64 vcc, exec, vcc
	s_or_b64 s[26:27], vcc, s[26:27]
	s_andn2_b64 exec, exec, s[26:27]
	s_cbranch_execz .LBB15_758
.LBB15_754:                             ;   Parent Loop BB15_47 Depth=1
                                        ;     Parent Loop BB15_743 Depth=2
                                        ;       Parent Loop BB15_746 Depth=3
                                        ; =>      This Inner Loop Header: Depth=4
	s_sleep 1
	flat_load_dwordx2 v[56:57], v[42:43] sc0 sc1
	v_and_b32_e32 v6, 64, v28
	v_cmp_eq_u32_e32 vcc, 0, v6
	s_andn2_b64 s[58:59], s[58:59], exec
	s_and_saveexec_b64 s[60:61], vcc
	s_cbranch_execz .LBB15_753
; %bb.755:                              ;   in Loop: Header=BB15_754 Depth=4
	v_add_u32_e32 v9, 1, v8
	v_cmp_lt_i32_e32 vcc, s83, v8
	s_mov_b64 s[64:65], -1
	s_and_saveexec_b64 s[62:63], vcc
	s_cbranch_execz .LBB15_752
; %bb.756:                              ;   in Loop: Header=BB15_754 Depth=4
	s_trap 2
	ds_read_b64 v[8:9], v0
	s_waitcnt vmcnt(0) lgkmcnt(0)
	flat_load_dword v8, v[8:9] sc0 sc1
	s_waitcnt vmcnt(0) lgkmcnt(0)
	buffer_inv sc0 sc1
	v_cmp_ne_u32_e32 vcc, 0, v8
	s_and_saveexec_b64 s[66:67], vcc
	s_cbranch_execz .LBB15_751
; %bb.757:                              ;   in Loop: Header=BB15_754 Depth=4
	v_or_b32_e32 v28, 64, v28
	s_xor_b64 s[64:65], exec, -1
	ds_write_b32 v0, v8
	s_trap 2
	s_branch .LBB15_751
.LBB15_758:                             ;   in Loop: Header=BB15_746 Depth=3
	s_or_b64 exec, exec, s[26:27]
	v_and_b32_e32 v8, 12, v28
.LBB15_759:                             ;   in Loop: Header=BB15_746 Depth=3
	s_or_b64 exec, exec, s[24:25]
	v_cmp_eq_u32_e32 vcc, 0, v8
	s_orn2_b64 s[24:25], vcc, exec
	;;#ASMSTART
	s_wakeup
	;;#ASMEND
.LBB15_760:                             ;   in Loop: Header=BB15_746 Depth=3
	s_or_b64 exec, exec, s[22:23]
	v_sub_u32_e32 v2, v60, v14
	s_xor_b64 s[22:23], s[24:25], -1
	v_min_i32_e32 v12, v12, v2
	s_and_saveexec_b64 s[24:25], s[22:23]
	s_cbranch_execz .LBB15_772
; %bb.761:                              ;   in Loop: Header=BB15_746 Depth=3
	v_and_b32_e32 v2, 0x108, v28
	v_cmp_ne_u32_e32 vcc, s84, v2
	v_and_b32_e32 v2, 7, v44
	s_and_saveexec_b64 s[22:23], vcc
	s_xor_b64 s[22:23], exec, s[22:23]
	s_andn2_saveexec_b64 s[22:23], s[22:23]
	s_cbranch_execz .LBB15_763
; %bb.762:                              ;   in Loop: Header=BB15_746 Depth=3
	v_ashrrev_i32_e32 v13, 31, v12
	v_mad_u64_u32 v[4:5], s[26:27], v2, 24, v[52:53]
	v_lshlrev_b64 v[8:9], 1, v[12:13]
	flat_store_dwordx2 v[4:5], v[8:9] offset:8
.LBB15_763:                             ;   in Loop: Header=BB15_746 Depth=3
	s_or_b64 exec, exec, s[22:23]
	v_and_b32_e32 v4, 0x100, v28
	v_cmp_ne_u32_e32 vcc, 0, v4
	s_mov_b64 s[22:23], -1
                                        ; implicit-def: $vgpr4_vgpr5
	s_and_saveexec_b64 s[26:27], vcc
	s_cbranch_execz .LBB15_767
; %bb.764:                              ;   in Loop: Header=BB15_746 Depth=3
	v_mad_u64_u32 v[8:9], s[22:23], v2, 24, v[52:53]
	v_mov_b32_e32 v4, v9
	v_mad_u64_u32 v[4:5], s[22:23], v3, 24, v[4:5]
	v_mov_b32_e32 v9, v4
	flat_load_dword v4, v[8:9]
	s_waitcnt vmcnt(0) lgkmcnt(0)
	v_cmp_ne_u32_e32 vcc, 1, v4
	v_cmp_eq_u32_e64 s[22:23], 1, v4
                                        ; implicit-def: $vgpr4_vgpr5
	s_and_saveexec_b64 s[58:59], s[22:23]
	s_cbranch_execz .LBB15_766
; %bb.765:                              ;   in Loop: Header=BB15_746 Depth=3
	flat_load_dword v4, v[8:9] offset:4 sc0 sc1
	s_waitcnt vmcnt(0) lgkmcnt(0)
	v_ashrrev_i32_e32 v5, 31, v4
	v_lshrrev_b64 v[4:5], 1, v[4:5]
.LBB15_766:                             ;   in Loop: Header=BB15_746 Depth=3
	s_or_b64 exec, exec, s[58:59]
	s_orn2_b64 s[22:23], vcc, exec
.LBB15_767:                             ;   in Loop: Header=BB15_746 Depth=3
	s_or_b64 exec, exec, s[26:27]
	s_and_saveexec_b64 s[26:27], s[22:23]
; %bb.768:                              ;   in Loop: Header=BB15_746 Depth=3
	v_mul_lo_u32 v6, v3, v40
	v_mul_lo_u32 v7, v2, v39
	v_mad_u64_u32 v[4:5], s[22:23], v2, v40, 0
	v_add3_u32 v5, v5, v7, v6
; %bb.769:                              ;   in Loop: Header=BB15_746 Depth=3
	s_or_b64 exec, exec, s[26:27]
	v_and_b32_e32 v2, 0x2000, v28
	v_lshl_add_u64 v[4:5], v[4:5], 1, v[48:49]
	v_cmp_ne_u32_e32 vcc, 0, v2
	s_trap 2
	ds_write_b64 v0, v[4:5]
	s_and_saveexec_b64 s[22:23], vcc
	s_cbranch_execz .LBB15_771
; %bb.770:                              ;   in Loop: Header=BB15_746 Depth=3
	ds_read_b64 v[4:5], v0 offset:584
	s_waitcnt lgkmcnt(0)
	v_lshl_add_u64 v[4:5], v[4:5], 0, 1
	ds_write_b64 v0, v[4:5] offset:584
.LBB15_771:                             ;   in Loop: Header=BB15_746 Depth=3
	s_or_b64 exec, exec, s[22:23]
	v_lshl_add_u64 v[44:45], v[44:45], 0, 2
.LBB15_772:                             ;   in Loop: Header=BB15_746 Depth=3
	s_or_b64 exec, exec, s[24:25]
	s_and_saveexec_b64 s[22:23], s[4:5]
	s_cbranch_execz .LBB15_791
; %bb.773:                              ;   in Loop: Header=BB15_746 Depth=3
	s_and_saveexec_b64 s[24:25], s[38:39]
	s_xor_b64 s[24:25], exec, s[24:25]
	s_cbranch_execz .LBB15_788
; %bb.774:                              ;   in Loop: Header=BB15_746 Depth=3
	s_and_saveexec_b64 s[26:27], s[12:13]
	s_cbranch_execz .LBB15_787
; %bb.775:                              ;   in Loop: Header=BB15_746 Depth=3
	s_mov_b64 s[60:61], exec
	v_mbcnt_lo_u32_b32 v2, s60, 0
	v_mbcnt_hi_u32_b32 v2, s61, v2
	v_cmp_eq_u32_e32 vcc, 0, v2
	s_waitcnt lgkmcnt(0)
	s_and_saveexec_b64 s[58:59], vcc
	s_cbranch_execz .LBB15_777
; %bb.776:                              ;   in Loop: Header=BB15_746 Depth=3
	s_bcnt1_i32_b64 vcc_lo, s[60:61]
	v_mov_b32_e32 v2, vcc_lo
	ds_add_u64 v0, v[2:3]
	s_trap 2
.LBB15_777:                             ;   in Loop: Header=BB15_746 Depth=3
	s_or_b64 exec, exec, s[58:59]
	s_trap 2
	ds_read_b64 v[4:5], v0
	v_lshl_add_u64 v[54:55], v[54:55], 0, v[36:37]
	s_waitcnt lgkmcnt(0)
	v_cmp_lt_u64_e32 vcc, v[4:5], v[54:55]
	s_and_saveexec_b64 s[58:59], vcc
	s_cbranch_execz .LBB15_786
; %bb.778:                              ;   in Loop: Header=BB15_746 Depth=3
	s_mov_b32 s95, 0
	s_mov_b64 s[60:61], 0
                                        ; implicit-def: $sgpr62_sgpr63
                                        ; implicit-def: $sgpr64_sgpr65
	s_branch .LBB15_780
.LBB15_779:                             ;   in Loop: Header=BB15_780 Depth=4
	s_or_b64 exec, exec, s[68:69]
	s_and_b64 vcc, exec, vcc
	s_or_b64 s[60:61], vcc, s[60:61]
	s_andn2_b64 vcc, s[62:63], exec
	s_and_b64 s[62:63], s[64:65], exec
	s_or_b64 s[62:63], vcc, s[62:63]
	s_andn2_b64 exec, exec, s[60:61]
	s_cbranch_execz .LBB15_784
.LBB15_780:                             ;   Parent Loop BB15_47 Depth=1
                                        ;     Parent Loop BB15_743 Depth=2
                                        ;       Parent Loop BB15_746 Depth=3
                                        ; =>      This Inner Loop Header: Depth=4
	s_add_i32 s95, s95, 1
	s_cmpk_lg_i32 s95, 0x2710
	s_cselect_b64 s[66:67], -1, 0
	s_and_b64 vcc, exec, s[66:67]
                                        ; implicit-def: $sgpr68_sgpr69
	s_cbranch_vccnz .LBB15_782
; %bb.781:                              ;   in Loop: Header=BB15_780 Depth=4
	s_trap 2
	ds_read_b64 v[4:5], v0
	s_andn2_b64 s[66:67], s[66:67], exec
	s_mov_b32 s95, 0
	s_mov_b64 s[68:69], -1
	s_waitcnt vmcnt(0) lgkmcnt(0)
	flat_load_dword v2, v[4:5] sc0 sc1
	s_waitcnt vmcnt(0) lgkmcnt(0)
	buffer_inv sc0 sc1
	v_cmp_eq_u32_e32 vcc, 0, v2
	s_and_b64 vcc, vcc, exec
	s_or_b64 s[66:67], s[66:67], vcc
.LBB15_782:                             ;   in Loop: Header=BB15_780 Depth=4
	s_andn2_b64 s[64:65], s[64:65], exec
	s_and_b64 s[68:69], s[68:69], exec
	s_mov_b64 vcc, -1
	s_or_b64 s[64:65], s[64:65], s[68:69]
	s_and_saveexec_b64 s[68:69], s[66:67]
	s_cbranch_execz .LBB15_779
; %bb.783:                              ;   in Loop: Header=BB15_780 Depth=4
	s_sleep 1
	s_trap 2
	ds_read_b64 v[4:5], v0
	s_andn2_b64 s[64:65], s[64:65], exec
	s_waitcnt lgkmcnt(0)
	v_cmp_ge_u64_e32 vcc, v[4:5], v[54:55]
	s_orn2_b64 vcc, vcc, exec
	s_branch .LBB15_779
.LBB15_784:                             ;   in Loop: Header=BB15_746 Depth=3
	s_or_b64 exec, exec, s[60:61]
	s_and_saveexec_b64 vcc, s[62:63]
	s_xor_b64 vcc, exec, vcc
	s_cbranch_execz .LBB15_786
; %bb.785:                              ;   in Loop: Header=BB15_746 Depth=3
	ds_write_b32 v0, v59
	s_trap 2
.LBB15_786:                             ;   in Loop: Header=BB15_746 Depth=3
	s_or_b64 exec, exec, s[58:59]
	;;#ASMSTART
	s_wakeup
	;;#ASMEND
.LBB15_787:                             ;   in Loop: Header=BB15_746 Depth=3
	s_or_b64 exec, exec, s[26:27]
.LBB15_788:                             ;   in Loop: Header=BB15_746 Depth=3
	s_andn2_saveexec_b64 s[24:25], s[24:25]
	s_cbranch_execz .LBB15_790
; %bb.789:                              ;   in Loop: Header=BB15_746 Depth=3
	s_waitcnt lgkmcnt(0)
	s_barrier
.LBB15_790:                             ;   in Loop: Header=BB15_746 Depth=3
	s_or_b64 exec, exec, s[24:25]
.LBB15_791:                             ;   in Loop: Header=BB15_746 Depth=3
	s_or_b64 exec, exec, s[22:23]
	s_trap 2
	ds_read_b32 v4, v0
	v_and_b32_e32 v2, 0x4000, v28
	v_cmp_ne_u32_e32 vcc, 0, v2
	s_xor_b64 s[22:23], s[2:3], -1
	s_and_b64 s[24:25], s[22:23], vcc
	s_and_saveexec_b64 s[22:23], s[24:25]
	s_cbranch_execz .LBB15_810
; %bb.792:                              ;   in Loop: Header=BB15_746 Depth=3
	s_and_saveexec_b64 s[24:25], s[38:39]
	s_xor_b64 s[24:25], exec, s[24:25]
	s_cbranch_execz .LBB15_807
; %bb.793:                              ;   in Loop: Header=BB15_746 Depth=3
	s_and_saveexec_b64 s[26:27], s[12:13]
	s_cbranch_execz .LBB15_806
; %bb.794:                              ;   in Loop: Header=BB15_746 Depth=3
	s_mov_b64 s[60:61], exec
	v_mbcnt_lo_u32_b32 v2, s60, 0
	v_mbcnt_hi_u32_b32 v2, s61, v2
	v_cmp_eq_u32_e32 vcc, 0, v2
	s_waitcnt lgkmcnt(0)
	s_and_saveexec_b64 s[58:59], vcc
	s_cbranch_execz .LBB15_796
; %bb.795:                              ;   in Loop: Header=BB15_746 Depth=3
	s_bcnt1_i32_b64 vcc_lo, s[60:61]
	v_mov_b32_e32 v2, vcc_lo
	ds_add_u64 v0, v[2:3]
	s_trap 2
.LBB15_796:                             ;   in Loop: Header=BB15_746 Depth=3
	s_or_b64 exec, exec, s[58:59]
	s_trap 2
	ds_read_b64 v[8:9], v0
	v_lshl_add_u64 v[54:55], v[54:55], 0, v[36:37]
	s_waitcnt lgkmcnt(0)
	v_cmp_lt_u64_e32 vcc, v[8:9], v[54:55]
	s_and_saveexec_b64 s[58:59], vcc
	s_cbranch_execz .LBB15_805
; %bb.797:                              ;   in Loop: Header=BB15_746 Depth=3
	s_mov_b32 s95, 0
	s_mov_b64 s[60:61], 0
                                        ; implicit-def: $sgpr62_sgpr63
                                        ; implicit-def: $sgpr64_sgpr65
	s_branch .LBB15_799
.LBB15_798:                             ;   in Loop: Header=BB15_799 Depth=4
	s_or_b64 exec, exec, s[68:69]
	s_and_b64 vcc, exec, vcc
	s_or_b64 s[60:61], vcc, s[60:61]
	s_andn2_b64 vcc, s[62:63], exec
	s_and_b64 s[62:63], s[64:65], exec
	s_or_b64 s[62:63], vcc, s[62:63]
	s_andn2_b64 exec, exec, s[60:61]
	s_cbranch_execz .LBB15_803
.LBB15_799:                             ;   Parent Loop BB15_47 Depth=1
                                        ;     Parent Loop BB15_743 Depth=2
                                        ;       Parent Loop BB15_746 Depth=3
                                        ; =>      This Inner Loop Header: Depth=4
	s_add_i32 s95, s95, 1
	s_cmpk_lg_i32 s95, 0x2710
	s_cselect_b64 s[66:67], -1, 0
	s_and_b64 vcc, exec, s[66:67]
                                        ; implicit-def: $sgpr68_sgpr69
	s_cbranch_vccnz .LBB15_801
; %bb.800:                              ;   in Loop: Header=BB15_799 Depth=4
	s_trap 2
	ds_read_b64 v[8:9], v0
	s_andn2_b64 s[66:67], s[66:67], exec
	s_mov_b32 s95, 0
	s_mov_b64 s[68:69], -1
	s_waitcnt vmcnt(0) lgkmcnt(0)
	flat_load_dword v2, v[8:9] sc0 sc1
	s_waitcnt vmcnt(0) lgkmcnt(0)
	buffer_inv sc0 sc1
	v_cmp_eq_u32_e32 vcc, 0, v2
	s_and_b64 vcc, vcc, exec
	s_or_b64 s[66:67], s[66:67], vcc
.LBB15_801:                             ;   in Loop: Header=BB15_799 Depth=4
	s_andn2_b64 s[64:65], s[64:65], exec
	s_and_b64 s[68:69], s[68:69], exec
	s_mov_b64 vcc, -1
	s_or_b64 s[64:65], s[64:65], s[68:69]
	s_and_saveexec_b64 s[68:69], s[66:67]
	s_cbranch_execz .LBB15_798
; %bb.802:                              ;   in Loop: Header=BB15_799 Depth=4
	s_sleep 1
	s_trap 2
	ds_read_b64 v[8:9], v0
	s_andn2_b64 s[64:65], s[64:65], exec
	s_waitcnt lgkmcnt(0)
	v_cmp_ge_u64_e32 vcc, v[8:9], v[54:55]
	s_orn2_b64 vcc, vcc, exec
	s_branch .LBB15_798
.LBB15_803:                             ;   in Loop: Header=BB15_746 Depth=3
	s_or_b64 exec, exec, s[60:61]
	s_and_saveexec_b64 vcc, s[62:63]
	s_xor_b64 vcc, exec, vcc
	s_cbranch_execz .LBB15_805
; %bb.804:                              ;   in Loop: Header=BB15_746 Depth=3
	ds_write_b32 v0, v59
	s_trap 2
.LBB15_805:                             ;   in Loop: Header=BB15_746 Depth=3
	s_or_b64 exec, exec, s[58:59]
	;;#ASMSTART
	s_wakeup
	;;#ASMEND
.LBB15_806:                             ;   in Loop: Header=BB15_746 Depth=3
	s_or_b64 exec, exec, s[26:27]
.LBB15_807:                             ;   in Loop: Header=BB15_746 Depth=3
	s_andn2_saveexec_b64 s[24:25], s[24:25]
	s_cbranch_execz .LBB15_809
; %bb.808:                              ;   in Loop: Header=BB15_746 Depth=3
	s_waitcnt lgkmcnt(0)
	s_barrier
.LBB15_809:                             ;   in Loop: Header=BB15_746 Depth=3
	s_or_b64 exec, exec, s[24:25]
.LBB15_810:                             ;   in Loop: Header=BB15_746 Depth=3
	s_or_b64 exec, exec, s[22:23]
	s_trap 2
	ds_read_b64 v[8:9], v0
	v_mov_b32_e32 v13, 0
	s_waitcnt lgkmcnt(0)
	v_readfirstlane_b32 s22, v8
	v_readfirstlane_b32 s23, v9
	s_cmp_eq_u64 s[22:23], 0
	s_cselect_b64 s[22:23], -1, 0
	s_or_b64 s[22:23], s[22:23], s[22:23]
	s_and_b64 vcc, exec, s[22:23]
	s_cbranch_vccnz .LBB15_819
; %bb.811:                              ;   in Loop: Header=BB15_746 Depth=3
	s_trap 2
	ds_read_b64 v[8:9], v0
	v_cmp_eq_u32_e32 vcc, 0, v4
	s_nop 1
	v_cndmask_b32_e32 v13, 0, v12, vcc
	s_waitcnt lgkmcnt(0)
	v_cmp_ne_u64_e32 vcc, 0, v[8:9]
	v_lshlrev_b32_e32 v2, 1, v13
	s_cbranch_vccz .LBB15_831
; %bb.812:                              ;   in Loop: Header=BB15_746 Depth=3
	s_mov_b64 s[24:25], -1
	s_and_saveexec_b64 s[22:23], s[16:17]
	s_cbranch_execz .LBB15_814
; %bb.813:                              ;   in Loop: Header=BB15_746 Depth=3
	ds_read_b32 v4, v0 offset:720
	s_waitcnt lgkmcnt(0)
	v_and_b32_e32 v4, 15, v4
	v_cmp_eq_u32_e32 vcc, 0, v4
	s_orn2_b64 s[24:25], vcc, exec
.LBB15_814:                             ;   in Loop: Header=BB15_746 Depth=3
	s_or_b64 exec, exec, s[22:23]
	s_and_saveexec_b64 s[22:23], s[18:19]
	s_cbranch_execz .LBB15_816
; %bb.815:                              ;   in Loop: Header=BB15_746 Depth=3
	ds_read_b32 v4, v0 offset:784
	s_waitcnt lgkmcnt(0)
	v_and_b32_e32 v4, 15, v4
	v_cmp_eq_u32_e32 vcc, 0, v4
	s_and_b64 s[26:27], s[24:25], vcc
	s_andn2_b64 s[24:25], s[24:25], exec
	s_and_b64 s[26:27], s[26:27], exec
	s_or_b64 s[24:25], s[24:25], s[26:27]
.LBB15_816:                             ;   in Loop: Header=BB15_746 Depth=3
	s_or_b64 exec, exec, s[22:23]
	s_xor_b64 s[24:25], s[24:25], -1
	v_cndmask_b32_e64 v4, 0, 1, s[24:25]
	;;#ASMSTART
	;;#ASMEND
	s_mov_b64 s[22:23], -1
	v_cmp_ne_u32_e32 vcc, 0, v4
	v_mov_b32_e32 v15, 0
	v_mov_b32_e32 v18, v2
	;; [unrolled: 1-line block ×4, first 2 shown]
	s_cbranch_vccz .LBB15_832
; %bb.817:                              ;   in Loop: Header=BB15_746 Depth=3
	s_and_saveexec_b64 s[26:27], s[22:23]
	s_cbranch_execnz .LBB15_847
.LBB15_818:                             ;   in Loop: Header=BB15_746 Depth=3
	s_or_b64 exec, exec, s[26:27]
.LBB15_819:                             ;   in Loop: Header=BB15_746 Depth=3
	s_and_saveexec_b64 s[22:23], s[4:5]
	s_cbranch_execz .LBB15_865
.LBB15_820:                             ;   in Loop: Header=BB15_746 Depth=3
	s_and_saveexec_b64 s[24:25], s[38:39]
	s_xor_b64 s[24:25], exec, s[24:25]
	s_cbranch_execz .LBB15_895
; %bb.821:                              ;   in Loop: Header=BB15_746 Depth=3
	s_and_saveexec_b64 s[26:27], s[12:13]
	s_cbranch_execz .LBB15_894
; %bb.822:                              ;   in Loop: Header=BB15_746 Depth=3
	s_mov_b64 s[60:61], exec
	v_mbcnt_lo_u32_b32 v2, s60, 0
	v_mbcnt_hi_u32_b32 v2, s61, v2
	v_cmp_eq_u32_e32 vcc, 0, v2
	s_waitcnt lgkmcnt(0)
	s_and_saveexec_b64 s[58:59], vcc
	s_cbranch_execz .LBB15_824
; %bb.823:                              ;   in Loop: Header=BB15_746 Depth=3
	s_bcnt1_i32_b64 vcc_lo, s[60:61]
	v_mov_b32_e32 v2, vcc_lo
	ds_add_u64 v0, v[2:3]
	s_trap 2
.LBB15_824:                             ;   in Loop: Header=BB15_746 Depth=3
	s_or_b64 exec, exec, s[58:59]
	s_trap 2
	ds_read_b64 v[4:5], v0
	v_lshl_add_u64 v[54:55], v[54:55], 0, v[36:37]
	s_waitcnt lgkmcnt(0)
	v_cmp_lt_u64_e32 vcc, v[4:5], v[54:55]
	s_and_saveexec_b64 s[58:59], vcc
	s_cbranch_execz .LBB15_893
; %bb.825:                              ;   in Loop: Header=BB15_746 Depth=3
	s_mov_b32 s95, 0
	s_mov_b64 s[60:61], 0
                                        ; implicit-def: $sgpr62_sgpr63
                                        ; implicit-def: $sgpr64_sgpr65
	s_branch .LBB15_827
.LBB15_826:                             ;   in Loop: Header=BB15_827 Depth=4
	s_or_b64 exec, exec, s[68:69]
	s_and_b64 vcc, exec, vcc
	s_or_b64 s[60:61], vcc, s[60:61]
	s_andn2_b64 vcc, s[62:63], exec
	s_and_b64 s[62:63], s[64:65], exec
	s_or_b64 s[62:63], vcc, s[62:63]
	s_andn2_b64 exec, exec, s[60:61]
	s_cbranch_execz .LBB15_891
.LBB15_827:                             ;   Parent Loop BB15_47 Depth=1
                                        ;     Parent Loop BB15_743 Depth=2
                                        ;       Parent Loop BB15_746 Depth=3
                                        ; =>      This Inner Loop Header: Depth=4
	s_add_i32 s95, s95, 1
	s_cmpk_lg_i32 s95, 0x2710
	s_cselect_b64 s[66:67], -1, 0
	s_and_b64 vcc, exec, s[66:67]
                                        ; implicit-def: $sgpr68_sgpr69
	s_cbranch_vccnz .LBB15_829
; %bb.828:                              ;   in Loop: Header=BB15_827 Depth=4
	s_trap 2
	ds_read_b64 v[4:5], v0
	s_andn2_b64 s[66:67], s[66:67], exec
	s_mov_b32 s95, 0
	s_mov_b64 s[68:69], -1
	s_waitcnt vmcnt(0) lgkmcnt(0)
	flat_load_dword v2, v[4:5] sc0 sc1
	s_waitcnt vmcnt(0) lgkmcnt(0)
	buffer_inv sc0 sc1
	v_cmp_eq_u32_e32 vcc, 0, v2
	s_and_b64 vcc, vcc, exec
	s_or_b64 s[66:67], s[66:67], vcc
.LBB15_829:                             ;   in Loop: Header=BB15_827 Depth=4
	s_andn2_b64 s[64:65], s[64:65], exec
	s_and_b64 s[68:69], s[68:69], exec
	s_mov_b64 vcc, -1
	s_or_b64 s[64:65], s[64:65], s[68:69]
	s_and_saveexec_b64 s[68:69], s[66:67]
	s_cbranch_execz .LBB15_826
; %bb.830:                              ;   in Loop: Header=BB15_827 Depth=4
	s_sleep 1
	s_trap 2
	ds_read_b64 v[4:5], v0
	s_andn2_b64 s[64:65], s[64:65], exec
	s_waitcnt lgkmcnt(0)
	v_cmp_ge_u64_e32 vcc, v[4:5], v[54:55]
	s_orn2_b64 vcc, vcc, exec
	s_branch .LBB15_826
.LBB15_831:                             ;   in Loop: Header=BB15_746 Depth=3
	s_cbranch_execnz .LBB15_858
	s_branch .LBB15_819
.LBB15_832:                             ;   in Loop: Header=BB15_746 Depth=3
	v_ashrrev_i32_e32 v4, 31, v2
	v_lshrrev_b32_e32 v4, 20, v4
	v_add_u32_e32 v4, v2, v4
	v_ashrrev_i32_e32 v15, 12, v4
	v_sub_u32_e32 v16, v15, v38
	v_cmp_lt_i32_e32 vcc, 0, v16
	s_and_saveexec_b64 s[22:23], vcc
	s_cbranch_execz .LBB15_836
; %bb.833:                              ;   in Loop: Header=BB15_746 Depth=3
	s_trap 2
	ds_read_b64 v[4:5], v0
	ds_read_b128 v[8:11], v0
	v_accvgpr_read_b32 v6, a40
	v_accvgpr_read_b32 v7, a41
	s_mov_b64 s[24:25], 0
	s_waitcnt lgkmcnt(0)
	v_lshl_add_u64 v[4:5], v[4:5], 0, v[6:7]
	v_lshl_add_u64 v[8:9], v[8:9], 0, v[6:7]
	;; [unrolled: 1-line block ×3, first 2 shown]
	v_mov_b64_e32 v[0:1], v[36:37]
.LBB15_834:                             ;   Parent Loop BB15_47 Depth=1
                                        ;     Parent Loop BB15_743 Depth=2
                                        ;       Parent Loop BB15_746 Depth=3
                                        ; =>      This Inner Loop Header: Depth=4
	global_load_dwordx4 v[22:25], v[4:5], off nt
	global_load_dwordx4 v[30:33], v[4:5], off offset:1024 nt
	global_load_dwordx4 v[34:37], v[4:5], off offset:2048 nt
	;; [unrolled: 1-line block ×3, first 2 shown]
	v_sub_u32_e32 v16, v16, v0
	v_cmp_gt_i32_e32 vcc, 1, v16
	v_lshl_add_u64 v[4:5], v[4:5], 0, v[20:21]
	s_or_b64 s[24:25], vcc, s[24:25]
	s_waitcnt vmcnt(0)
	global_store_dwordx4 v[8:9], v[22:25], off nt
	global_store_dwordx4 v[8:9], v[30:33], off offset:1024 nt
	global_store_dwordx4 v[8:9], v[34:37], off offset:2048 nt
	global_store_dwordx4 v[8:9], v[48:51], off offset:3072 nt
	global_store_dwordx4 v[10:11], v[22:25], off nt
	global_store_dwordx4 v[10:11], v[30:33], off offset:1024 nt
	global_store_dwordx4 v[10:11], v[34:37], off offset:2048 nt
	;; [unrolled: 1-line block ×3, first 2 shown]
	v_lshl_add_u64 v[8:9], v[8:9], 0, v[20:21]
	v_lshl_add_u64 v[10:11], v[10:11], 0, v[20:21]
	s_andn2_b64 exec, exec, s[24:25]
	s_cbranch_execnz .LBB15_834
; %bb.835:                              ;   in Loop: Header=BB15_746 Depth=3
	s_or_b64 exec, exec, s[24:25]
	v_accvgpr_read_b32 v49, a19
	v_accvgpr_read_b32 v51, a21
	;; [unrolled: 1-line block ×5, first 2 shown]
	v_mov_b64_e32 v[36:37], v[0:1]
	v_accvgpr_read_b32 v0, a48
	v_accvgpr_read_b32 v48, a18
	;; [unrolled: 1-line block ×7, first 2 shown]
.LBB15_836:                             ;   in Loop: Header=BB15_746 Depth=3
	s_or_b64 exec, exec, s[22:23]
	v_lshlrev_b32_e32 v21, 12, v15
	v_cmp_ne_u32_e32 vcc, v2, v21
	s_mov_b64 s[22:23], 0
	v_mov_b32_e32 v15, 0
                                        ; implicit-def: $vgpr18
                                        ; implicit-def: $vgpr19
                                        ; implicit-def: $vgpr4
	s_and_saveexec_b64 s[58:59], vcc
	s_cbranch_execz .LBB15_846
; %bb.837:                              ;   in Loop: Header=BB15_746 Depth=3
	v_lshlrev_b32_e32 v4, 6, v16
	v_accvgpr_read_b32 v6, a33
	v_sub_u32_e32 v4, v6, v4
	v_ashrrev_i32_e32 v6, 31, v4
	v_lshrrev_b32_e32 v6, 26, v6
	v_add_u32_e32 v6, v4, v6
	v_sub_u32_e32 v5, v2, v21
	v_ashrrev_i32_e32 v7, 6, v6
	v_and_b32_e32 v6, 0xffffffc0, v6
	v_sub_u32_e32 v22, v4, v6
	v_ashrrev_i32_e32 v6, 31, v5
	v_lshrrev_b32_e32 v6, 22, v6
	v_add_u32_e32 v6, v5, v6
	v_and_b32_e32 v23, 0xfffffc00, v6
	v_lshlrev_b32_e32 v4, 4, v22
	v_sub_u32_e32 v25, v5, v23
	v_lshl_add_u32 v4, v7, 10, v4
	v_ashrrev_i32_e32 v8, 10, v6
	v_cmp_lt_i32_e64 s[22:23], 15, v25
	v_sub_u32_e32 v15, v5, v4
	s_nop 0
	v_addc_co_u32_e64 v5, vcc, 0, v8, s[22:23]
	v_sub_u32_e32 v24, v5, v7
	v_cmp_lt_i32_e32 vcc, 15, v15
	s_and_saveexec_b64 s[60:61], vcc
	s_cbranch_execz .LBB15_843
; %bb.838:                              ;   in Loop: Header=BB15_746 Depth=3
	s_trap 2
	ds_read_b64 v[6:7], v0
	ds_read_b128 v[8:11], v0
	v_add_u32_e32 v18, v4, v21
	v_ashrrev_i32_e32 v19, 31, v18
	s_mov_b64 s[62:63], 0
	s_waitcnt lgkmcnt(0)
	v_lshl_add_u64 v[4:5], v[6:7], 0, v[18:19]
	v_lshl_add_u64 v[16:17], v[8:9], 0, v[18:19]
	;; [unrolled: 1-line block ×3, first 2 shown]
.LBB15_839:                             ;   Parent Loop BB15_47 Depth=1
                                        ;     Parent Loop BB15_743 Depth=2
                                        ;       Parent Loop BB15_746 Depth=3
                                        ; =>      This Loop Header: Depth=4
                                        ;           Child Loop BB15_840 Depth 5
	global_load_dwordx4 v[8:11], v[4:5], off nt
	s_mov_b64 s[66:67], -1
	s_mov_b64 s[64:65], 0
	s_waitcnt vmcnt(0)
.LBB15_840:                             ;   Parent Loop BB15_47 Depth=1
                                        ;     Parent Loop BB15_743 Depth=2
                                        ;       Parent Loop BB15_746 Depth=3
                                        ;         Parent Loop BB15_839 Depth=4
                                        ; =>        This Inner Loop Header: Depth=5
	s_cmp_eq_u32 s64, 0
	s_cselect_b64 s[24:25], -1, 0
	s_cmp_eq_u32 s64, 1
	v_cndmask_b32_e64 v6, 0, 1, s[66:67]
	s_cselect_b64 s[26:27], -1, 0
	v_cmp_ne_u32_e32 vcc, 1, v6
	v_cndmask_b32_e64 v7, v17, v19, s[26:27]
	v_cndmask_b32_e64 v6, v16, v18, s[26:27]
	global_store_dwordx4 v[6:7], v[8:11], off nt
	v_lshl_add_u64 v[6:7], v[6:7], 0, s[40:41]
	s_mov_b64 s[66:67], 0
	s_mov_b64 s[64:65], 1
	s_and_b64 vcc, exec, vcc
	v_cndmask_b32_e64 v19, v19, v7, s[26:27]
	v_cndmask_b32_e64 v18, v18, v6, s[26:27]
	;; [unrolled: 1-line block ×4, first 2 shown]
	s_cbranch_vccz .LBB15_840
; %bb.841:                              ;   in Loop: Header=BB15_839 Depth=4
	v_sub_u32_e32 v15, v15, v29
	v_cmp_gt_i32_e32 vcc, 16, v15
	v_lshl_add_u64 v[16:17], v[16:17], 0, v[26:27]
	v_lshl_add_u64 v[18:19], v[18:19], 0, v[26:27]
	;; [unrolled: 1-line block ×3, first 2 shown]
	s_or_b64 s[62:63], vcc, s[62:63]
	v_sub_u32_e32 v24, v24, v36
	s_andn2_b64 exec, exec, s[62:63]
	s_cbranch_execnz .LBB15_839
; %bb.842:                              ;   in Loop: Header=BB15_746 Depth=3
	s_or_b64 exec, exec, s[62:63]
.LBB15_843:                             ;   in Loop: Header=BB15_746 Depth=3
	s_or_b64 exec, exec, s[60:61]
	v_and_b32_e32 v5, 14, v2
	v_cndmask_b32_e64 v18, v25, v5, s[22:23]
	v_cmp_ne_u32_e32 vcc, 0, v18
	s_mov_b64 s[24:25], 0
	v_mov_b32_e32 v15, 0
                                        ; implicit-def: $vgpr19
                                        ; implicit-def: $vgpr4
	s_and_saveexec_b64 s[26:27], vcc
	s_cbranch_execz .LBB15_845
; %bb.844:                              ;   in Loop: Header=BB15_746 Depth=3
	v_sub_u32_e32 v4, v25, v5
	v_cndmask_b32_e64 v4, 0, v4, s[22:23]
	v_cmp_lt_i32_e32 vcc, 0, v24
	v_add3_u32 v15, v23, v21, v4
	s_mov_b64 s[24:25], exec
	v_cndmask_b32_e32 v4, 0, v36, vcc
	v_sub_u32_e32 v4, v4, v24
	v_lshl_add_u32 v19, v4, 6, v22
	v_ashrrev_i32_e32 v4, 31, v19
	v_lshrrev_b32_e32 v4, 26, v4
	v_add_u32_e32 v4, v19, v4
	v_ashrrev_i32_e32 v4, 6, v4
.LBB15_845:                             ;   in Loop: Header=BB15_746 Depth=3
	s_or_b64 exec, exec, s[26:27]
	v_accvgpr_read_b32 v0, a48
	s_and_b64 s[22:23], s[24:25], exec
	v_accvgpr_read_b32 v1, a49
.LBB15_846:                             ;   in Loop: Header=BB15_746 Depth=3
	s_or_b64 exec, exec, s[58:59]
	v_accvgpr_read_b32 v20, a42
	v_accvgpr_read_b32 v21, a43
	s_and_saveexec_b64 s[26:27], s[22:23]
	s_cbranch_execz .LBB15_818
.LBB15_847:                             ;   in Loop: Header=BB15_746 Depth=3
	v_ashrrev_i32_e32 v5, 31, v18
	v_lshrrev_b32_e32 v5, 21, v5
	v_add_u32_e32 v5, v18, v5
	v_ashrrev_i32_e32 v23, 11, v5
	v_sub_u32_e32 v21, v23, v4
	v_ashrrev_i32_e32 v5, 31, v19
	v_cmp_lt_i32_e32 vcc, 0, v21
	v_lshrrev_b32_e32 v22, 26, v5
	s_and_saveexec_b64 s[22:23], vcc
	s_cbranch_execz .LBB15_851
; %bb.848:                              ;   in Loop: Header=BB15_746 Depth=3
	v_add_u32_e32 v5, v19, v22
	s_trap 2
	v_and_b32_e32 v5, 0x7fffffc0, v5
	ds_read_b64 v[6:7], v0
	ds_read_b128 v[8:11], v0
	v_sub_u32_e32 v5, v19, v5
	v_lshlrev_b32_e32 v5, 1, v5
	v_lshlrev_b32_e32 v4, 11, v4
	v_add3_u32 v4, v5, v15, v4
	v_ashrrev_i32_e32 v5, 31, v4
	s_waitcnt lgkmcnt(0)
	v_lshl_add_u64 v[6:7], v[6:7], 0, s[52:53]
	v_accvgpr_read_b32 v61, a47
	v_mov_b32_e32 v20, v29
	v_lshl_add_u64 v[8:9], v[8:9], 0, v[4:5]
	v_lshl_add_u64 v[10:11], v[10:11], 0, v[4:5]
	;; [unrolled: 1-line block ×3, first 2 shown]
	s_mov_b64 s[24:25], 0
	v_mov_b64_e32 v[0:1], v[36:37]
	v_accvgpr_read_b32 v60, a46
.LBB15_849:                             ;   Parent Loop BB15_47 Depth=1
                                        ;     Parent Loop BB15_743 Depth=2
                                        ;       Parent Loop BB15_746 Depth=3
                                        ; =>      This Inner Loop Header: Depth=4
	v_add_co_u32_e32 v4, vcc, 0xfffff880, v16
	flat_load_ushort v24, v[16:17] nt
	s_nop 0
	v_addc_co_u32_e32 v5, vcc, -1, v17, vcc
	v_add_co_u32_e32 v6, vcc, 0xfffff900, v16
	flat_load_ushort v4, v[4:5] nt
	s_nop 0
	v_addc_co_u32_e32 v7, vcc, -1, v17, vcc
	;; [unrolled: 4-line block ×15, first 2 shown]
	flat_load_ushort v7, v[26:27] nt
	v_sub_u32_e32 v21, v21, v0
	v_cmp_gt_i32_e32 vcc, 1, v21
	s_or_b64 s[24:25], vcc, s[24:25]
	v_lshl_add_u64 v[16:17], v[16:17], 0, v[60:61]
	s_waitcnt vmcnt(0) lgkmcnt(0)
	flat_store_short v[8:9], v24 offset:1920 nt
	flat_store_short v[8:9], v4 nt
	flat_store_short v[8:9], v5 offset:128 nt
	flat_store_short v[8:9], v25 offset:256 nt
	;; [unrolled: 1-line block ×14, first 2 shown]
	flat_store_short v[10:11], v4 nt
	flat_store_short v[10:11], v5 offset:128 nt
	flat_store_short v[10:11], v25 offset:256 nt
	;; [unrolled: 1-line block ×15, first 2 shown]
	v_lshl_add_u64 v[8:9], v[8:9], 0, v[60:61]
	v_lshl_add_u64 v[10:11], v[10:11], 0, v[60:61]
	s_andn2_b64 exec, exec, s[24:25]
	s_cbranch_execnz .LBB15_849
; %bb.850:                              ;   in Loop: Header=BB15_746 Depth=3
	s_or_b64 exec, exec, s[24:25]
	v_accvgpr_read_b32 v26, a28
	v_accvgpr_read_b32 v30, a30
	v_accvgpr_read_b32 v32, a36
	v_accvgpr_read_b32 v34, a38
	v_mov_b64_e32 v[36:37], v[0:1]
	v_accvgpr_read_b32 v0, a48
	v_accvgpr_read_b32 v39, a17
	;; [unrolled: 1-line block ×8, first 2 shown]
	v_mov_b32_e32 v29, v20
	v_accvgpr_read_b32 v60, a26
.LBB15_851:                             ;   in Loop: Header=BB15_746 Depth=3
	s_or_b64 exec, exec, s[22:23]
	v_lshlrev_b32_e32 v4, 11, v23
	v_cmp_ne_u32_e32 vcc, v18, v4
	s_and_saveexec_b64 s[58:59], vcc
	s_cbranch_execz .LBB15_857
; %bb.852:                              ;   in Loop: Header=BB15_746 Depth=3
	v_add_u32_e32 v5, v19, v22
	v_and_b32_e32 v5, 0xffffffc0, v5
	v_sub_u32_e32 v5, v19, v5
	v_lshlrev_b32_e32 v6, 6, v21
	v_sub_u32_e32 v5, v5, v6
	v_ashrrev_i32_e32 v6, 31, v5
	v_lshrrev_b32_e32 v6, 26, v6
	v_add_u32_e32 v6, v5, v6
	v_and_b32_e32 v7, 0x7fffffc0, v6
	v_sub_u32_e32 v5, v5, v7
	v_lshlrev_b32_e32 v6, 1, v6
	v_and_b32_e32 v6, 0xffffff80, v6
	v_lshlrev_b32_e32 v5, 1, v5
	v_add3_u32 v4, v6, v5, v4
	v_sub_u32_e32 v16, v18, v4
	v_cmp_lt_i32_e32 vcc, 1, v16
	s_and_b64 exec, exec, vcc
	s_cbranch_execz .LBB15_857
; %bb.853:                              ;   in Loop: Header=BB15_746 Depth=3
	s_trap 2
	ds_read_b64 v[6:7], v0
	ds_read_b128 v[8:11], v0
	v_add_u32_e32 v18, v4, v15
	v_ashrrev_i32_e32 v19, 31, v18
	s_mov_b64 s[60:61], 0
	s_waitcnt lgkmcnt(0)
	v_lshl_add_u64 v[4:5], v[6:7], 0, v[18:19]
	v_lshl_add_u64 v[8:9], v[8:9], 0, v[18:19]
	;; [unrolled: 1-line block ×3, first 2 shown]
.LBB15_854:                             ;   Parent Loop BB15_47 Depth=1
                                        ;     Parent Loop BB15_743 Depth=2
                                        ;       Parent Loop BB15_746 Depth=3
                                        ; =>      This Loop Header: Depth=4
                                        ;           Child Loop BB15_855 Depth 5
	flat_load_ushort v15, v[4:5] nt
	s_mov_b64 s[64:65], -1
	s_mov_b64 s[62:63], 0
	s_waitcnt vmcnt(0)
.LBB15_855:                             ;   Parent Loop BB15_47 Depth=1
                                        ;     Parent Loop BB15_743 Depth=2
                                        ;       Parent Loop BB15_746 Depth=3
                                        ;         Parent Loop BB15_854 Depth=4
                                        ; =>        This Inner Loop Header: Depth=5
	s_cmp_eq_u32 s62, 0
	s_cselect_b64 s[22:23], -1, 0
	s_cmp_eq_u32 s62, 1
	v_cndmask_b32_e64 v6, 0, 1, s[64:65]
	s_cselect_b64 s[24:25], -1, 0
	v_cmp_ne_u32_e32 vcc, 1, v6
	v_cndmask_b32_e64 v7, v9, v11, s[24:25]
	v_cndmask_b32_e64 v6, v8, v10, s[24:25]
	s_waitcnt lgkmcnt(0)
	flat_store_short v[6:7], v15 nt
	v_lshl_add_u64 v[6:7], v[6:7], 0, s[42:43]
	s_mov_b64 s[64:65], 0
	s_mov_b64 s[62:63], 1
	s_and_b64 vcc, exec, vcc
	v_cndmask_b32_e64 v11, v11, v7, s[24:25]
	v_cndmask_b32_e64 v10, v10, v6, s[24:25]
	;; [unrolled: 1-line block ×4, first 2 shown]
	s_cbranch_vccz .LBB15_855
; %bb.856:                              ;   in Loop: Header=BB15_854 Depth=4
	v_sub_u32_e32 v16, v16, v41
	v_cmp_gt_i32_e32 vcc, 2, v16
	v_lshl_add_u64 v[8:9], v[8:9], 0, v[30:31]
	v_lshl_add_u64 v[10:11], v[10:11], 0, v[30:31]
	s_or_b64 s[60:61], vcc, s[60:61]
	v_lshl_add_u64 v[4:5], v[34:35], 0, v[4:5]
	s_andn2_b64 exec, exec, s[60:61]
	s_cbranch_execnz .LBB15_854
.LBB15_857:                             ;   in Loop: Header=BB15_746 Depth=3
	s_or_b64 exec, exec, s[58:59]
	v_accvgpr_read_b32 v20, a42
	v_accvgpr_read_b32 v21, a43
	s_or_b64 exec, exec, s[26:27]
	s_branch .LBB15_819
.LBB15_858:                             ;   in Loop: Header=BB15_746 Depth=3
	s_mov_b64 s[22:23], -1
	s_and_saveexec_b64 s[24:25], s[16:17]
	s_cbranch_execz .LBB15_860
; %bb.859:                              ;   in Loop: Header=BB15_746 Depth=3
	ds_read_b32 v4, v0 offset:720
	s_waitcnt lgkmcnt(0)
	v_and_b32_e32 v4, 15, v4
	v_cmp_eq_u32_e32 vcc, 0, v4
	s_orn2_b64 s[22:23], vcc, exec
.LBB15_860:                             ;   in Loop: Header=BB15_746 Depth=3
	s_or_b64 exec, exec, s[24:25]
	s_and_saveexec_b64 s[24:25], s[14:15]
	s_cbranch_execz .LBB15_862
; %bb.861:                              ;   in Loop: Header=BB15_746 Depth=3
	ds_read_b32 v4, v0 offset:784
	s_waitcnt lgkmcnt(0)
	v_and_b32_e32 v4, 15, v4
	v_cmp_eq_u32_e32 vcc, 0, v4
	s_and_b64 s[26:27], s[22:23], vcc
	s_andn2_b64 s[22:23], s[22:23], exec
	s_and_b64 s[26:27], s[26:27], exec
	s_or_b64 s[22:23], s[22:23], s[26:27]
.LBB15_862:                             ;   in Loop: Header=BB15_746 Depth=3
	s_or_b64 exec, exec, s[24:25]
	s_xor_b64 s[22:23], s[22:23], -1
	v_cndmask_b32_e64 v4, 0, 1, s[22:23]
	s_mov_b64 s[26:27], -1
	;;#ASMSTART
	;;#ASMEND
	v_mov_b32_e32 v15, 0
	v_cmp_ne_u32_e32 vcc, 0, v4
	s_cbranch_vccz .LBB15_869
; %bb.863:                              ;   in Loop: Header=BB15_746 Depth=3
	v_mov_b32_e32 v16, v58
	v_mov_b32_e32 v8, v38
	s_and_saveexec_b64 s[22:23], s[26:27]
	s_cbranch_execnz .LBB15_882
.LBB15_864:                             ;   in Loop: Header=BB15_746 Depth=3
	s_or_b64 exec, exec, s[22:23]
	s_and_saveexec_b64 s[22:23], s[4:5]
	s_cbranch_execnz .LBB15_820
.LBB15_865:                             ;   in Loop: Header=BB15_746 Depth=3
	s_or_b64 exec, exec, s[22:23]
                                        ; implicit-def: $vgpr2
	s_and_saveexec_b64 s[22:23], s[20:21]
	s_xor_b64 s[24:25], exec, s[22:23]
	s_cbranch_execz .LBB15_898
.LBB15_866:                             ;   in Loop: Header=BB15_746 Depth=3
	v_and_b32_e32 v4, 16, v28
	v_cmp_lt_i32_e32 vcc, 0, v13
	v_cmp_ne_u32_e64 s[22:23], 0, v4
	v_and_b32_e32 v2, 16, v28
	s_and_b64 s[26:27], s[22:23], vcc
	s_and_saveexec_b64 s[22:23], s[26:27]
	s_cbranch_execz .LBB15_868
; %bb.867:                              ;   in Loop: Header=BB15_746 Depth=3
	v_mov_b32_e32 v2, 1
	buffer_wbl2 sc1
	s_waitcnt vmcnt(0) lgkmcnt(0)
	buffer_inv sc1
.LBB15_868:                             ;   in Loop: Header=BB15_746 Depth=3
	s_or_b64 exec, exec, s[22:23]
	s_andn2_saveexec_b64 s[22:23], s[24:25]
	s_cbranch_execz .LBB15_917
	s_branch .LBB15_899
.LBB15_869:                             ;   in Loop: Header=BB15_746 Depth=3
	v_ashrrev_i32_e32 v4, 31, v2
	v_lshrrev_b32_e32 v4, 19, v4
	v_add_u32_e32 v4, v2, v4
	v_ashrrev_i32_e32 v10, 13, v4
	v_sub_u32_e32 v11, v10, v38
	v_cmp_lt_i32_e32 vcc, 0, v11
	s_and_saveexec_b64 s[24:25], vcc
	s_cbranch_execz .LBB15_873
; %bb.870:                              ;   in Loop: Header=BB15_746 Depth=3
	s_trap 2
	scratch_load_dwordx2 v[20:21], off, s33 offset:172 ; 8-byte Folded Reload
	ds_read_b64 v[4:5], v0
	v_mov_b32_e32 v15, v58
	v_accvgpr_write_b32 a22, v54
	v_accvgpr_write_b32 a12, v44
	v_accvgpr_read_b32 v59, a35
	v_accvgpr_write_b32 a23, v55
	v_accvgpr_write_b32 a13, v45
	s_mov_b64 s[26:27], 0
	s_waitcnt lgkmcnt(0)
	v_mov_b64_e32 v[8:9], v[4:5]
	v_accvgpr_read_b32 v58, a34
	v_mov_b64_e32 v[0:1], v[36:37]
.LBB15_871:                             ;   Parent Loop BB15_47 Depth=1
                                        ;     Parent Loop BB15_743 Depth=2
                                        ;       Parent Loop BB15_746 Depth=3
                                        ; =>      This Inner Loop Header: Depth=4
	s_waitcnt vmcnt(0)
	v_lshl_add_u64 v[26:27], v[20:21], 0, v[8:9]
	global_load_dwordx4 v[16:19], v[26:27], off nt
	global_load_dwordx4 v[22:25], v[26:27], off offset:1024 nt
	global_load_dwordx4 v[30:33], v[26:27], off offset:2048 nt
	global_load_dwordx4 v[34:37], v[26:27], off offset:3072 nt
	v_add_co_u32_e32 v26, vcc, 0x1000, v26
	v_sub_u32_e32 v11, v11, v0
	s_nop 0
	v_addc_co_u32_e32 v27, vcc, 0, v27, vcc
	global_load_dwordx4 v[48:51], v[26:27], off nt
	global_load_dwordx4 v[38:41], v[26:27], off offset:1024 nt
	global_load_dwordx4 v[44:47], v[26:27], off offset:2048 nt
	;; [unrolled: 1-line block ×3, first 2 shown]
	v_lshl_add_u64 v[26:27], v[20:21], 0, v[4:5]
	v_cmp_gt_i32_e64 s[22:23], 1, v11
	v_lshl_add_u64 v[8:9], v[8:9], 0, v[58:59]
	v_lshl_add_u64 v[4:5], v[4:5], 0, v[58:59]
	v_add_co_u32_e32 v6, vcc, 0x1000, v26
	s_or_b64 s[26:27], s[22:23], s[26:27]
	s_nop 0
	v_addc_co_u32_e32 v7, vcc, 0, v27, vcc
	s_waitcnt vmcnt(7)
	global_store_dwordx4 v[26:27], v[16:19], off nt
	s_waitcnt vmcnt(7)
	global_store_dwordx4 v[26:27], v[22:25], off offset:1024 nt
	s_waitcnt vmcnt(7)
	global_store_dwordx4 v[26:27], v[30:33], off offset:2048 nt
	;; [unrolled: 2-line block ×3, first 2 shown]
	s_waitcnt vmcnt(7)
	global_store_dwordx4 v[6:7], v[48:51], off nt
	s_waitcnt vmcnt(7)
	global_store_dwordx4 v[6:7], v[38:41], off offset:1024 nt
	s_waitcnt vmcnt(7)
	global_store_dwordx4 v[6:7], v[44:47], off offset:2048 nt
	;; [unrolled: 2-line block ×3, first 2 shown]
	s_andn2_b64 exec, exec, s[26:27]
	s_cbranch_execnz .LBB15_871
; %bb.872:                              ;   in Loop: Header=BB15_746 Depth=3
	s_or_b64 exec, exec, s[26:27]
	v_accvgpr_read_b32 v45, a13
	v_accvgpr_read_b32 v53, a15
	;; [unrolled: 1-line block ×11, first 2 shown]
	v_mov_b64_e32 v[36:37], v[0:1]
	v_accvgpr_read_b32 v0, a48
	v_accvgpr_read_b32 v44, a12
	;; [unrolled: 1-line block ×13, first 2 shown]
	v_mov_b32_e32 v58, v15
	v_accvgpr_read_b32 v33, a37
	v_accvgpr_read_b32 v35, a39
	;; [unrolled: 1-line block ×4, first 2 shown]
	v_mov_b32_e32 v59, 1
.LBB15_873:                             ;   in Loop: Header=BB15_746 Depth=3
	s_or_b64 exec, exec, s[24:25]
	v_lshlrev_b32_e32 v10, 13, v10
	v_cmp_ne_u32_e32 vcc, v2, v10
	s_mov_b64 s[26:27], 0
	v_mov_b32_e32 v15, 0
                                        ; implicit-def: $vgpr16
                                        ; implicit-def: $vgpr8
	s_and_saveexec_b64 s[24:25], vcc
	s_cbranch_execz .LBB15_881
; %bb.874:                              ;   in Loop: Header=BB15_746 Depth=3
	v_lshlrev_b32_e32 v5, 6, v11
	v_accvgpr_read_b32 v6, a33
	v_sub_u32_e32 v5, v6, v5
	v_ashrrev_i32_e32 v6, 31, v5
	v_lshrrev_b32_e32 v6, 26, v6
	v_add_u32_e32 v6, v5, v6
	v_ashrrev_i32_e32 v7, 6, v6
	v_and_b32_e32 v6, 0xffffffc0, v6
	v_sub_u32_e32 v11, v5, v6
	v_sub_u32_e32 v4, v2, v10
	v_lshlrev_b32_e32 v5, 4, v11
	v_lshl_add_u32 v8, v7, 10, v5
	v_ashrrev_i32_e32 v5, 31, v4
	v_lshrrev_b32_e32 v5, 22, v5
	v_add_u32_e32 v5, v4, v5
	v_and_b32_e32 v17, 0xfffffc00, v5
	v_sub_u32_e32 v19, v4, v17
	v_ashrrev_i32_e32 v6, 10, v5
	v_cmp_lt_i32_e32 vcc, 15, v19
	v_sub_u32_e32 v15, v4, v8
	s_nop 0
	v_addc_co_u32_e64 v4, s[22:23], 0, v6, vcc
	v_sub_u32_e32 v18, v4, v7
	v_cmp_lt_i32_e64 s[22:23], 15, v15
	s_and_saveexec_b64 s[26:27], s[22:23]
	s_cbranch_execz .LBB15_878
; %bb.875:                              ;   in Loop: Header=BB15_746 Depth=3
	s_trap 2
	ds_read_b64 v[4:5], v0
	v_add_u32_e32 v8, v8, v10
	v_ashrrev_i32_e32 v9, 31, v8
	s_mov_b64 s[58:59], 0
.LBB15_876:                             ;   Parent Loop BB15_47 Depth=1
                                        ;     Parent Loop BB15_743 Depth=2
                                        ;       Parent Loop BB15_746 Depth=3
                                        ; =>      This Inner Loop Header: Depth=4
	s_waitcnt lgkmcnt(0)
	v_lshl_add_u64 v[6:7], v[4:5], 0, v[8:9]
	global_load_dwordx4 v[22:25], v[6:7], off nt
	v_sub_u32_e32 v15, v15, v29
	v_cmp_gt_i32_e64 s[22:23], 16, v15
	v_sub_u32_e32 v18, v18, v36
	v_lshl_add_u64 v[8:9], v[8:9], 0, v[32:33]
	s_or_b64 s[58:59], s[22:23], s[58:59]
	s_waitcnt vmcnt(0)
	global_store_dwordx4 v[6:7], v[22:25], off nt
	s_andn2_b64 exec, exec, s[58:59]
	s_cbranch_execnz .LBB15_876
; %bb.877:                              ;   in Loop: Header=BB15_746 Depth=3
	s_or_b64 exec, exec, s[58:59]
	v_accvgpr_read_b32 v0, a48
	v_accvgpr_read_b32 v1, a49
.LBB15_878:                             ;   in Loop: Header=BB15_746 Depth=3
	s_or_b64 exec, exec, s[26:27]
	v_and_b32_e32 v4, 14, v2
	v_cndmask_b32_e32 v2, v19, v4, vcc
	v_cmp_ne_u32_e64 s[22:23], 0, v2
	s_mov_b64 s[26:27], 0
	v_mov_b32_e32 v15, 0
                                        ; implicit-def: $vgpr16
                                        ; implicit-def: $vgpr8
	s_and_saveexec_b64 s[58:59], s[22:23]
	s_cbranch_execz .LBB15_880
; %bb.879:                              ;   in Loop: Header=BB15_746 Depth=3
	v_sub_u32_e32 v4, v19, v4
	v_cndmask_b32_e32 v4, 0, v4, vcc
	v_cmp_lt_i32_e32 vcc, 0, v18
	v_add3_u32 v15, v17, v10, v4
	s_mov_b64 s[26:27], exec
	v_cndmask_b32_e32 v4, 0, v36, vcc
	v_sub_u32_e32 v4, v4, v18
	v_lshl_add_u32 v16, v4, 6, v11
	v_ashrrev_i32_e32 v4, 31, v16
	v_lshrrev_b32_e32 v4, 26, v4
	v_add_u32_e32 v4, v16, v4
	v_ashrrev_i32_e32 v8, 6, v4
.LBB15_880:                             ;   in Loop: Header=BB15_746 Depth=3
	s_or_b64 exec, exec, s[58:59]
	s_and_b64 s[26:27], s[26:27], exec
.LBB15_881:                             ;   in Loop: Header=BB15_746 Depth=3
	s_or_b64 exec, exec, s[24:25]
	s_and_saveexec_b64 s[22:23], s[26:27]
	s_cbranch_execz .LBB15_864
.LBB15_882:                             ;   in Loop: Header=BB15_746 Depth=3
	v_ashrrev_i32_e32 v4, 31, v2
	v_lshrrev_b32_e32 v4, 21, v4
	v_add_u32_e32 v4, v2, v4
	v_ashrrev_i32_e32 v18, 11, v4
	v_sub_u32_e32 v17, v18, v8
	v_cmp_lt_i32_e32 vcc, 0, v17
	s_and_saveexec_b64 s[24:25], vcc
	s_cbranch_execz .LBB15_886
; %bb.883:                              ;   in Loop: Header=BB15_746 Depth=3
	v_ashrrev_i32_e32 v6, 31, v16
	v_lshrrev_b32_e32 v6, 26, v6
	s_trap 2
	ds_read_b64 v[4:5], v0
	v_add_u32_e32 v6, v16, v6
	v_and_b32_e32 v6, 0x7fffffc0, v6
	v_sub_u32_e32 v6, v16, v6
	v_lshlrev_b32_e32 v6, 1, v6
	v_lshlrev_b32_e32 v7, 11, v8
	v_add3_u32 v8, v6, v15, v7
	v_accvgpr_read_b32 v61, a47
	v_accvgpr_write_b32 a3, v29
	v_ashrrev_i32_e32 v9, 31, v8
	s_mov_b64 s[26:27], 0
	s_waitcnt lgkmcnt(0)
	v_mov_b64_e32 v[10:11], v[4:5]
	v_mov_b64_e32 v[0:1], v[36:37]
	v_accvgpr_read_b32 v60, a46
.LBB15_884:                             ;   Parent Loop BB15_47 Depth=1
                                        ;     Parent Loop BB15_743 Depth=2
                                        ;       Parent Loop BB15_746 Depth=3
                                        ; =>      This Inner Loop Header: Depth=4
	v_lshl_add_u64 v[6:7], v[8:9], 0, v[10:11]
	flat_load_ushort v19, v[6:7] nt
	flat_load_ushort v21, v[6:7] offset:128 nt
	flat_load_ushort v22, v[6:7] offset:256 nt
	;; [unrolled: 1-line block ×15, first 2 shown]
	v_sub_u32_e32 v17, v17, v0
	v_cmp_gt_i32_e32 vcc, 1, v17
	v_lshl_add_u64 v[6:7], v[8:9], 0, v[4:5]
	v_lshl_add_u64 v[10:11], v[10:11], 0, v[60:61]
	;; [unrolled: 1-line block ×3, first 2 shown]
	s_or_b64 s[26:27], vcc, s[26:27]
	s_waitcnt vmcnt(0) lgkmcnt(0)
	flat_store_short v[6:7], v19 nt
	flat_store_short v[6:7], v21 offset:128 nt
	flat_store_short v[6:7], v22 offset:256 nt
	;; [unrolled: 1-line block ×15, first 2 shown]
	s_andn2_b64 exec, exec, s[26:27]
	s_cbranch_execnz .LBB15_884
; %bb.885:                              ;   in Loop: Header=BB15_746 Depth=3
	s_or_b64 exec, exec, s[26:27]
	v_accvgpr_read_b32 v26, a28
	v_accvgpr_read_b32 v30, a30
	;; [unrolled: 1-line block ×5, first 2 shown]
	v_mov_b64_e32 v[36:37], v[0:1]
	v_accvgpr_read_b32 v0, a48
	v_accvgpr_read_b32 v27, a29
	;; [unrolled: 1-line block ×9, first 2 shown]
.LBB15_886:                             ;   in Loop: Header=BB15_746 Depth=3
	s_or_b64 exec, exec, s[24:25]
	v_lshlrev_b32_e32 v4, 11, v18
	v_cmp_ne_u32_e32 vcc, v2, v4
	s_and_saveexec_b64 s[24:25], vcc
	s_cbranch_execz .LBB15_890
; %bb.887:                              ;   in Loop: Header=BB15_746 Depth=3
	v_ashrrev_i32_e32 v5, 31, v16
	v_lshrrev_b32_e32 v5, 26, v5
	v_add_u32_e32 v5, v16, v5
	v_and_b32_e32 v5, 0xffffffc0, v5
	v_sub_u32_e32 v5, v16, v5
	v_lshlrev_b32_e32 v6, 6, v17
	v_sub_u32_e32 v5, v5, v6
	v_ashrrev_i32_e32 v6, 31, v5
	v_lshrrev_b32_e32 v6, 26, v6
	v_add_u32_e32 v6, v5, v6
	v_and_b32_e32 v7, 0x7fffffc0, v6
	v_sub_u32_e32 v5, v5, v7
	v_lshlrev_b32_e32 v6, 1, v6
	v_and_b32_e32 v6, 0xffffff80, v6
	v_lshlrev_b32_e32 v5, 1, v5
	v_add3_u32 v8, v6, v5, v4
	v_sub_u32_e32 v2, v2, v8
	v_cmp_lt_i32_e32 vcc, 1, v2
	s_and_b64 exec, exec, vcc
	s_cbranch_execz .LBB15_890
; %bb.888:                              ;   in Loop: Header=BB15_746 Depth=3
	s_trap 2
	ds_read_b64 v[4:5], v0
	v_add_u32_e32 v8, v8, v15
	v_ashrrev_i32_e32 v9, 31, v8
	s_mov_b64 s[26:27], 0
.LBB15_889:                             ;   Parent Loop BB15_47 Depth=1
                                        ;     Parent Loop BB15_743 Depth=2
                                        ;       Parent Loop BB15_746 Depth=3
                                        ; =>      This Inner Loop Header: Depth=4
	s_waitcnt lgkmcnt(0)
	v_lshl_add_u64 v[6:7], v[4:5], 0, v[8:9]
	flat_load_ushort v10, v[6:7] nt
	v_sub_u32_e32 v2, v2, v41
	v_cmp_gt_i32_e32 vcc, 2, v2
	v_lshl_add_u64 v[8:9], v[8:9], 0, v[34:35]
	s_or_b64 s[26:27], vcc, s[26:27]
	s_waitcnt vmcnt(0) lgkmcnt(0)
	flat_store_short v[6:7], v10 nt
	s_andn2_b64 exec, exec, s[26:27]
	s_cbranch_execnz .LBB15_889
.LBB15_890:                             ;   in Loop: Header=BB15_746 Depth=3
	s_or_b64 exec, exec, s[24:25]
	s_or_b64 exec, exec, s[22:23]
	s_and_saveexec_b64 s[22:23], s[4:5]
	s_cbranch_execnz .LBB15_820
	s_branch .LBB15_865
.LBB15_891:                             ;   in Loop: Header=BB15_746 Depth=3
	s_or_b64 exec, exec, s[60:61]
	s_and_saveexec_b64 vcc, s[62:63]
	s_xor_b64 vcc, exec, vcc
	s_cbranch_execz .LBB15_893
; %bb.892:                              ;   in Loop: Header=BB15_746 Depth=3
	ds_write_b32 v0, v59
	s_trap 2
.LBB15_893:                             ;   in Loop: Header=BB15_746 Depth=3
	s_or_b64 exec, exec, s[58:59]
	;;#ASMSTART
	s_wakeup
	;;#ASMEND
.LBB15_894:                             ;   in Loop: Header=BB15_746 Depth=3
	s_or_b64 exec, exec, s[26:27]
.LBB15_895:                             ;   in Loop: Header=BB15_746 Depth=3
	s_andn2_saveexec_b64 s[24:25], s[24:25]
	s_cbranch_execz .LBB15_897
; %bb.896:                              ;   in Loop: Header=BB15_746 Depth=3
	s_waitcnt lgkmcnt(0)
	s_barrier
.LBB15_897:                             ;   in Loop: Header=BB15_746 Depth=3
	s_or_b64 exec, exec, s[24:25]
	s_or_b64 exec, exec, s[22:23]
                                        ; implicit-def: $vgpr2
	s_and_saveexec_b64 s[22:23], s[20:21]
	s_xor_b64 s[24:25], exec, s[22:23]
	s_cbranch_execnz .LBB15_866
.LBB15_898:                             ;   in Loop: Header=BB15_746 Depth=3
	s_andn2_saveexec_b64 s[22:23], s[24:25]
	s_cbranch_execz .LBB15_917
.LBB15_899:                             ;   in Loop: Header=BB15_746 Depth=3
	s_and_saveexec_b64 s[24:25], s[38:39]
	s_xor_b64 s[24:25], exec, s[24:25]
	s_cbranch_execz .LBB15_914
; %bb.900:                              ;   in Loop: Header=BB15_746 Depth=3
	s_and_saveexec_b64 s[26:27], s[12:13]
	s_cbranch_execz .LBB15_913
; %bb.901:                              ;   in Loop: Header=BB15_746 Depth=3
	s_mov_b64 s[60:61], exec
	v_mbcnt_lo_u32_b32 v2, s60, 0
	v_mbcnt_hi_u32_b32 v2, s61, v2
	v_cmp_eq_u32_e32 vcc, 0, v2
	;;#ASMSTART
	s_waitcnt lgkmcnt(0) vmcnt(0)
	;;#ASMEND
	s_and_saveexec_b64 s[58:59], vcc
	s_cbranch_execz .LBB15_903
; %bb.902:                              ;   in Loop: Header=BB15_746 Depth=3
	s_bcnt1_i32_b64 vcc_lo, s[60:61]
	v_mov_b32_e32 v2, vcc_lo
	ds_add_u64 v0, v[2:3]
	s_trap 2
.LBB15_903:                             ;   in Loop: Header=BB15_746 Depth=3
	s_or_b64 exec, exec, s[58:59]
	s_trap 2
	ds_read_b64 v[4:5], v0
	v_lshl_add_u64 v[54:55], v[54:55], 0, v[36:37]
	s_waitcnt lgkmcnt(0)
	v_cmp_lt_u64_e32 vcc, v[4:5], v[54:55]
	s_and_saveexec_b64 s[58:59], vcc
	s_cbranch_execz .LBB15_912
; %bb.904:                              ;   in Loop: Header=BB15_746 Depth=3
	s_mov_b32 s95, 0
	s_mov_b64 s[60:61], 0
                                        ; implicit-def: $sgpr62_sgpr63
                                        ; implicit-def: $sgpr64_sgpr65
	s_branch .LBB15_906
.LBB15_905:                             ;   in Loop: Header=BB15_906 Depth=4
	s_or_b64 exec, exec, s[68:69]
	s_and_b64 vcc, exec, vcc
	s_or_b64 s[60:61], vcc, s[60:61]
	s_andn2_b64 vcc, s[62:63], exec
	s_and_b64 s[62:63], s[64:65], exec
	s_or_b64 s[62:63], vcc, s[62:63]
	s_andn2_b64 exec, exec, s[60:61]
	s_cbranch_execz .LBB15_910
.LBB15_906:                             ;   Parent Loop BB15_47 Depth=1
                                        ;     Parent Loop BB15_743 Depth=2
                                        ;       Parent Loop BB15_746 Depth=3
                                        ; =>      This Inner Loop Header: Depth=4
	s_add_i32 s95, s95, 1
	s_cmpk_lg_i32 s95, 0x2710
	s_cselect_b64 s[66:67], -1, 0
	s_and_b64 vcc, exec, s[66:67]
                                        ; implicit-def: $sgpr68_sgpr69
	s_cbranch_vccnz .LBB15_908
; %bb.907:                              ;   in Loop: Header=BB15_906 Depth=4
	s_trap 2
	ds_read_b64 v[4:5], v0
	s_andn2_b64 s[66:67], s[66:67], exec
	s_mov_b32 s95, 0
	s_mov_b64 s[68:69], -1
	s_waitcnt vmcnt(0) lgkmcnt(0)
	flat_load_dword v2, v[4:5] sc0 sc1
	s_waitcnt vmcnt(0) lgkmcnt(0)
	buffer_inv sc0 sc1
	v_cmp_eq_u32_e32 vcc, 0, v2
	s_and_b64 vcc, vcc, exec
	s_or_b64 s[66:67], s[66:67], vcc
.LBB15_908:                             ;   in Loop: Header=BB15_906 Depth=4
	s_andn2_b64 s[64:65], s[64:65], exec
	s_and_b64 s[68:69], s[68:69], exec
	s_mov_b64 vcc, -1
	s_or_b64 s[64:65], s[64:65], s[68:69]
	s_and_saveexec_b64 s[68:69], s[66:67]
	s_cbranch_execz .LBB15_905
; %bb.909:                              ;   in Loop: Header=BB15_906 Depth=4
	s_sleep 1
	s_trap 2
	ds_read_b64 v[4:5], v0
	s_andn2_b64 s[64:65], s[64:65], exec
	s_waitcnt lgkmcnt(0)
	v_cmp_ge_u64_e32 vcc, v[4:5], v[54:55]
	s_orn2_b64 vcc, vcc, exec
	s_branch .LBB15_905
.LBB15_910:                             ;   in Loop: Header=BB15_746 Depth=3
	s_or_b64 exec, exec, s[60:61]
	s_and_saveexec_b64 vcc, s[62:63]
	s_xor_b64 vcc, exec, vcc
	s_cbranch_execz .LBB15_912
; %bb.911:                              ;   in Loop: Header=BB15_746 Depth=3
	ds_write_b32 v0, v59
	s_trap 2
.LBB15_912:                             ;   in Loop: Header=BB15_746 Depth=3
	s_or_b64 exec, exec, s[58:59]
	;;#ASMSTART
	s_wakeup
	;;#ASMEND
.LBB15_913:                             ;   in Loop: Header=BB15_746 Depth=3
	s_or_b64 exec, exec, s[26:27]
.LBB15_914:                             ;   in Loop: Header=BB15_746 Depth=3
	s_andn2_saveexec_b64 s[24:25], s[24:25]
	s_cbranch_execz .LBB15_916
; %bb.915:                              ;   in Loop: Header=BB15_746 Depth=3
	;;#ASMSTART
	s_waitcnt lgkmcnt(0) vmcnt(0)
	;;#ASMEND
	s_barrier
.LBB15_916:                             ;   in Loop: Header=BB15_746 Depth=3
	s_or_b64 exec, exec, s[24:25]
	v_and_b32_e32 v2, 16, v28
.LBB15_917:                             ;   in Loop: Header=BB15_746 Depth=3
	s_or_b64 exec, exec, s[22:23]
	v_cmp_ne_u32_e32 vcc, 0, v2
	s_xor_b64 s[22:23], s[6:7], -1
	s_and_b64 s[24:25], vcc, s[22:23]
	s_and_saveexec_b64 s[22:23], s[24:25]
	s_cbranch_execz .LBB15_919
; %bb.918:                              ;   in Loop: Header=BB15_746 Depth=3
	flat_store_dword v[50:51], v59 sc0 sc1
.LBB15_919:                             ;   in Loop: Header=BB15_746 Depth=3
	s_or_b64 exec, exec, s[22:23]
	v_and_b32_e32 v2, 48, v28
	v_cmp_ne_u32_e32 vcc, 0, v2
	s_and_saveexec_b64 s[22:23], vcc
	s_cbranch_execz .LBB15_745
; %bb.920:                              ;   in Loop: Header=BB15_746 Depth=3
	v_lshl_add_u64 v[44:45], v[44:45], 0, 2
	flat_store_dwordx2 v[42:43], v[44:45] sc0 sc1
	s_branch .LBB15_745
.LBB15_921:                             ;   in Loop: Header=BB15_743 Depth=2
	s_or_b64 exec, exec, s[54:55]
.LBB15_922:                             ;   in Loop: Header=BB15_743 Depth=2
	s_or_b64 exec, exec, s[28:29]
	v_cmp_gt_i32_e32 vcc, 2, v2
	s_and_saveexec_b64 s[24:25], vcc
	s_cbranch_execz .LBB15_996
; %bb.923:                              ;   in Loop: Header=BB15_743 Depth=2
	v_cmp_eq_u32_e64 s[22:23], 0, v2
	s_mov_b64 s[26:27], 0
	s_branch .LBB15_925
.LBB15_924:                             ;   in Loop: Header=BB15_925 Depth=3
	s_or_b64 exec, exec, s[22:23]
	v_add_u32_e32 v14, v12, v14
	s_mov_b64 s[22:23], 0
	s_andn2_b64 exec, exec, s[26:27]
	s_cbranch_execz .LBB15_995
.LBB15_925:                             ;   Parent Loop BB15_47 Depth=1
                                        ;     Parent Loop BB15_743 Depth=2
                                        ; =>    This Loop Header: Depth=3
                                        ;         Child Loop BB15_931 Depth 4
                                        ;         Child Loop BB15_961 Depth 4
	;; [unrolled: 1-line block ×3, first 2 shown]
	v_and_b32_e32 v2, 12, v28
	s_mov_b64 s[54:55], -1
	v_cmp_ne_u32_e32 vcc, 0, v2
	s_and_saveexec_b64 s[28:29], vcc
	s_cbranch_execz .LBB15_937
; %bb.926:                              ;   in Loop: Header=BB15_925 Depth=3
	v_and_b32_e32 v2, 8, v28
	v_lshl_add_u64 v[6:7], v[56:57], 0, v[2:3]
	v_lshl_add_u64 v[4:5], v[44:45], 0, 2
	v_cmp_lt_u64_e32 vcc, v[6:7], v[4:5]
	v_mov_b32_e32 v6, 1
	s_and_saveexec_b64 s[54:55], vcc
	s_cbranch_execz .LBB15_936
; %bb.927:                              ;   in Loop: Header=BB15_925 Depth=3
	s_mov_b64 s[56:57], 0
	v_mov_b32_e32 v6, 0
                                        ; implicit-def: $sgpr58_sgpr59
	s_branch .LBB15_931
.LBB15_928:                             ;   in Loop: Header=BB15_931 Depth=4
	s_or_b64 exec, exec, s[66:67]
	v_mov_b32_e32 v7, 0
	s_orn2_b64 s[64:65], s[64:65], exec
.LBB15_929:                             ;   in Loop: Header=BB15_931 Depth=4
	s_or_b64 exec, exec, s[62:63]
	s_andn2_b64 vcc, s[58:59], exec
	s_and_b64 s[58:59], s[64:65], exec
	s_or_b64 s[58:59], vcc, s[58:59]
	v_mov_b32_e32 v6, v7
.LBB15_930:                             ;   in Loop: Header=BB15_931 Depth=4
	s_or_b64 exec, exec, s[60:61]
	s_waitcnt vmcnt(0) lgkmcnt(0)
	v_lshl_add_u64 v[8:9], v[56:57], 0, v[2:3]
	v_cmp_ge_u64_e32 vcc, v[8:9], v[4:5]
	s_xor_b64 s[60:61], s[58:59], -1
	s_or_b64 vcc, s[60:61], vcc
	s_and_b64 vcc, exec, vcc
	s_or_b64 s[56:57], vcc, s[56:57]
	s_andn2_b64 exec, exec, s[56:57]
	s_cbranch_execz .LBB15_935
.LBB15_931:                             ;   Parent Loop BB15_47 Depth=1
                                        ;     Parent Loop BB15_743 Depth=2
                                        ;       Parent Loop BB15_925 Depth=3
                                        ; =>      This Inner Loop Header: Depth=4
	s_sleep 1
	flat_load_dwordx2 v[56:57], v[42:43] sc0 sc1
	v_and_b32_e32 v7, 64, v28
	v_cmp_eq_u32_e32 vcc, 0, v7
	s_andn2_b64 s[58:59], s[58:59], exec
	s_and_saveexec_b64 s[60:61], vcc
	s_cbranch_execz .LBB15_930
; %bb.932:                              ;   in Loop: Header=BB15_931 Depth=4
	v_add_u32_e32 v7, 1, v6
	v_cmp_lt_i32_e32 vcc, s83, v6
	s_mov_b64 s[64:65], -1
	s_and_saveexec_b64 s[62:63], vcc
	s_cbranch_execz .LBB15_929
; %bb.933:                              ;   in Loop: Header=BB15_931 Depth=4
	s_trap 2
	ds_read_b64 v[6:7], v0
	s_waitcnt vmcnt(0) lgkmcnt(0)
	flat_load_dword v6, v[6:7] sc0 sc1
	s_waitcnt vmcnt(0) lgkmcnt(0)
	buffer_inv sc0 sc1
	v_cmp_ne_u32_e32 vcc, 0, v6
	s_and_saveexec_b64 s[66:67], vcc
	s_cbranch_execz .LBB15_928
; %bb.934:                              ;   in Loop: Header=BB15_931 Depth=4
	v_or_b32_e32 v28, 64, v28
	s_xor_b64 s[64:65], exec, -1
	ds_write_b32 v0, v6
	s_trap 2
	s_branch .LBB15_928
.LBB15_935:                             ;   in Loop: Header=BB15_925 Depth=3
	s_or_b64 exec, exec, s[56:57]
	v_and_b32_e32 v6, 12, v28
.LBB15_936:                             ;   in Loop: Header=BB15_925 Depth=3
	s_or_b64 exec, exec, s[54:55]
	v_cmp_eq_u32_e32 vcc, 0, v6
	s_orn2_b64 s[54:55], vcc, exec
	;;#ASMSTART
	s_wakeup
	;;#ASMEND
.LBB15_937:                             ;   in Loop: Header=BB15_925 Depth=3
	s_or_b64 exec, exec, s[28:29]
	s_xor_b64 s[22:23], s[22:23], -1
	s_and_b64 s[22:23], exec, s[22:23]
	s_or_b64 s[26:27], s[22:23], s[26:27]
	v_sub_u32_e32 v2, v60, v14
	s_xor_b64 s[22:23], s[54:55], -1
	v_min_i32_e32 v12, v12, v2
	s_and_saveexec_b64 s[28:29], s[22:23]
	s_cbranch_execz .LBB15_953
; %bb.938:                              ;   in Loop: Header=BB15_925 Depth=3
	v_and_b32_e32 v2, 0x108, v28
	v_cmp_ne_u32_e32 vcc, s84, v2
	v_and_b32_e32 v2, 7, v44
	s_and_saveexec_b64 s[22:23], vcc
	s_xor_b64 s[22:23], exec, s[22:23]
	s_andn2_saveexec_b64 s[22:23], s[22:23]
	s_cbranch_execz .LBB15_940
; %bb.939:                              ;   in Loop: Header=BB15_925 Depth=3
	v_ashrrev_i32_e32 v13, 31, v12
	v_mad_u64_u32 v[4:5], vcc, v2, 24, v[52:53]
	v_lshlrev_b64 v[6:7], 1, v[12:13]
	flat_store_dwordx2 v[4:5], v[6:7] offset:8
.LBB15_940:                             ;   in Loop: Header=BB15_925 Depth=3
	s_or_b64 exec, exec, s[22:23]
	v_and_b32_e32 v4, 0x100, v28
	v_cmp_ne_u32_e32 vcc, 0, v4
	s_mov_b64 s[22:23], -1
                                        ; implicit-def: $vgpr4_vgpr5
	s_and_saveexec_b64 s[54:55], vcc
	s_cbranch_execz .LBB15_944
; %bb.941:                              ;   in Loop: Header=BB15_925 Depth=3
	v_mad_u64_u32 v[6:7], s[22:23], v2, 24, v[52:53]
	v_mov_b32_e32 v4, v7
	v_mad_u64_u32 v[4:5], s[22:23], v3, 24, v[4:5]
	v_mov_b32_e32 v7, v4
	flat_load_dword v4, v[6:7]
	s_waitcnt vmcnt(0) lgkmcnt(0)
	v_cmp_ne_u32_e32 vcc, 1, v4
	v_cmp_eq_u32_e64 s[22:23], 1, v4
                                        ; implicit-def: $vgpr4_vgpr5
	s_and_saveexec_b64 s[56:57], s[22:23]
	s_cbranch_execz .LBB15_943
; %bb.942:                              ;   in Loop: Header=BB15_925 Depth=3
	flat_load_dword v4, v[6:7] offset:4 sc0 sc1
	s_waitcnt vmcnt(0) lgkmcnt(0)
	v_ashrrev_i32_e32 v5, 31, v4
	v_lshrrev_b64 v[4:5], 1, v[4:5]
.LBB15_943:                             ;   in Loop: Header=BB15_925 Depth=3
	s_or_b64 exec, exec, s[56:57]
	s_orn2_b64 s[22:23], vcc, exec
.LBB15_944:                             ;   in Loop: Header=BB15_925 Depth=3
	s_or_b64 exec, exec, s[54:55]
	s_and_saveexec_b64 vcc, s[22:23]
; %bb.945:                              ;   in Loop: Header=BB15_925 Depth=3
	v_mul_lo_u32 v6, v3, v40
	v_mul_lo_u32 v7, v2, v39
	v_mad_u64_u32 v[4:5], s[22:23], v2, v40, 0
	v_add3_u32 v5, v5, v7, v6
; %bb.946:                              ;   in Loop: Header=BB15_925 Depth=3
	s_or_b64 exec, exec, vcc
	v_and_b32_e32 v2, 0x2000, v28
	v_lshl_add_u64 v[4:5], v[4:5], 1, v[48:49]
	v_cmp_ne_u32_e32 vcc, 0, v2
	s_trap 2
	ds_write_b64 v0, v[4:5]
	s_and_saveexec_b64 s[22:23], vcc
	s_cbranch_execz .LBB15_948
; %bb.947:                              ;   in Loop: Header=BB15_925 Depth=3
	ds_read_b64 v[4:5], v0 offset:584
	s_waitcnt lgkmcnt(0)
	v_lshl_add_u64 v[4:5], v[4:5], 0, 1
	ds_write_b64 v0, v[4:5] offset:584
.LBB15_948:                             ;   in Loop: Header=BB15_925 Depth=3
	s_or_b64 exec, exec, s[22:23]
	v_lshl_add_u64 v[44:45], v[44:45], 0, 2
	s_or_b64 exec, exec, s[28:29]
	s_and_saveexec_b64 s[22:23], s[4:5]
	s_cbranch_execnz .LBB15_954
.LBB15_949:                             ;   in Loop: Header=BB15_925 Depth=3
	s_or_b64 exec, exec, s[22:23]
                                        ; implicit-def: $vgpr2
	s_and_saveexec_b64 s[22:23], s[20:21]
	s_xor_b64 s[22:23], exec, s[22:23]
	s_cbranch_execz .LBB15_972
.LBB15_950:                             ;   in Loop: Header=BB15_925 Depth=3
	s_trap 2
	ds_read_b32 v4, v0
	v_cmp_lt_i32_e32 vcc, 0, v12
	v_and_b32_e32 v5, 16, v28
	v_and_b32_e32 v2, 16, v28
	s_waitcnt lgkmcnt(0)
	v_readfirstlane_b32 s28, v4
	s_cmp_eq_u32 s28, 0
	s_cselect_b64 s[28:29], -1, 0
	s_and_b64 s[28:29], vcc, s[28:29]
	v_cmp_ne_u32_e32 vcc, 0, v5
	s_and_b64 vcc, vcc, s[28:29]
	s_and_saveexec_b64 s[28:29], vcc
	s_cbranch_execz .LBB15_952
; %bb.951:                              ;   in Loop: Header=BB15_925 Depth=3
	v_mov_b32_e32 v2, 1
	buffer_wbl2 sc1
	s_waitcnt vmcnt(0)
	buffer_inv sc1
.LBB15_952:                             ;   in Loop: Header=BB15_925 Depth=3
	s_or_b64 exec, exec, s[28:29]
	s_andn2_saveexec_b64 s[22:23], s[22:23]
	s_cbranch_execz .LBB15_991
	s_branch .LBB15_973
.LBB15_953:                             ;   in Loop: Header=BB15_925 Depth=3
	s_or_b64 exec, exec, s[28:29]
	s_and_saveexec_b64 s[22:23], s[4:5]
	s_cbranch_execz .LBB15_949
.LBB15_954:                             ;   in Loop: Header=BB15_925 Depth=3
	s_and_saveexec_b64 s[28:29], s[38:39]
	s_xor_b64 s[28:29], exec, s[28:29]
	s_cbranch_execz .LBB15_969
; %bb.955:                              ;   in Loop: Header=BB15_925 Depth=3
	s_and_saveexec_b64 s[54:55], s[12:13]
	s_cbranch_execz .LBB15_968
; %bb.956:                              ;   in Loop: Header=BB15_925 Depth=3
	s_mov_b64 s[58:59], exec
	v_mbcnt_lo_u32_b32 v2, s58, 0
	v_mbcnt_hi_u32_b32 v2, s59, v2
	v_cmp_eq_u32_e32 vcc, 0, v2
	s_waitcnt lgkmcnt(0)
	s_and_saveexec_b64 s[56:57], vcc
	s_cbranch_execz .LBB15_958
; %bb.957:                              ;   in Loop: Header=BB15_925 Depth=3
	s_bcnt1_i32_b64 vcc_lo, s[58:59]
	v_mov_b32_e32 v2, vcc_lo
	ds_add_u64 v0, v[2:3]
	s_trap 2
.LBB15_958:                             ;   in Loop: Header=BB15_925 Depth=3
	s_or_b64 exec, exec, s[56:57]
	s_trap 2
	ds_read_b64 v[4:5], v0
	v_lshl_add_u64 v[54:55], v[54:55], 0, v[36:37]
	s_waitcnt lgkmcnt(0)
	v_cmp_lt_u64_e32 vcc, v[4:5], v[54:55]
	s_and_saveexec_b64 s[56:57], vcc
	s_cbranch_execz .LBB15_967
; %bb.959:                              ;   in Loop: Header=BB15_925 Depth=3
	s_mov_b32 s68, 0
	s_mov_b64 s[58:59], 0
                                        ; implicit-def: $sgpr60_sgpr61
                                        ; implicit-def: $sgpr62_sgpr63
	s_branch .LBB15_961
.LBB15_960:                             ;   in Loop: Header=BB15_961 Depth=4
	s_or_b64 exec, exec, s[66:67]
	s_and_b64 vcc, exec, vcc
	s_or_b64 s[58:59], vcc, s[58:59]
	s_andn2_b64 vcc, s[60:61], exec
	s_and_b64 s[60:61], s[62:63], exec
	s_or_b64 s[60:61], vcc, s[60:61]
	s_andn2_b64 exec, exec, s[58:59]
	s_cbranch_execz .LBB15_965
.LBB15_961:                             ;   Parent Loop BB15_47 Depth=1
                                        ;     Parent Loop BB15_743 Depth=2
                                        ;       Parent Loop BB15_925 Depth=3
                                        ; =>      This Inner Loop Header: Depth=4
	s_add_i32 s68, s68, 1
	s_cmpk_lg_i32 s68, 0x2710
	s_cselect_b64 s[64:65], -1, 0
	s_and_b64 vcc, exec, s[64:65]
                                        ; implicit-def: $sgpr66_sgpr67
	s_cbranch_vccnz .LBB15_963
; %bb.962:                              ;   in Loop: Header=BB15_961 Depth=4
	s_trap 2
	ds_read_b64 v[4:5], v0
	s_andn2_b64 s[64:65], s[64:65], exec
	s_mov_b32 s68, 0
	s_mov_b64 s[66:67], -1
	s_waitcnt vmcnt(0) lgkmcnt(0)
	flat_load_dword v2, v[4:5] sc0 sc1
	s_waitcnt vmcnt(0) lgkmcnt(0)
	buffer_inv sc0 sc1
	v_cmp_eq_u32_e32 vcc, 0, v2
	s_and_b64 vcc, vcc, exec
	s_or_b64 s[64:65], s[64:65], vcc
.LBB15_963:                             ;   in Loop: Header=BB15_961 Depth=4
	s_andn2_b64 s[62:63], s[62:63], exec
	s_and_b64 s[66:67], s[66:67], exec
	s_mov_b64 vcc, -1
	s_or_b64 s[62:63], s[62:63], s[66:67]
	s_and_saveexec_b64 s[66:67], s[64:65]
	s_cbranch_execz .LBB15_960
; %bb.964:                              ;   in Loop: Header=BB15_961 Depth=4
	s_sleep 1
	s_trap 2
	ds_read_b64 v[4:5], v0
	s_andn2_b64 s[62:63], s[62:63], exec
	s_waitcnt lgkmcnt(0)
	v_cmp_ge_u64_e32 vcc, v[4:5], v[54:55]
	s_orn2_b64 vcc, vcc, exec
	s_branch .LBB15_960
.LBB15_965:                             ;   in Loop: Header=BB15_925 Depth=3
	s_or_b64 exec, exec, s[58:59]
	s_and_saveexec_b64 vcc, s[60:61]
	s_xor_b64 vcc, exec, vcc
	s_cbranch_execz .LBB15_967
; %bb.966:                              ;   in Loop: Header=BB15_925 Depth=3
	ds_write_b32 v0, v59
	s_trap 2
.LBB15_967:                             ;   in Loop: Header=BB15_925 Depth=3
	s_or_b64 exec, exec, s[56:57]
	;;#ASMSTART
	s_wakeup
	;;#ASMEND
.LBB15_968:                             ;   in Loop: Header=BB15_925 Depth=3
	s_or_b64 exec, exec, s[54:55]
.LBB15_969:                             ;   in Loop: Header=BB15_925 Depth=3
	s_andn2_saveexec_b64 s[28:29], s[28:29]
	s_cbranch_execz .LBB15_971
; %bb.970:                              ;   in Loop: Header=BB15_925 Depth=3
	s_waitcnt lgkmcnt(0)
	s_barrier
.LBB15_971:                             ;   in Loop: Header=BB15_925 Depth=3
	s_or_b64 exec, exec, s[28:29]
	s_or_b64 exec, exec, s[22:23]
                                        ; implicit-def: $vgpr2
	s_and_saveexec_b64 s[22:23], s[20:21]
	s_xor_b64 s[22:23], exec, s[22:23]
	s_cbranch_execnz .LBB15_950
.LBB15_972:                             ;   in Loop: Header=BB15_925 Depth=3
	s_andn2_saveexec_b64 s[22:23], s[22:23]
	s_cbranch_execz .LBB15_991
.LBB15_973:                             ;   in Loop: Header=BB15_925 Depth=3
	s_and_saveexec_b64 s[28:29], s[38:39]
	s_xor_b64 s[28:29], exec, s[28:29]
	s_cbranch_execz .LBB15_988
; %bb.974:                              ;   in Loop: Header=BB15_925 Depth=3
	s_and_saveexec_b64 s[54:55], s[12:13]
	s_cbranch_execz .LBB15_987
; %bb.975:                              ;   in Loop: Header=BB15_925 Depth=3
	s_mov_b64 s[58:59], exec
	v_mbcnt_lo_u32_b32 v2, s58, 0
	v_mbcnt_hi_u32_b32 v2, s59, v2
	v_cmp_eq_u32_e32 vcc, 0, v2
	;;#ASMSTART
	s_waitcnt lgkmcnt(0) vmcnt(0)
	;;#ASMEND
	s_and_saveexec_b64 s[56:57], vcc
	s_cbranch_execz .LBB15_977
; %bb.976:                              ;   in Loop: Header=BB15_925 Depth=3
	s_bcnt1_i32_b64 vcc_lo, s[58:59]
	v_mov_b32_e32 v2, vcc_lo
	ds_add_u64 v0, v[2:3]
	s_trap 2
.LBB15_977:                             ;   in Loop: Header=BB15_925 Depth=3
	s_or_b64 exec, exec, s[56:57]
	s_trap 2
	ds_read_b64 v[4:5], v0
	v_lshl_add_u64 v[54:55], v[54:55], 0, v[36:37]
	s_waitcnt lgkmcnt(0)
	v_cmp_lt_u64_e32 vcc, v[4:5], v[54:55]
	s_and_saveexec_b64 s[56:57], vcc
	s_cbranch_execz .LBB15_986
; %bb.978:                              ;   in Loop: Header=BB15_925 Depth=3
	s_mov_b32 s68, 0
	s_mov_b64 s[58:59], 0
                                        ; implicit-def: $sgpr60_sgpr61
                                        ; implicit-def: $sgpr62_sgpr63
	s_branch .LBB15_980
.LBB15_979:                             ;   in Loop: Header=BB15_980 Depth=4
	s_or_b64 exec, exec, s[66:67]
	s_and_b64 vcc, exec, vcc
	s_or_b64 s[58:59], vcc, s[58:59]
	s_andn2_b64 vcc, s[60:61], exec
	s_and_b64 s[60:61], s[62:63], exec
	s_or_b64 s[60:61], vcc, s[60:61]
	s_andn2_b64 exec, exec, s[58:59]
	s_cbranch_execz .LBB15_984
.LBB15_980:                             ;   Parent Loop BB15_47 Depth=1
                                        ;     Parent Loop BB15_743 Depth=2
                                        ;       Parent Loop BB15_925 Depth=3
                                        ; =>      This Inner Loop Header: Depth=4
	s_add_i32 s68, s68, 1
	s_cmpk_lg_i32 s68, 0x2710
	s_cselect_b64 s[64:65], -1, 0
	s_and_b64 vcc, exec, s[64:65]
                                        ; implicit-def: $sgpr66_sgpr67
	s_cbranch_vccnz .LBB15_982
; %bb.981:                              ;   in Loop: Header=BB15_980 Depth=4
	s_trap 2
	ds_read_b64 v[4:5], v0
	s_andn2_b64 s[64:65], s[64:65], exec
	s_mov_b32 s68, 0
	s_mov_b64 s[66:67], -1
	s_waitcnt vmcnt(0) lgkmcnt(0)
	flat_load_dword v2, v[4:5] sc0 sc1
	s_waitcnt vmcnt(0) lgkmcnt(0)
	buffer_inv sc0 sc1
	v_cmp_eq_u32_e32 vcc, 0, v2
	s_and_b64 vcc, vcc, exec
	s_or_b64 s[64:65], s[64:65], vcc
.LBB15_982:                             ;   in Loop: Header=BB15_980 Depth=4
	s_andn2_b64 s[62:63], s[62:63], exec
	s_and_b64 s[66:67], s[66:67], exec
	s_mov_b64 vcc, -1
	s_or_b64 s[62:63], s[62:63], s[66:67]
	s_and_saveexec_b64 s[66:67], s[64:65]
	s_cbranch_execz .LBB15_979
; %bb.983:                              ;   in Loop: Header=BB15_980 Depth=4
	s_sleep 1
	s_trap 2
	ds_read_b64 v[4:5], v0
	s_andn2_b64 s[62:63], s[62:63], exec
	s_waitcnt lgkmcnt(0)
	v_cmp_ge_u64_e32 vcc, v[4:5], v[54:55]
	s_orn2_b64 vcc, vcc, exec
	s_branch .LBB15_979
.LBB15_984:                             ;   in Loop: Header=BB15_925 Depth=3
	s_or_b64 exec, exec, s[58:59]
	s_and_saveexec_b64 vcc, s[60:61]
	s_xor_b64 vcc, exec, vcc
	s_cbranch_execz .LBB15_986
; %bb.985:                              ;   in Loop: Header=BB15_925 Depth=3
	ds_write_b32 v0, v59
	s_trap 2
.LBB15_986:                             ;   in Loop: Header=BB15_925 Depth=3
	s_or_b64 exec, exec, s[56:57]
	;;#ASMSTART
	s_wakeup
	;;#ASMEND
.LBB15_987:                             ;   in Loop: Header=BB15_925 Depth=3
	s_or_b64 exec, exec, s[54:55]
.LBB15_988:                             ;   in Loop: Header=BB15_925 Depth=3
	s_andn2_saveexec_b64 s[28:29], s[28:29]
	s_cbranch_execz .LBB15_990
; %bb.989:                              ;   in Loop: Header=BB15_925 Depth=3
	;;#ASMSTART
	s_waitcnt lgkmcnt(0) vmcnt(0)
	;;#ASMEND
	s_barrier
.LBB15_990:                             ;   in Loop: Header=BB15_925 Depth=3
	s_or_b64 exec, exec, s[28:29]
	v_and_b32_e32 v2, 16, v28
.LBB15_991:                             ;   in Loop: Header=BB15_925 Depth=3
	s_or_b64 exec, exec, s[22:23]
	v_cmp_ne_u32_e32 vcc, 0, v2
	s_xor_b64 s[22:23], s[6:7], -1
	s_and_b64 s[28:29], vcc, s[22:23]
	s_and_saveexec_b64 s[22:23], s[28:29]
	s_cbranch_execz .LBB15_993
; %bb.992:                              ;   in Loop: Header=BB15_925 Depth=3
	flat_store_dword v[50:51], v59 sc0 sc1
.LBB15_993:                             ;   in Loop: Header=BB15_925 Depth=3
	s_or_b64 exec, exec, s[22:23]
	v_and_b32_e32 v2, 48, v28
	v_cmp_ne_u32_e32 vcc, 0, v2
	s_and_saveexec_b64 s[22:23], vcc
	s_cbranch_execz .LBB15_924
; %bb.994:                              ;   in Loop: Header=BB15_925 Depth=3
	v_lshl_add_u64 v[44:45], v[44:45], 0, 2
	flat_store_dwordx2 v[42:43], v[44:45] sc0 sc1
	s_branch .LBB15_924
.LBB15_995:                             ;   in Loop: Header=BB15_743 Depth=2
	s_or_b64 exec, exec, s[26:27]
.LBB15_996:                             ;   in Loop: Header=BB15_743 Depth=2
	s_or_b64 exec, exec, s[24:25]
	scratch_load_dwordx2 v[20:21], off, s33 offset:172 ; 8-byte Folded Reload
	s_add_i32 s22, s70, 1
	s_cmp_eq_u32 s70, s82
	s_cbranch_scc1 .LBB15_998
; %bb.997:                              ;   in Loop: Header=BB15_743 Depth=2
	s_mov_b32 s70, s22
	s_branch .LBB15_743
.LBB15_998:                             ;   in Loop: Header=BB15_47 Depth=1
	v_accvgpr_read_b32 v18, a34
	v_accvgpr_read_b32 v19, a35
.LBB15_999:                             ;   in Loop: Header=BB15_47 Depth=1
	v_accvgpr_read_b32 v8, a50
	v_accvgpr_read_b32 v9, a51
	v_mul_lo_u32 v2, v9, s80
	v_mul_lo_u32 v6, v8, s81
	v_mad_u64_u32 v[4:5], s[22:23], v8, s80, 0
	v_add3_u32 v5, v5, v6, v2
	v_accvgpr_read_b32 v6, a52
	v_accvgpr_read_b32 v7, a53
	v_sub_co_u32_e32 v6, vcc, v6, v4
	s_nop 1
	v_subb_co_u32_e32 v7, vcc, v7, v5, vcc
	v_cmp_lt_i64_e32 vcc, v[8:9], v[6:7]
	s_nop 1
	v_cndmask_b32_e32 v2, v6, v8, vcc
	v_max_i32_e32 v14, 0, v2
	v_add_u32_e32 v6, 31, v14
	v_ashrrev_i32_e32 v7, 31, v6
	v_lshrrev_b32_e32 v7, 27, v7
	v_add_u32_e32 v6, v6, v7
	v_ashrrev_i32_e32 v6, 5, v6
	v_lshlrev_b32_e32 v6, 4, v6
	v_cmp_lt_i32_e32 vcc, 0, v2
	v_max_i32_e32 v15, s79, v6
	s_and_b64 s[22:23], s[50:51], vcc
	v_mov_b32_e32 v2, 0
	v_mov_b32_e32 v6, 0
	s_and_saveexec_b64 s[24:25], s[22:23]
	s_cbranch_execz .LBB15_1139
; %bb.1000:                             ;   in Loop: Header=BB15_47 Depth=1
	v_accvgpr_read_b32 v6, a54
	v_accvgpr_read_b32 v7, a55
	v_lshl_add_u64 v[4:5], v[4:5], 0, v[6:7]
	s_mov_b32 s70, 1
	s_mov_b64 s[28:29], -1
	s_mov_b64 s[26:27], 0
	v_mov_b32_e32 v6, 0
	v_lshlrev_b64 v[60:61], 1, v[4:5]
	s_branch .LBB15_1002
.LBB15_1001:                            ;   in Loop: Header=BB15_1002 Depth=2
	s_or_b64 exec, exec, s[22:23]
	v_add_u32_e32 v6, v15, v6
	v_cmp_ge_i32_e32 vcc, v6, v14
	s_xor_b64 s[22:23], s[28:29], -1
	s_or_b64 s[22:23], s[22:23], vcc
	s_and_b64 s[22:23], exec, s[22:23]
	s_or_b64 s[26:27], s[22:23], s[26:27]
	s_mov_b64 s[28:29], 0
	v_mov_b32_e32 v2, s70
	s_mov_b32 s70, 2
	s_andn2_b64 exec, exec, s[26:27]
	s_cbranch_execz .LBB15_1138
.LBB15_1002:                            ;   Parent Loop BB15_47 Depth=1
                                        ; =>  This Loop Header: Depth=2
                                        ;       Child Loop BB15_1010 Depth 3
                                        ;       Child Loop BB15_1034 Depth 3
	;; [unrolled: 1-line block ×9, first 2 shown]
	s_and_saveexec_b64 s[22:23], s[0:1]
	s_cbranch_execz .LBB15_1004
; %bb.1003:                             ;   in Loop: Header=BB15_1002 Depth=2
	s_trap 2
	ds_read_b128 v[10:13], v0
	v_ashrrev_i32_e32 v7, 31, v6
	v_lshlrev_b64 v[4:5], 1, v[6:7]
	s_waitcnt lgkmcnt(0)
	v_lshl_add_u64 v[10:11], v[10:11], 0, v[60:61]
	v_lshl_add_u64 v[16:17], v[12:13], 0, v[60:61]
	;; [unrolled: 1-line block ×4, first 2 shown]
	v_cmp_ne_u64_e32 vcc, 0, v[12:13]
	ds_write_b64 v0, v[10:11]
	s_nop 0
	v_cndmask_b32_e32 v5, 0, v5, vcc
	v_cndmask_b32_e32 v4, 0, v4, vcc
	ds_write_b64 v0, v[4:5]
.LBB15_1004:                            ;   in Loop: Header=BB15_1002 Depth=2
	s_or_b64 exec, exec, s[22:23]
	v_and_b32_e32 v2, 4, v28
	v_cmp_ne_u32_e32 vcc, 0, v2
	s_mov_b64 s[54:55], -1
	s_and_saveexec_b64 s[22:23], vcc
	s_cbranch_execz .LBB15_1014
; %bb.1005:                             ;   in Loop: Header=BB15_1002 Depth=2
	v_lshl_add_u64 v[4:5], v[44:45], 0, 2
	v_cmp_lt_u64_e32 vcc, v[56:57], v[4:5]
	v_mov_b32_e32 v2, 1
	s_and_saveexec_b64 s[54:55], vcc
	s_cbranch_execz .LBB15_1025
; %bb.1006:                             ;   in Loop: Header=BB15_1002 Depth=2
	s_mov_b64 s[56:57], 0
	v_mov_b32_e32 v2, 0
                                        ; implicit-def: $sgpr58_sgpr59
	s_branch .LBB15_1010
.LBB15_1007:                            ;   in Loop: Header=BB15_1010 Depth=3
	s_or_b64 exec, exec, s[66:67]
	v_mov_b32_e32 v7, 0
	s_orn2_b64 s[64:65], s[64:65], exec
.LBB15_1008:                            ;   in Loop: Header=BB15_1010 Depth=3
	s_or_b64 exec, exec, s[62:63]
	s_andn2_b64 vcc, s[58:59], exec
	s_and_b64 s[58:59], s[64:65], exec
	s_or_b64 s[58:59], vcc, s[58:59]
	v_mov_b32_e32 v2, v7
.LBB15_1009:                            ;   in Loop: Header=BB15_1010 Depth=3
	s_or_b64 exec, exec, s[60:61]
	s_waitcnt vmcnt(0) lgkmcnt(0)
	v_cmp_ge_u64_e32 vcc, v[56:57], v[4:5]
	s_xor_b64 s[60:61], s[58:59], -1
	s_or_b64 vcc, s[60:61], vcc
	s_and_b64 vcc, exec, vcc
	s_or_b64 s[56:57], vcc, s[56:57]
	s_andn2_b64 exec, exec, s[56:57]
	s_cbranch_execz .LBB15_1024
.LBB15_1010:                            ;   Parent Loop BB15_47 Depth=1
                                        ;     Parent Loop BB15_1002 Depth=2
                                        ; =>    This Inner Loop Header: Depth=3
	s_sleep 1
	flat_load_dwordx2 v[56:57], v[42:43] sc0 sc1
	v_and_b32_e32 v7, 64, v28
	v_cmp_eq_u32_e32 vcc, 0, v7
	s_andn2_b64 s[58:59], s[58:59], exec
	s_and_saveexec_b64 s[60:61], vcc
	s_cbranch_execz .LBB15_1009
; %bb.1011:                             ;   in Loop: Header=BB15_1010 Depth=3
	v_add_u32_e32 v7, 1, v2
	v_cmp_lt_i32_e32 vcc, s83, v2
	s_mov_b64 s[64:65], -1
	s_and_saveexec_b64 s[62:63], vcc
	s_cbranch_execz .LBB15_1008
; %bb.1012:                             ;   in Loop: Header=BB15_1010 Depth=3
	s_trap 2
	ds_read_b64 v[10:11], v0
	s_waitcnt vmcnt(0) lgkmcnt(0)
	flat_load_dword v2, v[10:11] sc0 sc1
	s_waitcnt vmcnt(0) lgkmcnt(0)
	buffer_inv sc0 sc1
	v_cmp_ne_u32_e32 vcc, 0, v2
	s_and_saveexec_b64 s[66:67], vcc
	s_cbranch_execz .LBB15_1007
; %bb.1013:                             ;   in Loop: Header=BB15_1010 Depth=3
	v_or_b32_e32 v28, 64, v28
	s_xor_b64 s[64:65], exec, -1
	ds_write_b32 v0, v2
	s_trap 2
	s_branch .LBB15_1007
.LBB15_1014:                            ;   in Loop: Header=BB15_1002 Depth=2
	s_or_b64 exec, exec, s[22:23]
	s_xor_b64 s[22:23], s[54:55], -1
	s_and_saveexec_b64 s[54:55], s[22:23]
	s_cbranch_execz .LBB15_1026
.LBB15_1015:                            ;   in Loop: Header=BB15_1002 Depth=2
	v_and_b32_e32 v2, 0x100, v28
	v_cmp_ne_u32_e32 vcc, 0, v2
	v_and_b32_e32 v2, 7, v44
	s_mov_b64 s[22:23], -1
                                        ; implicit-def: $vgpr4_vgpr5
	s_and_saveexec_b64 s[56:57], vcc
	s_cbranch_execz .LBB15_1019
; %bb.1016:                             ;   in Loop: Header=BB15_1002 Depth=2
	v_mad_u64_u32 v[10:11], s[22:23], v2, 24, v[52:53]
	flat_load_dword v4, v[10:11]
	s_waitcnt vmcnt(0) lgkmcnt(0)
	v_cmp_ne_u32_e32 vcc, 1, v4
	v_cmp_eq_u32_e64 s[22:23], 1, v4
                                        ; implicit-def: $vgpr4_vgpr5
	s_and_saveexec_b64 s[58:59], s[22:23]
	s_cbranch_execz .LBB15_1018
; %bb.1017:                             ;   in Loop: Header=BB15_1002 Depth=2
	flat_load_dword v4, v[10:11] offset:4 sc0 sc1
	s_waitcnt vmcnt(0) lgkmcnt(0)
	v_ashrrev_i32_e32 v5, 31, v4
	v_lshrrev_b64 v[4:5], 1, v[4:5]
.LBB15_1018:                            ;   in Loop: Header=BB15_1002 Depth=2
	s_or_b64 exec, exec, s[58:59]
	s_orn2_b64 s[22:23], vcc, exec
.LBB15_1019:                            ;   in Loop: Header=BB15_1002 Depth=2
	s_or_b64 exec, exec, s[56:57]
	s_and_saveexec_b64 vcc, s[22:23]
; %bb.1020:                             ;   in Loop: Header=BB15_1002 Depth=2
	v_mad_i64_i32 v[4:5], s[22:23], v2, v40, 0
; %bb.1021:                             ;   in Loop: Header=BB15_1002 Depth=2
	s_or_b64 exec, exec, vcc
	v_and_b32_e32 v2, 0x2000, v28
	v_lshl_add_u64 v[4:5], v[4:5], 1, v[48:49]
	v_cmp_ne_u32_e32 vcc, 0, v2
	ds_write_b64 v0, v[4:5] offset:720
	s_and_saveexec_b64 s[22:23], vcc
	s_cbranch_execz .LBB15_1023
; %bb.1022:                             ;   in Loop: Header=BB15_1002 Depth=2
	ds_read_b64 v[4:5], v0 offset:584
	s_waitcnt lgkmcnt(0)
	v_lshl_add_u64 v[4:5], v[4:5], 0, 1
	ds_write_b64 v0, v[4:5] offset:584
.LBB15_1023:                            ;   in Loop: Header=BB15_1002 Depth=2
	s_or_b64 exec, exec, s[22:23]
	v_lshl_add_u64 v[44:45], v[44:45], 0, 2
	s_or_b64 exec, exec, s[54:55]
	s_and_saveexec_b64 s[22:23], s[4:5]
	s_cbranch_execz .LBB15_1045
	s_branch .LBB15_1027
.LBB15_1024:                            ;   in Loop: Header=BB15_1002 Depth=2
	s_or_b64 exec, exec, s[56:57]
	v_and_b32_e32 v2, 4, v28
.LBB15_1025:                            ;   in Loop: Header=BB15_1002 Depth=2
	s_or_b64 exec, exec, s[54:55]
	v_cmp_eq_u32_e32 vcc, 0, v2
	s_orn2_b64 s[54:55], vcc, exec
	;;#ASMSTART
	s_wakeup
	;;#ASMEND
	s_or_b64 exec, exec, s[22:23]
	s_xor_b64 s[22:23], s[54:55], -1
	s_and_saveexec_b64 s[54:55], s[22:23]
	s_cbranch_execnz .LBB15_1015
.LBB15_1026:                            ;   in Loop: Header=BB15_1002 Depth=2
	s_or_b64 exec, exec, s[54:55]
	s_and_saveexec_b64 s[22:23], s[4:5]
	s_cbranch_execz .LBB15_1045
.LBB15_1027:                            ;   in Loop: Header=BB15_1002 Depth=2
	s_and_saveexec_b64 vcc, s[38:39]
	s_xor_b64 s[54:55], exec, vcc
	s_cbranch_execz .LBB15_1042
; %bb.1028:                             ;   in Loop: Header=BB15_1002 Depth=2
	s_and_saveexec_b64 s[56:57], s[12:13]
	s_cbranch_execz .LBB15_1041
; %bb.1029:                             ;   in Loop: Header=BB15_1002 Depth=2
	s_mov_b64 s[60:61], exec
	v_mbcnt_lo_u32_b32 v2, s60, 0
	v_mbcnt_hi_u32_b32 v2, s61, v2
	v_cmp_eq_u32_e32 vcc, 0, v2
	s_waitcnt lgkmcnt(0)
	s_and_saveexec_b64 s[58:59], vcc
	s_cbranch_execz .LBB15_1031
; %bb.1030:                             ;   in Loop: Header=BB15_1002 Depth=2
	s_bcnt1_i32_b64 vcc_lo, s[60:61]
	v_mov_b32_e32 v2, vcc_lo
	ds_add_u64 v0, v[2:3]
	s_trap 2
.LBB15_1031:                            ;   in Loop: Header=BB15_1002 Depth=2
	s_or_b64 exec, exec, s[58:59]
	s_trap 2
	ds_read_b64 v[4:5], v0
	v_lshl_add_u64 v[54:55], v[54:55], 0, v[36:37]
	s_waitcnt lgkmcnt(0)
	v_cmp_lt_u64_e32 vcc, v[4:5], v[54:55]
	s_and_saveexec_b64 s[58:59], vcc
	s_cbranch_execz .LBB15_1040
; %bb.1032:                             ;   in Loop: Header=BB15_1002 Depth=2
	s_mov_b32 s71, 0
	s_mov_b64 s[60:61], 0
                                        ; implicit-def: $sgpr62_sgpr63
                                        ; implicit-def: $sgpr64_sgpr65
	s_branch .LBB15_1034
.LBB15_1033:                            ;   in Loop: Header=BB15_1034 Depth=3
	s_or_b64 exec, exec, s[68:69]
	s_and_b64 vcc, exec, vcc
	s_or_b64 s[60:61], vcc, s[60:61]
	s_andn2_b64 vcc, s[62:63], exec
	s_and_b64 s[62:63], s[64:65], exec
	s_or_b64 s[62:63], vcc, s[62:63]
	s_andn2_b64 exec, exec, s[60:61]
	s_cbranch_execz .LBB15_1038
.LBB15_1034:                            ;   Parent Loop BB15_47 Depth=1
                                        ;     Parent Loop BB15_1002 Depth=2
                                        ; =>    This Inner Loop Header: Depth=3
	s_add_i32 s71, s71, 1
	s_cmpk_lg_i32 s71, 0x2710
	s_cselect_b64 s[66:67], -1, 0
	s_and_b64 vcc, exec, s[66:67]
                                        ; implicit-def: $sgpr68_sgpr69
	s_cbranch_vccnz .LBB15_1036
; %bb.1035:                             ;   in Loop: Header=BB15_1034 Depth=3
	s_trap 2
	ds_read_b64 v[4:5], v0
	s_andn2_b64 s[66:67], s[66:67], exec
	s_mov_b32 s71, 0
	s_mov_b64 s[68:69], -1
	s_waitcnt vmcnt(0) lgkmcnt(0)
	flat_load_dword v2, v[4:5] sc0 sc1
	s_waitcnt vmcnt(0) lgkmcnt(0)
	buffer_inv sc0 sc1
	v_cmp_eq_u32_e32 vcc, 0, v2
	s_and_b64 vcc, vcc, exec
	s_or_b64 s[66:67], s[66:67], vcc
.LBB15_1036:                            ;   in Loop: Header=BB15_1034 Depth=3
	s_andn2_b64 s[64:65], s[64:65], exec
	s_and_b64 s[68:69], s[68:69], exec
	s_mov_b64 vcc, -1
	s_or_b64 s[64:65], s[64:65], s[68:69]
	s_and_saveexec_b64 s[68:69], s[66:67]
	s_cbranch_execz .LBB15_1033
; %bb.1037:                             ;   in Loop: Header=BB15_1034 Depth=3
	s_sleep 1
	s_trap 2
	ds_read_b64 v[4:5], v0
	s_andn2_b64 s[64:65], s[64:65], exec
	s_waitcnt lgkmcnt(0)
	v_cmp_ge_u64_e32 vcc, v[4:5], v[54:55]
	s_orn2_b64 vcc, vcc, exec
	s_branch .LBB15_1033
.LBB15_1038:                            ;   in Loop: Header=BB15_1002 Depth=2
	s_or_b64 exec, exec, s[60:61]
	s_and_saveexec_b64 vcc, s[62:63]
	s_xor_b64 vcc, exec, vcc
	s_cbranch_execz .LBB15_1040
; %bb.1039:                             ;   in Loop: Header=BB15_1002 Depth=2
	ds_write_b32 v0, v59
	s_trap 2
.LBB15_1040:                            ;   in Loop: Header=BB15_1002 Depth=2
	s_or_b64 exec, exec, s[58:59]
	;;#ASMSTART
	s_wakeup
	;;#ASMEND
.LBB15_1041:                            ;   in Loop: Header=BB15_1002 Depth=2
	s_or_b64 exec, exec, s[56:57]
.LBB15_1042:                            ;   in Loop: Header=BB15_1002 Depth=2
	s_andn2_saveexec_b64 vcc, s[54:55]
	s_cbranch_execz .LBB15_1044
; %bb.1043:                             ;   in Loop: Header=BB15_1002 Depth=2
	s_waitcnt lgkmcnt(0)
	s_barrier
.LBB15_1044:                            ;   in Loop: Header=BB15_1002 Depth=2
	s_or_b64 exec, exec, vcc
.LBB15_1045:                            ;   in Loop: Header=BB15_1002 Depth=2
	s_or_b64 exec, exec, s[22:23]
	s_trap 2
	ds_read_b32 v4, v0
	v_and_b32_e32 v2, 0x4000, v28
	v_cmp_ne_u32_e32 vcc, 0, v2
	s_xor_b64 s[22:23], s[2:3], -1
	s_and_b64 vcc, s[22:23], vcc
	s_and_saveexec_b64 s[22:23], vcc
	s_cbranch_execz .LBB15_1064
; %bb.1046:                             ;   in Loop: Header=BB15_1002 Depth=2
	s_and_saveexec_b64 vcc, s[38:39]
	s_xor_b64 s[54:55], exec, vcc
	s_cbranch_execz .LBB15_1061
; %bb.1047:                             ;   in Loop: Header=BB15_1002 Depth=2
	s_and_saveexec_b64 s[56:57], s[12:13]
	s_cbranch_execz .LBB15_1060
; %bb.1048:                             ;   in Loop: Header=BB15_1002 Depth=2
	s_mov_b64 s[60:61], exec
	v_mbcnt_lo_u32_b32 v2, s60, 0
	v_mbcnt_hi_u32_b32 v2, s61, v2
	v_cmp_eq_u32_e32 vcc, 0, v2
	s_waitcnt lgkmcnt(0)
	s_and_saveexec_b64 s[58:59], vcc
	s_cbranch_execz .LBB15_1050
; %bb.1049:                             ;   in Loop: Header=BB15_1002 Depth=2
	s_bcnt1_i32_b64 vcc_lo, s[60:61]
	v_mov_b32_e32 v2, vcc_lo
	ds_add_u64 v0, v[2:3]
	s_trap 2
.LBB15_1050:                            ;   in Loop: Header=BB15_1002 Depth=2
	s_or_b64 exec, exec, s[58:59]
	s_trap 2
	ds_read_b64 v[10:11], v0
	v_lshl_add_u64 v[54:55], v[54:55], 0, v[36:37]
	s_waitcnt lgkmcnt(0)
	v_cmp_lt_u64_e32 vcc, v[10:11], v[54:55]
	s_and_saveexec_b64 s[58:59], vcc
	s_cbranch_execz .LBB15_1059
; %bb.1051:                             ;   in Loop: Header=BB15_1002 Depth=2
	s_mov_b32 s71, 0
	s_mov_b64 s[60:61], 0
                                        ; implicit-def: $sgpr62_sgpr63
                                        ; implicit-def: $sgpr64_sgpr65
	s_branch .LBB15_1053
.LBB15_1052:                            ;   in Loop: Header=BB15_1053 Depth=3
	s_or_b64 exec, exec, s[68:69]
	s_and_b64 vcc, exec, vcc
	s_or_b64 s[60:61], vcc, s[60:61]
	s_andn2_b64 vcc, s[62:63], exec
	s_and_b64 s[62:63], s[64:65], exec
	s_or_b64 s[62:63], vcc, s[62:63]
	s_andn2_b64 exec, exec, s[60:61]
	s_cbranch_execz .LBB15_1057
.LBB15_1053:                            ;   Parent Loop BB15_47 Depth=1
                                        ;     Parent Loop BB15_1002 Depth=2
                                        ; =>    This Inner Loop Header: Depth=3
	s_add_i32 s71, s71, 1
	s_cmpk_lg_i32 s71, 0x2710
	s_cselect_b64 s[66:67], -1, 0
	s_and_b64 vcc, exec, s[66:67]
                                        ; implicit-def: $sgpr68_sgpr69
	s_cbranch_vccnz .LBB15_1055
; %bb.1054:                             ;   in Loop: Header=BB15_1053 Depth=3
	s_trap 2
	ds_read_b64 v[10:11], v0
	s_andn2_b64 s[66:67], s[66:67], exec
	s_mov_b32 s71, 0
	s_mov_b64 s[68:69], -1
	s_waitcnt vmcnt(0) lgkmcnt(0)
	flat_load_dword v2, v[10:11] sc0 sc1
	s_waitcnt vmcnt(0) lgkmcnt(0)
	buffer_inv sc0 sc1
	v_cmp_eq_u32_e32 vcc, 0, v2
	s_and_b64 vcc, vcc, exec
	s_or_b64 s[66:67], s[66:67], vcc
.LBB15_1055:                            ;   in Loop: Header=BB15_1053 Depth=3
	s_andn2_b64 s[64:65], s[64:65], exec
	s_and_b64 s[68:69], s[68:69], exec
	s_mov_b64 vcc, -1
	s_or_b64 s[64:65], s[64:65], s[68:69]
	s_and_saveexec_b64 s[68:69], s[66:67]
	s_cbranch_execz .LBB15_1052
; %bb.1056:                             ;   in Loop: Header=BB15_1053 Depth=3
	s_sleep 1
	s_trap 2
	ds_read_b64 v[10:11], v0
	s_andn2_b64 s[64:65], s[64:65], exec
	s_waitcnt lgkmcnt(0)
	v_cmp_ge_u64_e32 vcc, v[10:11], v[54:55]
	s_orn2_b64 vcc, vcc, exec
	s_branch .LBB15_1052
.LBB15_1057:                            ;   in Loop: Header=BB15_1002 Depth=2
	s_or_b64 exec, exec, s[60:61]
	s_and_saveexec_b64 vcc, s[62:63]
	s_xor_b64 vcc, exec, vcc
	s_cbranch_execz .LBB15_1059
; %bb.1058:                             ;   in Loop: Header=BB15_1002 Depth=2
	ds_write_b32 v0, v59
	s_trap 2
.LBB15_1059:                            ;   in Loop: Header=BB15_1002 Depth=2
	s_or_b64 exec, exec, s[58:59]
	;;#ASMSTART
	s_wakeup
	;;#ASMEND
.LBB15_1060:                            ;   in Loop: Header=BB15_1002 Depth=2
	s_or_b64 exec, exec, s[56:57]
.LBB15_1061:                            ;   in Loop: Header=BB15_1002 Depth=2
	s_andn2_saveexec_b64 vcc, s[54:55]
	s_cbranch_execz .LBB15_1063
; %bb.1062:                             ;   in Loop: Header=BB15_1002 Depth=2
	s_waitcnt lgkmcnt(0)
	s_barrier
.LBB15_1063:                            ;   in Loop: Header=BB15_1002 Depth=2
	s_or_b64 exec, exec, vcc
.LBB15_1064:                            ;   in Loop: Header=BB15_1002 Depth=2
	s_or_b64 exec, exec, s[22:23]
	s_trap 2
	ds_read_b64 v[10:11], v0
	v_sub_u32_e32 v2, v14, v6
	v_min_i32_e32 v15, v15, v2
	v_mov_b32_e32 v7, 0
	s_waitcnt lgkmcnt(0)
	v_readfirstlane_b32 s22, v10
	v_readfirstlane_b32 s23, v11
	s_cmp_eq_u64 s[22:23], 0
	s_cselect_b64 s[22:23], -1, 0
	s_or_b64 s[22:23], s[22:23], s[22:23]
	s_and_b64 vcc, exec, s[22:23]
	s_cbranch_vccnz .LBB15_1080
; %bb.1065:                             ;   in Loop: Header=BB15_1002 Depth=2
	s_mov_b64 s[22:23], -1
	s_and_saveexec_b64 s[54:55], s[16:17]
	s_cbranch_execz .LBB15_1067
; %bb.1066:                             ;   in Loop: Header=BB15_1002 Depth=2
	ds_read_b32 v2, v0 offset:720
	s_waitcnt lgkmcnt(0)
	v_and_b32_e32 v2, 15, v2
	v_cmp_eq_u32_e32 vcc, 0, v2
	s_orn2_b64 s[22:23], vcc, exec
.LBB15_1067:                            ;   in Loop: Header=BB15_1002 Depth=2
	s_or_b64 exec, exec, s[54:55]
	s_and_saveexec_b64 s[54:55], s[14:15]
	s_cbranch_execz .LBB15_1069
; %bb.1068:                             ;   in Loop: Header=BB15_1002 Depth=2
	ds_read_b32 v2, v0 offset:784
	s_waitcnt lgkmcnt(0)
	v_and_b32_e32 v2, 15, v2
	v_cmp_eq_u32_e32 vcc, 0, v2
	s_and_b64 vcc, s[22:23], vcc
	s_andn2_b64 s[22:23], s[22:23], exec
	s_and_b64 vcc, vcc, exec
	s_or_b64 s[22:23], s[22:23], vcc
.LBB15_1069:                            ;   in Loop: Header=BB15_1002 Depth=2
	s_or_b64 exec, exec, s[54:55]
	v_cmp_eq_u32_e32 vcc, 0, v4
	s_xor_b64 s[22:23], s[22:23], -1
	v_cndmask_b32_e64 v4, 0, 1, s[22:23]
	v_cndmask_b32_e32 v7, 0, v15, vcc
	v_mov_b32_e32 v16, 0
	v_lshlrev_b32_e32 v2, 1, v7
	s_mov_b64 s[56:57], -1
	;;#ASMSTART
	;;#ASMEND
	s_nop 0
	v_cmp_ne_u32_e32 vcc, 0, v4
	s_cbranch_vccz .LBB15_1092
; %bb.1070:                             ;   in Loop: Header=BB15_1002 Depth=2
	v_mov_b32_e32 v17, v58
	v_mov_b32_e32 v10, v38
	s_and_saveexec_b64 s[22:23], s[56:57]
	s_cbranch_execz .LBB15_1105
.LBB15_1071:                            ;   in Loop: Header=BB15_1002 Depth=2
	v_ashrrev_i32_e32 v4, 31, v2
	v_lshrrev_b32_e32 v4, 21, v4
	v_add_u32_e32 v4, v2, v4
	s_waitcnt vmcnt(0)
	v_ashrrev_i32_e32 v20, 11, v4
	v_sub_u32_e32 v18, v20, v10
	v_ashrrev_i32_e32 v4, 31, v17
	v_cmp_lt_i32_e32 vcc, 0, v18
	v_lshrrev_b32_e32 v19, 26, v4
	s_and_saveexec_b64 s[54:55], vcc
	s_cbranch_execz .LBB15_1075
; %bb.1072:                             ;   in Loop: Header=BB15_1002 Depth=2
	s_trap 2
	ds_read_b64 v[4:5], v0
	v_add_u32_e32 v11, v17, v19
	v_and_b32_e32 v11, 0x7fffffc0, v11
	v_sub_u32_e32 v11, v17, v11
	v_lshlrev_b32_e32 v11, 1, v11
	v_lshlrev_b32_e32 v10, 11, v10
	v_add3_u32 v10, v11, v16, v10
	v_accvgpr_read_b32 v8, a46
	v_accvgpr_write_b32 a3, v29
	v_ashrrev_i32_e32 v11, 31, v10
	s_mov_b64 s[56:57], 0
	s_waitcnt lgkmcnt(0)
	v_mov_b64_e32 v[12:13], v[4:5]
	v_mov_b64_e32 v[0:1], v[36:37]
	v_accvgpr_read_b32 v9, a47
.LBB15_1073:                            ;   Parent Loop BB15_47 Depth=1
                                        ;     Parent Loop BB15_1002 Depth=2
                                        ; =>    This Inner Loop Header: Depth=3
	v_lshl_add_u64 v[22:23], v[10:11], 0, v[12:13]
	flat_load_ushort v21, v[22:23] nt
	flat_load_ushort v24, v[22:23] offset:128 nt
	flat_load_ushort v25, v[22:23] offset:256 nt
	;; [unrolled: 1-line block ×15, first 2 shown]
	v_sub_u32_e32 v18, v18, v0
	v_cmp_gt_i32_e32 vcc, 1, v18
	v_lshl_add_u64 v[22:23], v[10:11], 0, v[4:5]
	v_lshl_add_u64 v[12:13], v[12:13], 0, v[8:9]
	;; [unrolled: 1-line block ×3, first 2 shown]
	s_or_b64 s[56:57], vcc, s[56:57]
	s_waitcnt vmcnt(0) lgkmcnt(0)
	flat_store_short v[22:23], v21 nt
	flat_store_short v[22:23], v24 offset:128 nt
	flat_store_short v[22:23], v25 offset:256 nt
	;; [unrolled: 1-line block ×15, first 2 shown]
	s_andn2_b64 exec, exec, s[56:57]
	s_cbranch_execnz .LBB15_1073
; %bb.1074:                             ;   in Loop: Header=BB15_1002 Depth=2
	s_or_b64 exec, exec, s[56:57]
	v_accvgpr_read_b32 v26, a28
	v_accvgpr_read_b32 v30, a30
	;; [unrolled: 1-line block ×4, first 2 shown]
	v_mov_b64_e32 v[36:37], v[0:1]
	v_accvgpr_read_b32 v0, a48
	v_accvgpr_read_b32 v39, a17
	;; [unrolled: 1-line block ×9, first 2 shown]
.LBB15_1075:                            ;   in Loop: Header=BB15_1002 Depth=2
	s_or_b64 exec, exec, s[54:55]
	v_lshlrev_b32_e32 v4, 11, v20
	v_cmp_ne_u32_e32 vcc, v2, v4
	s_and_saveexec_b64 s[54:55], vcc
	s_cbranch_execz .LBB15_1079
; %bb.1076:                             ;   in Loop: Header=BB15_1002 Depth=2
	v_add_u32_e32 v5, v17, v19
	v_and_b32_e32 v5, 0xffffffc0, v5
	v_sub_u32_e32 v5, v17, v5
	v_lshlrev_b32_e32 v10, 6, v18
	v_sub_u32_e32 v5, v5, v10
	v_ashrrev_i32_e32 v10, 31, v5
	v_lshrrev_b32_e32 v10, 26, v10
	v_add_u32_e32 v10, v5, v10
	v_and_b32_e32 v11, 0x7fffffc0, v10
	v_sub_u32_e32 v5, v5, v11
	v_lshlrev_b32_e32 v10, 1, v10
	v_and_b32_e32 v10, 0xffffff80, v10
	v_lshlrev_b32_e32 v5, 1, v5
	v_add3_u32 v10, v10, v5, v4
	v_sub_u32_e32 v2, v2, v10
	v_cmp_lt_i32_e32 vcc, 1, v2
	s_and_b64 exec, exec, vcc
	s_cbranch_execz .LBB15_1079
; %bb.1077:                             ;   in Loop: Header=BB15_1002 Depth=2
	s_trap 2
	ds_read_b64 v[4:5], v0
	v_add_u32_e32 v10, v10, v16
	v_ashrrev_i32_e32 v11, 31, v10
	s_mov_b64 s[56:57], 0
.LBB15_1078:                            ;   Parent Loop BB15_47 Depth=1
                                        ;     Parent Loop BB15_1002 Depth=2
                                        ; =>    This Inner Loop Header: Depth=3
	s_waitcnt lgkmcnt(0)
	v_lshl_add_u64 v[12:13], v[4:5], 0, v[10:11]
	flat_load_ushort v16, v[12:13] nt
	v_sub_u32_e32 v2, v2, v41
	v_cmp_gt_i32_e32 vcc, 2, v2
	v_lshl_add_u64 v[10:11], v[10:11], 0, v[34:35]
	s_or_b64 s[56:57], vcc, s[56:57]
	s_waitcnt vmcnt(0) lgkmcnt(0)
	flat_store_short v[12:13], v16 nt
	s_andn2_b64 exec, exec, s[56:57]
	s_cbranch_execnz .LBB15_1078
.LBB15_1079:                            ;   in Loop: Header=BB15_1002 Depth=2
	s_or_b64 exec, exec, s[54:55]
	scratch_load_dwordx2 v[20:21], off, s33 offset:172 ; 8-byte Folded Reload
	v_accvgpr_read_b32 v18, a34
	v_accvgpr_read_b32 v19, a35
	s_or_b64 exec, exec, s[22:23]
	s_and_saveexec_b64 s[22:23], s[4:5]
	s_cbranch_execz .LBB15_1106
	s_branch .LBB15_1081
.LBB15_1080:                            ;   in Loop: Header=BB15_1002 Depth=2
	s_and_saveexec_b64 s[22:23], s[4:5]
	s_cbranch_execz .LBB15_1106
.LBB15_1081:                            ;   in Loop: Header=BB15_1002 Depth=2
	s_and_saveexec_b64 vcc, s[38:39]
	s_xor_b64 s[54:55], exec, vcc
	s_cbranch_execz .LBB15_1114
; %bb.1082:                             ;   in Loop: Header=BB15_1002 Depth=2
	s_and_saveexec_b64 s[56:57], s[12:13]
	s_cbranch_execz .LBB15_1113
; %bb.1083:                             ;   in Loop: Header=BB15_1002 Depth=2
	s_mov_b64 s[60:61], exec
	v_mbcnt_lo_u32_b32 v2, s60, 0
	v_mbcnt_hi_u32_b32 v2, s61, v2
	v_cmp_eq_u32_e32 vcc, 0, v2
	s_waitcnt lgkmcnt(0)
	s_and_saveexec_b64 s[58:59], vcc
	s_cbranch_execz .LBB15_1085
; %bb.1084:                             ;   in Loop: Header=BB15_1002 Depth=2
	s_bcnt1_i32_b64 vcc_lo, s[60:61]
	v_mov_b32_e32 v2, vcc_lo
	ds_add_u64 v0, v[2:3]
	s_trap 2
.LBB15_1085:                            ;   in Loop: Header=BB15_1002 Depth=2
	s_or_b64 exec, exec, s[58:59]
	s_trap 2
	ds_read_b64 v[4:5], v0
	v_lshl_add_u64 v[54:55], v[54:55], 0, v[36:37]
	s_waitcnt lgkmcnt(0)
	v_cmp_lt_u64_e32 vcc, v[4:5], v[54:55]
	s_and_saveexec_b64 s[58:59], vcc
	s_cbranch_execz .LBB15_1112
; %bb.1086:                             ;   in Loop: Header=BB15_1002 Depth=2
	s_mov_b32 s71, 0
	s_mov_b64 s[60:61], 0
                                        ; implicit-def: $sgpr62_sgpr63
                                        ; implicit-def: $sgpr64_sgpr65
	s_branch .LBB15_1088
.LBB15_1087:                            ;   in Loop: Header=BB15_1088 Depth=3
	s_or_b64 exec, exec, s[68:69]
	s_and_b64 vcc, exec, vcc
	s_or_b64 s[60:61], vcc, s[60:61]
	s_andn2_b64 vcc, s[62:63], exec
	s_and_b64 s[62:63], s[64:65], exec
	s_or_b64 s[62:63], vcc, s[62:63]
	s_andn2_b64 exec, exec, s[60:61]
	s_cbranch_execz .LBB15_1110
.LBB15_1088:                            ;   Parent Loop BB15_47 Depth=1
                                        ;     Parent Loop BB15_1002 Depth=2
                                        ; =>    This Inner Loop Header: Depth=3
	s_add_i32 s71, s71, 1
	s_cmpk_lg_i32 s71, 0x2710
	s_cselect_b64 s[66:67], -1, 0
	s_and_b64 vcc, exec, s[66:67]
                                        ; implicit-def: $sgpr68_sgpr69
	s_cbranch_vccnz .LBB15_1090
; %bb.1089:                             ;   in Loop: Header=BB15_1088 Depth=3
	s_trap 2
	ds_read_b64 v[4:5], v0
	s_andn2_b64 s[66:67], s[66:67], exec
	s_mov_b32 s71, 0
	s_mov_b64 s[68:69], -1
	s_waitcnt vmcnt(0) lgkmcnt(0)
	flat_load_dword v2, v[4:5] sc0 sc1
	s_waitcnt vmcnt(0) lgkmcnt(0)
	buffer_inv sc0 sc1
	v_cmp_eq_u32_e32 vcc, 0, v2
	s_and_b64 vcc, vcc, exec
	s_or_b64 s[66:67], s[66:67], vcc
.LBB15_1090:                            ;   in Loop: Header=BB15_1088 Depth=3
	s_andn2_b64 s[64:65], s[64:65], exec
	s_and_b64 s[68:69], s[68:69], exec
	s_mov_b64 vcc, -1
	s_or_b64 s[64:65], s[64:65], s[68:69]
	s_and_saveexec_b64 s[68:69], s[66:67]
	s_cbranch_execz .LBB15_1087
; %bb.1091:                             ;   in Loop: Header=BB15_1088 Depth=3
	s_sleep 1
	s_trap 2
	ds_read_b64 v[4:5], v0
	s_andn2_b64 s[64:65], s[64:65], exec
	s_waitcnt lgkmcnt(0)
	v_cmp_ge_u64_e32 vcc, v[4:5], v[54:55]
	s_orn2_b64 vcc, vcc, exec
	s_branch .LBB15_1087
.LBB15_1092:                            ;   in Loop: Header=BB15_1002 Depth=2
	v_ashrrev_i32_e32 v4, 31, v2
	v_lshrrev_b32_e32 v4, 19, v4
	v_add_u32_e32 v4, v2, v4
	v_ashrrev_i32_e32 v12, 13, v4
	v_sub_u32_e32 v13, v12, v38
	v_cmp_lt_i32_e32 vcc, 0, v13
	s_and_saveexec_b64 s[54:55], vcc
	s_cbranch_execz .LBB15_1096
; %bb.1093:                             ;   in Loop: Header=BB15_1002 Depth=2
	s_trap 2
	ds_read_b64 v[4:5], v0
	v_accvgpr_write_b32 a22, v54
	v_accvgpr_write_b32 a12, v44
	;; [unrolled: 1-line block ×4, first 2 shown]
	s_mov_b64 s[56:57], 0
	s_waitcnt lgkmcnt(0)
	v_mov_b64_e32 v[10:11], v[4:5]
	v_mov_b64_e32 v[8:9], v[18:19]
	;; [unrolled: 1-line block ×3, first 2 shown]
.LBB15_1094:                            ;   Parent Loop BB15_47 Depth=1
                                        ;     Parent Loop BB15_1002 Depth=2
                                        ; =>    This Inner Loop Header: Depth=3
	s_waitcnt vmcnt(0)
	v_lshl_add_u64 v[34:35], v[20:21], 0, v[10:11]
	v_add_co_u32_e32 v52, vcc, 0x1000, v34
	global_load_dwordx4 v[16:19], v[34:35], off nt
	global_load_dwordx4 v[20:23], v[34:35], off offset:1024 nt
	global_load_dwordx4 v[24:27], v[34:35], off offset:2048 nt
	;; [unrolled: 1-line block ×3, first 2 shown]
	v_addc_co_u32_e32 v53, vcc, 0, v35, vcc
	global_load_dwordx4 v[34:37], v[52:53], off nt
	global_load_dwordx4 v[48:51], v[52:53], off offset:1024 nt
	global_load_dwordx4 v[38:41], v[52:53], off offset:2048 nt
	;; [unrolled: 1-line block ×3, first 2 shown]
	s_nop 0
	scratch_load_dwordx2 v[52:53], off, s33 offset:172 ; 8-byte Folded Reload
	v_sub_u32_e32 v13, v13, v0
	v_cmp_gt_i32_e64 s[22:23], 1, v13
	v_lshl_add_u64 v[10:11], v[10:11], 0, v[8:9]
	s_or_b64 s[56:57], s[22:23], s[56:57]
	s_waitcnt vmcnt(0)
	v_lshl_add_u64 v[52:53], v[52:53], 0, v[4:5]
	global_store_dwordx4 v[52:53], v[16:19], off nt
	global_store_dwordx4 v[52:53], v[20:23], off offset:1024 nt
	scratch_load_dwordx2 v[20:21], off, s33 offset:172 ; 8-byte Folded Reload
	v_lshl_add_u64 v[4:5], v[4:5], 0, v[8:9]
	v_add_co_u32_e32 v54, vcc, 0x1000, v52
	s_nop 1
	v_addc_co_u32_e32 v55, vcc, 0, v53, vcc
	global_store_dwordx4 v[52:53], v[24:27], off offset:2048 nt
	global_store_dwordx4 v[52:53], v[30:33], off offset:3072 nt
	global_store_dwordx4 v[54:55], v[34:37], off nt
	global_store_dwordx4 v[54:55], v[48:51], off offset:1024 nt
	global_store_dwordx4 v[54:55], v[38:41], off offset:2048 nt
	;; [unrolled: 1-line block ×3, first 2 shown]
	s_andn2_b64 exec, exec, s[56:57]
	s_cbranch_execnz .LBB15_1094
; %bb.1095:                             ;   in Loop: Header=BB15_1002 Depth=2
	s_or_b64 exec, exec, s[56:57]
	v_accvgpr_read_b32 v45, a13
	v_accvgpr_read_b32 v53, a15
	;; [unrolled: 1-line block ×10, first 2 shown]
	v_mov_b64_e32 v[36:37], v[0:1]
	v_accvgpr_read_b32 v0, a48
	v_accvgpr_read_b32 v44, a12
	;; [unrolled: 1-line block ×13, first 2 shown]
	v_mov_b64_e32 v[18:19], v[8:9]
	v_accvgpr_read_b32 v33, a37
	v_accvgpr_read_b32 v35, a39
	;; [unrolled: 1-line block ×3, first 2 shown]
.LBB15_1096:                            ;   in Loop: Header=BB15_1002 Depth=2
	s_or_b64 exec, exec, s[54:55]
	v_lshlrev_b32_e32 v12, 13, v12
	v_cmp_ne_u32_e32 vcc, v2, v12
	s_mov_b64 s[56:57], 0
	v_mov_b32_e32 v16, 0
                                        ; implicit-def: $vgpr17
                                        ; implicit-def: $vgpr10
	s_and_saveexec_b64 s[54:55], vcc
	s_cbranch_execz .LBB15_1104
; %bb.1097:                             ;   in Loop: Header=BB15_1002 Depth=2
	v_lshlrev_b32_e32 v5, 6, v13
	v_accvgpr_read_b32 v8, a33
	v_sub_u32_e32 v5, v8, v5
	v_ashrrev_i32_e32 v10, 31, v5
	v_lshrrev_b32_e32 v10, 26, v10
	v_add_u32_e32 v10, v5, v10
	v_ashrrev_i32_e32 v11, 6, v10
	v_and_b32_e32 v10, 0xffffffc0, v10
	v_sub_u32_e32 v13, v5, v10
	v_sub_u32_e32 v4, v2, v12
	v_lshlrev_b32_e32 v5, 4, v13
	v_lshl_add_u32 v10, v11, 10, v5
	v_ashrrev_i32_e32 v5, 31, v4
	v_lshrrev_b32_e32 v5, 22, v5
	v_add_u32_e32 v5, v4, v5
	v_and_b32_e32 v18, 0xfffffc00, v5
	s_waitcnt vmcnt(0)
	v_sub_u32_e32 v20, v4, v18
	v_ashrrev_i32_e32 v17, 10, v5
	v_cmp_lt_i32_e32 vcc, 15, v20
	v_sub_u32_e32 v16, v4, v10
	s_nop 0
	v_addc_co_u32_e64 v4, s[22:23], 0, v17, vcc
	v_sub_u32_e32 v19, v4, v11
	v_cmp_lt_i32_e64 s[22:23], 15, v16
	s_and_saveexec_b64 s[56:57], s[22:23]
	s_cbranch_execz .LBB15_1101
; %bb.1098:                             ;   in Loop: Header=BB15_1002 Depth=2
	s_trap 2
	ds_read_b64 v[4:5], v0
	v_add_u32_e32 v10, v10, v12
	v_ashrrev_i32_e32 v11, 31, v10
	s_mov_b64 s[58:59], 0
.LBB15_1099:                            ;   Parent Loop BB15_47 Depth=1
                                        ;     Parent Loop BB15_1002 Depth=2
                                        ; =>    This Inner Loop Header: Depth=3
	s_waitcnt lgkmcnt(0)
	v_lshl_add_u64 v[26:27], v[4:5], 0, v[10:11]
	global_load_dwordx4 v[22:25], v[26:27], off nt
	v_sub_u32_e32 v16, v16, v29
	v_cmp_gt_i32_e64 s[22:23], 16, v16
	v_sub_u32_e32 v19, v19, v36
	v_lshl_add_u64 v[10:11], v[10:11], 0, v[32:33]
	s_or_b64 s[58:59], s[22:23], s[58:59]
	s_waitcnt vmcnt(0)
	global_store_dwordx4 v[26:27], v[22:25], off nt
	s_andn2_b64 exec, exec, s[58:59]
	s_cbranch_execnz .LBB15_1099
; %bb.1100:                             ;   in Loop: Header=BB15_1002 Depth=2
	s_or_b64 exec, exec, s[58:59]
	v_accvgpr_read_b32 v26, a28
	v_accvgpr_read_b32 v0, a48
	;; [unrolled: 1-line block ×4, first 2 shown]
.LBB15_1101:                            ;   in Loop: Header=BB15_1002 Depth=2
	s_or_b64 exec, exec, s[56:57]
	v_and_b32_e32 v4, 14, v2
	v_cndmask_b32_e32 v2, v20, v4, vcc
	v_cmp_ne_u32_e64 s[22:23], 0, v2
	s_mov_b64 s[56:57], 0
	v_mov_b32_e32 v16, 0
                                        ; implicit-def: $vgpr17
                                        ; implicit-def: $vgpr10
	s_and_saveexec_b64 s[58:59], s[22:23]
	s_cbranch_execz .LBB15_1103
; %bb.1102:                             ;   in Loop: Header=BB15_1002 Depth=2
	v_sub_u32_e32 v4, v20, v4
	v_cndmask_b32_e32 v4, 0, v4, vcc
	v_cmp_lt_i32_e32 vcc, 0, v19
	v_add3_u32 v16, v18, v12, v4
	s_mov_b64 s[56:57], exec
	v_cndmask_b32_e32 v4, 0, v36, vcc
	v_sub_u32_e32 v4, v4, v19
	v_lshl_add_u32 v17, v4, 6, v13
	v_ashrrev_i32_e32 v4, 31, v17
	v_lshrrev_b32_e32 v4, 26, v4
	v_add_u32_e32 v4, v17, v4
	v_ashrrev_i32_e32 v10, 6, v4
.LBB15_1103:                            ;   in Loop: Header=BB15_1002 Depth=2
	s_or_b64 exec, exec, s[58:59]
	scratch_load_dwordx2 v[20:21], off, s33 offset:172 ; 8-byte Folded Reload
	v_accvgpr_read_b32 v18, a34
	s_and_b64 s[56:57], s[56:57], exec
	v_accvgpr_read_b32 v19, a35
.LBB15_1104:                            ;   in Loop: Header=BB15_1002 Depth=2
	s_or_b64 exec, exec, s[54:55]
	s_and_saveexec_b64 s[22:23], s[56:57]
	s_cbranch_execnz .LBB15_1071
.LBB15_1105:                            ;   in Loop: Header=BB15_1002 Depth=2
	s_or_b64 exec, exec, s[22:23]
	s_and_saveexec_b64 s[22:23], s[4:5]
	s_cbranch_execnz .LBB15_1081
.LBB15_1106:                            ;   in Loop: Header=BB15_1002 Depth=2
	s_or_b64 exec, exec, s[22:23]
	s_and_saveexec_b64 s[22:23], s[20:21]
	s_xor_b64 s[54:55], exec, s[22:23]
	s_cbranch_execz .LBB15_1117
.LBB15_1107:                            ;   in Loop: Header=BB15_1002 Depth=2
	v_and_b32_e32 v2, 16, v28
	v_cmp_lt_i32_e32 vcc, 0, v7
	v_cmp_ne_u32_e64 s[22:23], 0, v2
	s_and_b64 vcc, s[22:23], vcc
	s_and_saveexec_b64 s[22:23], vcc
	s_cbranch_execz .LBB15_1109
; %bb.1108:                             ;   in Loop: Header=BB15_1002 Depth=2
	buffer_wbl2 sc1
	s_waitcnt vmcnt(0) lgkmcnt(0)
	buffer_inv sc1
.LBB15_1109:                            ;   in Loop: Header=BB15_1002 Depth=2
	s_or_b64 exec, exec, s[22:23]
	s_andn2_saveexec_b64 s[22:23], s[54:55]
	s_cbranch_execz .LBB15_1136
	s_branch .LBB15_1118
.LBB15_1110:                            ;   in Loop: Header=BB15_1002 Depth=2
	s_or_b64 exec, exec, s[60:61]
	s_and_saveexec_b64 vcc, s[62:63]
	s_xor_b64 vcc, exec, vcc
	s_cbranch_execz .LBB15_1112
; %bb.1111:                             ;   in Loop: Header=BB15_1002 Depth=2
	ds_write_b32 v0, v59
	s_trap 2
.LBB15_1112:                            ;   in Loop: Header=BB15_1002 Depth=2
	s_or_b64 exec, exec, s[58:59]
	;;#ASMSTART
	s_wakeup
	;;#ASMEND
.LBB15_1113:                            ;   in Loop: Header=BB15_1002 Depth=2
	s_or_b64 exec, exec, s[56:57]
.LBB15_1114:                            ;   in Loop: Header=BB15_1002 Depth=2
	s_andn2_saveexec_b64 vcc, s[54:55]
	s_cbranch_execz .LBB15_1116
; %bb.1115:                             ;   in Loop: Header=BB15_1002 Depth=2
	s_waitcnt lgkmcnt(0)
	s_barrier
.LBB15_1116:                            ;   in Loop: Header=BB15_1002 Depth=2
	s_or_b64 exec, exec, vcc
	s_or_b64 exec, exec, s[22:23]
	s_and_saveexec_b64 s[22:23], s[20:21]
	s_xor_b64 s[54:55], exec, s[22:23]
	s_cbranch_execnz .LBB15_1107
.LBB15_1117:                            ;   in Loop: Header=BB15_1002 Depth=2
	s_andn2_saveexec_b64 s[22:23], s[54:55]
	s_cbranch_execz .LBB15_1136
.LBB15_1118:                            ;   in Loop: Header=BB15_1002 Depth=2
	s_and_saveexec_b64 vcc, s[38:39]
	s_xor_b64 s[54:55], exec, vcc
	s_cbranch_execz .LBB15_1133
; %bb.1119:                             ;   in Loop: Header=BB15_1002 Depth=2
	s_and_saveexec_b64 s[56:57], s[12:13]
	s_cbranch_execz .LBB15_1132
; %bb.1120:                             ;   in Loop: Header=BB15_1002 Depth=2
	s_mov_b64 s[60:61], exec
	v_mbcnt_lo_u32_b32 v2, s60, 0
	v_mbcnt_hi_u32_b32 v2, s61, v2
	v_cmp_eq_u32_e32 vcc, 0, v2
	;;#ASMSTART
	s_waitcnt lgkmcnt(0) vmcnt(0)
	;;#ASMEND
	s_and_saveexec_b64 s[58:59], vcc
	s_cbranch_execz .LBB15_1122
; %bb.1121:                             ;   in Loop: Header=BB15_1002 Depth=2
	s_bcnt1_i32_b64 vcc_lo, s[60:61]
	v_mov_b32_e32 v2, vcc_lo
	ds_add_u64 v0, v[2:3]
	s_trap 2
.LBB15_1122:                            ;   in Loop: Header=BB15_1002 Depth=2
	s_or_b64 exec, exec, s[58:59]
	s_trap 2
	ds_read_b64 v[4:5], v0
	v_lshl_add_u64 v[54:55], v[54:55], 0, v[36:37]
	s_waitcnt lgkmcnt(0)
	v_cmp_lt_u64_e32 vcc, v[4:5], v[54:55]
	s_and_saveexec_b64 s[58:59], vcc
	s_cbranch_execz .LBB15_1131
; %bb.1123:                             ;   in Loop: Header=BB15_1002 Depth=2
	s_mov_b32 s71, 0
	s_mov_b64 s[60:61], 0
                                        ; implicit-def: $sgpr62_sgpr63
                                        ; implicit-def: $sgpr64_sgpr65
	s_branch .LBB15_1125
.LBB15_1124:                            ;   in Loop: Header=BB15_1125 Depth=3
	s_or_b64 exec, exec, s[68:69]
	s_and_b64 vcc, exec, vcc
	s_or_b64 s[60:61], vcc, s[60:61]
	s_andn2_b64 vcc, s[62:63], exec
	s_and_b64 s[62:63], s[64:65], exec
	s_or_b64 s[62:63], vcc, s[62:63]
	s_andn2_b64 exec, exec, s[60:61]
	s_cbranch_execz .LBB15_1129
.LBB15_1125:                            ;   Parent Loop BB15_47 Depth=1
                                        ;     Parent Loop BB15_1002 Depth=2
                                        ; =>    This Inner Loop Header: Depth=3
	s_add_i32 s71, s71, 1
	s_cmpk_lg_i32 s71, 0x2710
	s_cselect_b64 s[66:67], -1, 0
	s_and_b64 vcc, exec, s[66:67]
                                        ; implicit-def: $sgpr68_sgpr69
	s_cbranch_vccnz .LBB15_1127
; %bb.1126:                             ;   in Loop: Header=BB15_1125 Depth=3
	s_trap 2
	ds_read_b64 v[4:5], v0
	s_andn2_b64 s[66:67], s[66:67], exec
	s_mov_b32 s71, 0
	s_mov_b64 s[68:69], -1
	s_waitcnt vmcnt(0) lgkmcnt(0)
	flat_load_dword v2, v[4:5] sc0 sc1
	s_waitcnt vmcnt(0) lgkmcnt(0)
	buffer_inv sc0 sc1
	v_cmp_eq_u32_e32 vcc, 0, v2
	s_and_b64 vcc, vcc, exec
	s_or_b64 s[66:67], s[66:67], vcc
.LBB15_1127:                            ;   in Loop: Header=BB15_1125 Depth=3
	s_andn2_b64 s[64:65], s[64:65], exec
	s_and_b64 s[68:69], s[68:69], exec
	s_mov_b64 vcc, -1
	s_or_b64 s[64:65], s[64:65], s[68:69]
	s_and_saveexec_b64 s[68:69], s[66:67]
	s_cbranch_execz .LBB15_1124
; %bb.1128:                             ;   in Loop: Header=BB15_1125 Depth=3
	s_sleep 1
	s_trap 2
	ds_read_b64 v[4:5], v0
	s_andn2_b64 s[64:65], s[64:65], exec
	s_waitcnt lgkmcnt(0)
	v_cmp_ge_u64_e32 vcc, v[4:5], v[54:55]
	s_orn2_b64 vcc, vcc, exec
	s_branch .LBB15_1124
.LBB15_1129:                            ;   in Loop: Header=BB15_1002 Depth=2
	s_or_b64 exec, exec, s[60:61]
	s_and_saveexec_b64 vcc, s[62:63]
	s_xor_b64 vcc, exec, vcc
	s_cbranch_execz .LBB15_1131
; %bb.1130:                             ;   in Loop: Header=BB15_1002 Depth=2
	ds_write_b32 v0, v59
	s_trap 2
.LBB15_1131:                            ;   in Loop: Header=BB15_1002 Depth=2
	s_or_b64 exec, exec, s[58:59]
	;;#ASMSTART
	s_wakeup
	;;#ASMEND
.LBB15_1132:                            ;   in Loop: Header=BB15_1002 Depth=2
	s_or_b64 exec, exec, s[56:57]
.LBB15_1133:                            ;   in Loop: Header=BB15_1002 Depth=2
	s_andn2_saveexec_b64 vcc, s[54:55]
	s_cbranch_execz .LBB15_1135
; %bb.1134:                             ;   in Loop: Header=BB15_1002 Depth=2
	;;#ASMSTART
	s_waitcnt lgkmcnt(0) vmcnt(0)
	;;#ASMEND
	s_barrier
.LBB15_1135:                            ;   in Loop: Header=BB15_1002 Depth=2
	s_or_b64 exec, exec, vcc
.LBB15_1136:                            ;   in Loop: Header=BB15_1002 Depth=2
	s_or_b64 exec, exec, s[22:23]
	v_and_b32_e32 v2, 32, v28
	v_cmp_ne_u32_e32 vcc, 0, v2
	s_and_saveexec_b64 s[22:23], vcc
	s_cbranch_execz .LBB15_1001
; %bb.1137:                             ;   in Loop: Header=BB15_1002 Depth=2
	v_lshl_add_u64 v[44:45], v[44:45], 0, 2
	flat_store_dwordx2 v[42:43], v[44:45] sc0 sc1
	s_branch .LBB15_1001
.LBB15_1138:                            ;   in Loop: Header=BB15_47 Depth=1
	s_or_b64 exec, exec, s[26:27]
.LBB15_1139:                            ;   in Loop: Header=BB15_47 Depth=1
	s_or_b64 exec, exec, s[24:25]
	v_cmp_gt_i32_e32 vcc, 2, v2
	s_and_saveexec_b64 s[24:25], vcc
	s_cbranch_execz .LBB15_46
; %bb.1140:                             ;   in Loop: Header=BB15_47 Depth=1
	v_cmp_eq_u32_e64 s[22:23], 0, v2
	s_mov_b64 s[26:27], 0
	s_branch .LBB15_1142
.LBB15_1141:                            ;   in Loop: Header=BB15_1142 Depth=2
	s_or_b64 exec, exec, s[22:23]
	v_add_u32_e32 v6, v15, v6
	s_mov_b64 s[22:23], 0
	s_andn2_b64 exec, exec, s[26:27]
	s_cbranch_execz .LBB15_45
.LBB15_1142:                            ;   Parent Loop BB15_47 Depth=1
                                        ; =>  This Loop Header: Depth=2
                                        ;       Child Loop BB15_1148 Depth 3
                                        ;       Child Loop BB15_1172 Depth 3
	;; [unrolled: 1-line block ×3, first 2 shown]
	v_and_b32_e32 v2, 4, v28
	s_mov_b64 s[54:55], -1
	v_cmp_ne_u32_e32 vcc, 0, v2
	s_and_saveexec_b64 s[28:29], vcc
	s_cbranch_execz .LBB15_1154
; %bb.1143:                             ;   in Loop: Header=BB15_1142 Depth=2
	v_lshl_add_u64 v[4:5], v[44:45], 0, 2
	v_cmp_lt_u64_e32 vcc, v[56:57], v[4:5]
	v_mov_b32_e32 v2, 1
	s_and_saveexec_b64 s[54:55], vcc
	s_cbranch_execz .LBB15_1153
; %bb.1144:                             ;   in Loop: Header=BB15_1142 Depth=2
	s_mov_b64 s[56:57], 0
	v_mov_b32_e32 v2, 0
                                        ; implicit-def: $sgpr58_sgpr59
	s_branch .LBB15_1148
.LBB15_1145:                            ;   in Loop: Header=BB15_1148 Depth=3
	s_or_b64 exec, exec, s[66:67]
	v_mov_b32_e32 v7, 0
	s_orn2_b64 s[64:65], s[64:65], exec
.LBB15_1146:                            ;   in Loop: Header=BB15_1148 Depth=3
	s_or_b64 exec, exec, s[62:63]
	s_andn2_b64 vcc, s[58:59], exec
	s_and_b64 s[58:59], s[64:65], exec
	s_or_b64 s[58:59], vcc, s[58:59]
	v_mov_b32_e32 v2, v7
.LBB15_1147:                            ;   in Loop: Header=BB15_1148 Depth=3
	s_or_b64 exec, exec, s[60:61]
	s_waitcnt vmcnt(0) lgkmcnt(0)
	v_cmp_ge_u64_e32 vcc, v[56:57], v[4:5]
	s_xor_b64 s[60:61], s[58:59], -1
	s_or_b64 vcc, s[60:61], vcc
	s_and_b64 vcc, exec, vcc
	s_or_b64 s[56:57], vcc, s[56:57]
	s_andn2_b64 exec, exec, s[56:57]
	s_cbranch_execz .LBB15_1152
.LBB15_1148:                            ;   Parent Loop BB15_47 Depth=1
                                        ;     Parent Loop BB15_1142 Depth=2
                                        ; =>    This Inner Loop Header: Depth=3
	s_sleep 1
	flat_load_dwordx2 v[56:57], v[42:43] sc0 sc1
	v_and_b32_e32 v7, 64, v28
	v_cmp_eq_u32_e32 vcc, 0, v7
	s_andn2_b64 s[58:59], s[58:59], exec
	s_and_saveexec_b64 s[60:61], vcc
	s_cbranch_execz .LBB15_1147
; %bb.1149:                             ;   in Loop: Header=BB15_1148 Depth=3
	v_add_u32_e32 v7, 1, v2
	v_cmp_lt_i32_e32 vcc, s83, v2
	s_mov_b64 s[64:65], -1
	s_and_saveexec_b64 s[62:63], vcc
	s_cbranch_execz .LBB15_1146
; %bb.1150:                             ;   in Loop: Header=BB15_1148 Depth=3
	s_trap 2
	ds_read_b64 v[8:9], v0
	s_waitcnt vmcnt(0) lgkmcnt(0)
	flat_load_dword v2, v[8:9] sc0 sc1
	s_waitcnt vmcnt(0) lgkmcnt(0)
	buffer_inv sc0 sc1
	v_cmp_ne_u32_e32 vcc, 0, v2
	s_and_saveexec_b64 s[66:67], vcc
	s_cbranch_execz .LBB15_1145
; %bb.1151:                             ;   in Loop: Header=BB15_1148 Depth=3
	v_or_b32_e32 v28, 64, v28
	s_xor_b64 s[64:65], exec, -1
	ds_write_b32 v0, v2
	s_trap 2
	s_branch .LBB15_1145
.LBB15_1152:                            ;   in Loop: Header=BB15_1142 Depth=2
	s_or_b64 exec, exec, s[56:57]
	v_and_b32_e32 v2, 4, v28
.LBB15_1153:                            ;   in Loop: Header=BB15_1142 Depth=2
	s_or_b64 exec, exec, s[54:55]
	v_cmp_eq_u32_e32 vcc, 0, v2
	s_orn2_b64 s[54:55], vcc, exec
	;;#ASMSTART
	s_wakeup
	;;#ASMEND
.LBB15_1154:                            ;   in Loop: Header=BB15_1142 Depth=2
	s_or_b64 exec, exec, s[28:29]
	s_xor_b64 s[22:23], s[22:23], -1
	s_and_b64 s[22:23], exec, s[22:23]
	s_or_b64 s[26:27], s[22:23], s[26:27]
	s_xor_b64 s[22:23], s[54:55], -1
	s_and_saveexec_b64 s[28:29], s[22:23]
	s_cbranch_execz .LBB15_1164
; %bb.1155:                             ;   in Loop: Header=BB15_1142 Depth=2
	v_and_b32_e32 v2, 0x100, v28
	v_cmp_ne_u32_e32 vcc, 0, v2
	v_and_b32_e32 v2, 7, v44
	s_mov_b64 s[22:23], -1
                                        ; implicit-def: $vgpr4_vgpr5
	s_and_saveexec_b64 s[54:55], vcc
	s_cbranch_execz .LBB15_1159
; %bb.1156:                             ;   in Loop: Header=BB15_1142 Depth=2
	v_mad_u64_u32 v[8:9], s[22:23], v2, 24, v[52:53]
	flat_load_dword v4, v[8:9]
	s_waitcnt vmcnt(0) lgkmcnt(0)
	v_cmp_ne_u32_e32 vcc, 1, v4
	v_cmp_eq_u32_e64 s[22:23], 1, v4
                                        ; implicit-def: $vgpr4_vgpr5
	s_and_saveexec_b64 s[56:57], s[22:23]
	s_cbranch_execz .LBB15_1158
; %bb.1157:                             ;   in Loop: Header=BB15_1142 Depth=2
	flat_load_dword v4, v[8:9] offset:4 sc0 sc1
	s_waitcnt vmcnt(0) lgkmcnt(0)
	v_ashrrev_i32_e32 v5, 31, v4
	v_lshrrev_b64 v[4:5], 1, v[4:5]
.LBB15_1158:                            ;   in Loop: Header=BB15_1142 Depth=2
	s_or_b64 exec, exec, s[56:57]
	s_orn2_b64 s[22:23], vcc, exec
.LBB15_1159:                            ;   in Loop: Header=BB15_1142 Depth=2
	s_or_b64 exec, exec, s[54:55]
	s_and_saveexec_b64 vcc, s[22:23]
; %bb.1160:                             ;   in Loop: Header=BB15_1142 Depth=2
	v_mad_i64_i32 v[4:5], s[22:23], v2, v40, 0
; %bb.1161:                             ;   in Loop: Header=BB15_1142 Depth=2
	s_or_b64 exec, exec, vcc
	v_and_b32_e32 v2, 0x2000, v28
	v_lshl_add_u64 v[4:5], v[4:5], 1, v[48:49]
	v_cmp_ne_u32_e32 vcc, 0, v2
	ds_write_b64 v0, v[4:5] offset:720
	s_and_saveexec_b64 s[22:23], vcc
	s_cbranch_execz .LBB15_1163
; %bb.1162:                             ;   in Loop: Header=BB15_1142 Depth=2
	ds_read_b64 v[4:5], v0 offset:584
	s_waitcnt lgkmcnt(0)
	v_lshl_add_u64 v[4:5], v[4:5], 0, 1
	ds_write_b64 v0, v[4:5] offset:584
.LBB15_1163:                            ;   in Loop: Header=BB15_1142 Depth=2
	s_or_b64 exec, exec, s[22:23]
	v_lshl_add_u64 v[44:45], v[44:45], 0, 2
.LBB15_1164:                            ;   in Loop: Header=BB15_1142 Depth=2
	s_or_b64 exec, exec, s[28:29]
	s_and_saveexec_b64 s[22:23], s[4:5]
	s_cbranch_execz .LBB15_1183
; %bb.1165:                             ;   in Loop: Header=BB15_1142 Depth=2
	s_and_saveexec_b64 s[28:29], s[38:39]
	s_xor_b64 s[28:29], exec, s[28:29]
	s_cbranch_execz .LBB15_1180
; %bb.1166:                             ;   in Loop: Header=BB15_1142 Depth=2
	s_and_saveexec_b64 s[54:55], s[12:13]
	s_cbranch_execz .LBB15_1179
; %bb.1167:                             ;   in Loop: Header=BB15_1142 Depth=2
	s_mov_b64 s[58:59], exec
	v_mbcnt_lo_u32_b32 v2, s58, 0
	v_mbcnt_hi_u32_b32 v2, s59, v2
	v_cmp_eq_u32_e32 vcc, 0, v2
	s_waitcnt lgkmcnt(0)
	s_and_saveexec_b64 s[56:57], vcc
	s_cbranch_execz .LBB15_1169
; %bb.1168:                             ;   in Loop: Header=BB15_1142 Depth=2
	s_bcnt1_i32_b64 vcc_lo, s[58:59]
	v_mov_b32_e32 v2, vcc_lo
	ds_add_u64 v0, v[2:3]
	s_trap 2
.LBB15_1169:                            ;   in Loop: Header=BB15_1142 Depth=2
	s_or_b64 exec, exec, s[56:57]
	s_trap 2
	ds_read_b64 v[4:5], v0
	v_lshl_add_u64 v[54:55], v[54:55], 0, v[36:37]
	s_waitcnt lgkmcnt(0)
	v_cmp_lt_u64_e32 vcc, v[4:5], v[54:55]
	s_and_saveexec_b64 s[56:57], vcc
	s_cbranch_execz .LBB15_1178
; %bb.1170:                             ;   in Loop: Header=BB15_1142 Depth=2
	s_mov_b32 s68, 0
	s_mov_b64 s[58:59], 0
                                        ; implicit-def: $sgpr60_sgpr61
                                        ; implicit-def: $sgpr62_sgpr63
	s_branch .LBB15_1172
.LBB15_1171:                            ;   in Loop: Header=BB15_1172 Depth=3
	s_or_b64 exec, exec, s[66:67]
	s_and_b64 vcc, exec, vcc
	s_or_b64 s[58:59], vcc, s[58:59]
	s_andn2_b64 vcc, s[60:61], exec
	s_and_b64 s[60:61], s[62:63], exec
	s_or_b64 s[60:61], vcc, s[60:61]
	s_andn2_b64 exec, exec, s[58:59]
	s_cbranch_execz .LBB15_1176
.LBB15_1172:                            ;   Parent Loop BB15_47 Depth=1
                                        ;     Parent Loop BB15_1142 Depth=2
                                        ; =>    This Inner Loop Header: Depth=3
	s_add_i32 s68, s68, 1
	s_cmpk_lg_i32 s68, 0x2710
	s_cselect_b64 s[64:65], -1, 0
	s_and_b64 vcc, exec, s[64:65]
                                        ; implicit-def: $sgpr66_sgpr67
	s_cbranch_vccnz .LBB15_1174
; %bb.1173:                             ;   in Loop: Header=BB15_1172 Depth=3
	s_trap 2
	ds_read_b64 v[4:5], v0
	s_andn2_b64 s[64:65], s[64:65], exec
	s_mov_b32 s68, 0
	s_mov_b64 s[66:67], -1
	s_waitcnt vmcnt(0) lgkmcnt(0)
	flat_load_dword v2, v[4:5] sc0 sc1
	s_waitcnt vmcnt(0) lgkmcnt(0)
	buffer_inv sc0 sc1
	v_cmp_eq_u32_e32 vcc, 0, v2
	s_and_b64 vcc, vcc, exec
	s_or_b64 s[64:65], s[64:65], vcc
.LBB15_1174:                            ;   in Loop: Header=BB15_1172 Depth=3
	s_andn2_b64 s[62:63], s[62:63], exec
	s_and_b64 s[66:67], s[66:67], exec
	s_mov_b64 vcc, -1
	s_or_b64 s[62:63], s[62:63], s[66:67]
	s_and_saveexec_b64 s[66:67], s[64:65]
	s_cbranch_execz .LBB15_1171
; %bb.1175:                             ;   in Loop: Header=BB15_1172 Depth=3
	s_sleep 1
	s_trap 2
	ds_read_b64 v[4:5], v0
	s_andn2_b64 s[62:63], s[62:63], exec
	s_waitcnt lgkmcnt(0)
	v_cmp_ge_u64_e32 vcc, v[4:5], v[54:55]
	s_orn2_b64 vcc, vcc, exec
	s_branch .LBB15_1171
.LBB15_1176:                            ;   in Loop: Header=BB15_1142 Depth=2
	s_or_b64 exec, exec, s[58:59]
	s_and_saveexec_b64 vcc, s[60:61]
	s_xor_b64 vcc, exec, vcc
	s_cbranch_execz .LBB15_1178
; %bb.1177:                             ;   in Loop: Header=BB15_1142 Depth=2
	ds_write_b32 v0, v59
	s_trap 2
.LBB15_1178:                            ;   in Loop: Header=BB15_1142 Depth=2
	s_or_b64 exec, exec, s[56:57]
	;;#ASMSTART
	s_wakeup
	;;#ASMEND
.LBB15_1179:                            ;   in Loop: Header=BB15_1142 Depth=2
	s_or_b64 exec, exec, s[54:55]
.LBB15_1180:                            ;   in Loop: Header=BB15_1142 Depth=2
	s_andn2_saveexec_b64 s[28:29], s[28:29]
	s_cbranch_execz .LBB15_1182
; %bb.1181:                             ;   in Loop: Header=BB15_1142 Depth=2
	s_waitcnt lgkmcnt(0)
	s_barrier
.LBB15_1182:                            ;   in Loop: Header=BB15_1142 Depth=2
	s_or_b64 exec, exec, s[28:29]
.LBB15_1183:                            ;   in Loop: Header=BB15_1142 Depth=2
	s_or_b64 exec, exec, s[22:23]
	v_sub_u32_e32 v2, v14, v6
	v_min_i32_e32 v15, v15, v2
	s_and_saveexec_b64 s[22:23], s[20:21]
	s_xor_b64 s[22:23], exec, s[22:23]
	s_cbranch_execz .LBB15_1187
; %bb.1184:                             ;   in Loop: Header=BB15_1142 Depth=2
	s_trap 2
	ds_read_b32 v2, v0
	v_cmp_lt_i32_e32 vcc, 0, v15
	v_and_b32_e32 v4, 16, v28
	s_waitcnt lgkmcnt(0)
	v_readfirstlane_b32 s28, v2
	s_cmp_eq_u32 s28, 0
	s_cselect_b64 s[28:29], -1, 0
	s_and_b64 s[28:29], vcc, s[28:29]
	v_cmp_ne_u32_e32 vcc, 0, v4
	s_and_b64 vcc, vcc, s[28:29]
	s_and_saveexec_b64 s[28:29], vcc
	s_cbranch_execz .LBB15_1186
; %bb.1185:                             ;   in Loop: Header=BB15_1142 Depth=2
	buffer_wbl2 sc1
	s_waitcnt vmcnt(0)
	buffer_inv sc1
.LBB15_1186:                            ;   in Loop: Header=BB15_1142 Depth=2
	s_or_b64 exec, exec, s[28:29]
.LBB15_1187:                            ;   in Loop: Header=BB15_1142 Depth=2
	s_andn2_saveexec_b64 s[22:23], s[22:23]
	s_cbranch_execz .LBB15_1206
; %bb.1188:                             ;   in Loop: Header=BB15_1142 Depth=2
	s_and_saveexec_b64 s[28:29], s[38:39]
	s_xor_b64 s[28:29], exec, s[28:29]
	s_cbranch_execz .LBB15_1203
; %bb.1189:                             ;   in Loop: Header=BB15_1142 Depth=2
	s_and_saveexec_b64 s[54:55], s[12:13]
	s_cbranch_execz .LBB15_1202
; %bb.1190:                             ;   in Loop: Header=BB15_1142 Depth=2
	s_mov_b64 s[58:59], exec
	v_mbcnt_lo_u32_b32 v2, s58, 0
	v_mbcnt_hi_u32_b32 v2, s59, v2
	v_cmp_eq_u32_e32 vcc, 0, v2
	;;#ASMSTART
	s_waitcnt lgkmcnt(0) vmcnt(0)
	;;#ASMEND
	s_and_saveexec_b64 s[56:57], vcc
	s_cbranch_execz .LBB15_1192
; %bb.1191:                             ;   in Loop: Header=BB15_1142 Depth=2
	s_bcnt1_i32_b64 vcc_lo, s[58:59]
	v_mov_b32_e32 v2, vcc_lo
	ds_add_u64 v0, v[2:3]
	s_trap 2
.LBB15_1192:                            ;   in Loop: Header=BB15_1142 Depth=2
	s_or_b64 exec, exec, s[56:57]
	s_trap 2
	ds_read_b64 v[4:5], v0
	v_lshl_add_u64 v[54:55], v[54:55], 0, v[36:37]
	s_waitcnt lgkmcnt(0)
	v_cmp_lt_u64_e32 vcc, v[4:5], v[54:55]
	s_and_saveexec_b64 s[56:57], vcc
	s_cbranch_execz .LBB15_1201
; %bb.1193:                             ;   in Loop: Header=BB15_1142 Depth=2
	s_mov_b32 s68, 0
	s_mov_b64 s[58:59], 0
                                        ; implicit-def: $sgpr60_sgpr61
                                        ; implicit-def: $sgpr62_sgpr63
	s_branch .LBB15_1195
.LBB15_1194:                            ;   in Loop: Header=BB15_1195 Depth=3
	s_or_b64 exec, exec, s[66:67]
	s_and_b64 vcc, exec, vcc
	s_or_b64 s[58:59], vcc, s[58:59]
	s_andn2_b64 vcc, s[60:61], exec
	s_and_b64 s[60:61], s[62:63], exec
	s_or_b64 s[60:61], vcc, s[60:61]
	s_andn2_b64 exec, exec, s[58:59]
	s_cbranch_execz .LBB15_1199
.LBB15_1195:                            ;   Parent Loop BB15_47 Depth=1
                                        ;     Parent Loop BB15_1142 Depth=2
                                        ; =>    This Inner Loop Header: Depth=3
	s_add_i32 s68, s68, 1
	s_cmpk_lg_i32 s68, 0x2710
	s_cselect_b64 s[64:65], -1, 0
	s_and_b64 vcc, exec, s[64:65]
                                        ; implicit-def: $sgpr66_sgpr67
	s_cbranch_vccnz .LBB15_1197
; %bb.1196:                             ;   in Loop: Header=BB15_1195 Depth=3
	s_trap 2
	ds_read_b64 v[4:5], v0
	s_andn2_b64 s[64:65], s[64:65], exec
	s_mov_b32 s68, 0
	s_mov_b64 s[66:67], -1
	s_waitcnt vmcnt(0) lgkmcnt(0)
	flat_load_dword v2, v[4:5] sc0 sc1
	s_waitcnt vmcnt(0) lgkmcnt(0)
	buffer_inv sc0 sc1
	v_cmp_eq_u32_e32 vcc, 0, v2
	s_and_b64 vcc, vcc, exec
	s_or_b64 s[64:65], s[64:65], vcc
.LBB15_1197:                            ;   in Loop: Header=BB15_1195 Depth=3
	s_andn2_b64 s[62:63], s[62:63], exec
	s_and_b64 s[66:67], s[66:67], exec
	s_mov_b64 vcc, -1
	s_or_b64 s[62:63], s[62:63], s[66:67]
	s_and_saveexec_b64 s[66:67], s[64:65]
	s_cbranch_execz .LBB15_1194
; %bb.1198:                             ;   in Loop: Header=BB15_1195 Depth=3
	s_sleep 1
	s_trap 2
	ds_read_b64 v[4:5], v0
	s_andn2_b64 s[62:63], s[62:63], exec
	s_waitcnt lgkmcnt(0)
	v_cmp_ge_u64_e32 vcc, v[4:5], v[54:55]
	s_orn2_b64 vcc, vcc, exec
	s_branch .LBB15_1194
.LBB15_1199:                            ;   in Loop: Header=BB15_1142 Depth=2
	s_or_b64 exec, exec, s[58:59]
	s_and_saveexec_b64 vcc, s[60:61]
	s_xor_b64 vcc, exec, vcc
	s_cbranch_execz .LBB15_1201
; %bb.1200:                             ;   in Loop: Header=BB15_1142 Depth=2
	ds_write_b32 v0, v59
	s_trap 2
.LBB15_1201:                            ;   in Loop: Header=BB15_1142 Depth=2
	s_or_b64 exec, exec, s[56:57]
	;;#ASMSTART
	s_wakeup
	;;#ASMEND
.LBB15_1202:                            ;   in Loop: Header=BB15_1142 Depth=2
	s_or_b64 exec, exec, s[54:55]
.LBB15_1203:                            ;   in Loop: Header=BB15_1142 Depth=2
	s_andn2_saveexec_b64 s[28:29], s[28:29]
	s_cbranch_execz .LBB15_1205
; %bb.1204:                             ;   in Loop: Header=BB15_1142 Depth=2
	;;#ASMSTART
	s_waitcnt lgkmcnt(0) vmcnt(0)
	;;#ASMEND
	s_barrier
.LBB15_1205:                            ;   in Loop: Header=BB15_1142 Depth=2
	s_or_b64 exec, exec, s[28:29]
.LBB15_1206:                            ;   in Loop: Header=BB15_1142 Depth=2
	s_or_b64 exec, exec, s[22:23]
	v_and_b32_e32 v2, 32, v28
	v_cmp_ne_u32_e32 vcc, 0, v2
	s_and_saveexec_b64 s[22:23], vcc
	s_cbranch_execz .LBB15_1141
; %bb.1207:                             ;   in Loop: Header=BB15_1142 Depth=2
	v_lshl_add_u64 v[44:45], v[44:45], 0, 2
	flat_store_dwordx2 v[42:43], v[44:45] sc0 sc1
	s_branch .LBB15_1141
.LBB15_1208:
	s_or_b64 exec, exec, s[36:37]
	s_waitcnt vmcnt(0)
	v_accvgpr_read_b32 v21, a11
	v_accvgpr_read_b32 v15, a0
	;; [unrolled: 1-line block ×5, first 2 shown]
.LBB15_1209:
	s_or_b64 exec, exec, s[34:35]
	v_and_b32_e32 v0, 0x800, v28
	v_cmp_eq_u32_e32 vcc, 0, v0
	s_and_saveexec_b64 s[0:1], vcc
	s_cbranch_execz .LBB15_1244
; %bb.1210:
	v_and_b32_e32 v0, 48, v28
	v_cmp_ne_u32_e32 vcc, 0, v0
	s_and_saveexec_b64 s[2:3], vcc
	s_cbranch_execz .LBB15_1212
; %bb.1211:
	flat_store_dwordx2 v[20:21], v[44:45] offset:104
.LBB15_1212:
	s_or_b64 exec, exec, s[2:3]
	s_movk_i32 s2, 0x88
	v_and_b32_e32 v0, 0x88, v28
	v_cmp_eq_u32_e32 vcc, s2, v0
	s_and_saveexec_b64 s[2:3], vcc
	s_cbranch_execz .LBB15_1224
; %bb.1213:
	v_add_u32_e32 v0, 6, v44
	v_and_b32_e32 v0, 7, v0
	v_mad_u64_u32 v[0:1], s[4:5], v0, 24, v[52:53]
	v_lshl_add_u64 v[0:1], v[0:1], 0, 8
	s_mov_b64 s[4:5], 0
	v_mov_b32_e32 v2, 0
	s_movk_i32 s20, 0x270e
                                        ; implicit-def: $sgpr6_sgpr7
	s_branch .LBB15_1218
.LBB15_1214:                            ;   in Loop: Header=BB15_1218 Depth=1
	s_or_b64 exec, exec, s[18:19]
	v_mov_b32_e32 v3, 0
	s_orn2_b64 s[16:17], s[16:17], exec
.LBB15_1215:                            ;   in Loop: Header=BB15_1218 Depth=1
	s_or_b64 exec, exec, s[14:15]
	s_and_b64 s[14:15], s[16:17], exec
	v_mov_b32_e32 v2, v3
.LBB15_1216:                            ;   in Loop: Header=BB15_1218 Depth=1
	s_or_b64 exec, exec, s[12:13]
	s_xor_b64 s[12:13], s[14:15], -1
	s_andn2_b64 s[6:7], s[6:7], exec
	s_and_b64 s[12:13], s[12:13], exec
	s_or_b64 s[6:7], s[6:7], s[12:13]
.LBB15_1217:                            ;   in Loop: Header=BB15_1218 Depth=1
	s_or_b64 exec, exec, s[10:11]
	s_and_b64 s[10:11], exec, s[6:7]
	s_or_b64 s[4:5], s[10:11], s[4:5]
	s_andn2_b64 exec, exec, s[4:5]
	s_cbranch_execz .LBB15_1223
.LBB15_1218:                            ; =>This Inner Loop Header: Depth=1
	flat_load_dwordx2 v[4:5], v[0:1] sc0 sc1
	s_waitcnt vmcnt(0)
	s_or_b64 s[6:7], s[6:7], exec
	s_waitcnt lgkmcnt(0)
	v_cmp_ne_u64_e32 vcc, -1, v[4:5]
	s_and_saveexec_b64 s[10:11], vcc
	s_cbranch_execz .LBB15_1217
; %bb.1219:                             ;   in Loop: Header=BB15_1218 Depth=1
	v_and_b32_e32 v3, 64, v28
	v_cmp_eq_u32_e32 vcc, 0, v3
	s_mov_b64 s[14:15], 0
	s_and_saveexec_b64 s[12:13], vcc
	s_cbranch_execz .LBB15_1216
; %bb.1220:                             ;   in Loop: Header=BB15_1218 Depth=1
	v_add_u32_e32 v3, 1, v2
	v_cmp_lt_i32_e32 vcc, s20, v2
	s_mov_b64 s[16:17], -1
	s_and_saveexec_b64 s[14:15], vcc
	s_cbranch_execz .LBB15_1215
; %bb.1221:                             ;   in Loop: Header=BB15_1218 Depth=1
	s_trap 2
	ds_read_b64 v[2:3], v0
	s_waitcnt lgkmcnt(0)
	flat_load_dword v2, v[2:3] sc0 sc1
	s_waitcnt vmcnt(0) lgkmcnt(0)
	buffer_inv sc0 sc1
	v_cmp_ne_u32_e32 vcc, 0, v2
	s_and_saveexec_b64 s[18:19], vcc
	s_cbranch_execz .LBB15_1214
; %bb.1222:                             ;   in Loop: Header=BB15_1218 Depth=1
	v_or_b32_e32 v28, 64, v28
	s_xor_b64 s[16:17], exec, -1
	ds_write_b32 v0, v2
	s_trap 2
	s_branch .LBB15_1214
.LBB15_1223:
	s_or_b64 exec, exec, s[4:5]
.LBB15_1224:
	s_or_b64 exec, exec, s[2:3]
	v_and_b32_e32 v0, 0x2000, v28
	v_cmp_ne_u32_e32 vcc, 0, v0
	s_and_saveexec_b64 s[2:3], vcc
	s_cbranch_execz .LBB15_1226
; %bb.1225:
	s_trap 2
	ds_read_b64 v[0:1], v0
	v_accvgpr_read_b32 v2, a8
	v_accvgpr_read_b32 v3, a9
	s_waitcnt lgkmcnt(0)
	flat_store_dwordx2 v[2:3], v[0:1] offset:16
.LBB15_1226:
	s_or_b64 exec, exec, s[2:3]
	v_cmp_ne_u32_e32 vcc, 64, v15
	s_and_b64 exec, exec, vcc
	s_cbranch_execz .LBB15_1244
; %bb.1227:
	v_cmp_ne_u32_sdwa s[2:3], v17, v15 src0_sel:WORD_0 src1_sel:DWORD
	s_and_saveexec_b64 s[4:5], s[2:3]
	s_xor_b64 s[2:3], exec, s[4:5]
	s_cbranch_execz .LBB15_1242
; %bb.1228:
	v_and_b32_e32 v0, 63, v31
	v_cmp_eq_u32_e32 vcc, 0, v0
	s_and_saveexec_b64 s[4:5], vcc
	s_cbranch_execz .LBB15_1241
; %bb.1229:
	s_mov_b64 s[10:11], exec
	v_mbcnt_lo_u32_b32 v0, s10, 0
	v_mbcnt_hi_u32_b32 v0, s11, v0
	v_cmp_eq_u32_e32 vcc, 0, v0
	s_waitcnt lgkmcnt(0)
	s_and_saveexec_b64 s[6:7], vcc
	s_cbranch_execz .LBB15_1231
; %bb.1230:
	s_bcnt1_i32_b64 s10, s[10:11]
	v_mov_b32_e32 v0, s10
	v_mov_b32_e32 v1, 0
	ds_add_u64 v0, v[0:1]
	s_trap 2
.LBB15_1231:
	s_or_b64 exec, exec, s[6:7]
	v_ashrrev_i32_e32 v0, 31, v15
	v_lshrrev_b32_e32 v0, 26, v0
	s_trap 2
	ds_read_b64 v[2:3], v0
	v_add_u32_e32 v0, v15, v0
	v_ashrrev_i32_e32 v0, 6, v0
	v_ashrrev_i32_e32 v1, 31, v0
	v_lshl_add_u64 v[0:1], v[54:55], 0, v[0:1]
	s_waitcnt lgkmcnt(0)
	v_cmp_lt_u64_e32 vcc, v[2:3], v[0:1]
	s_and_saveexec_b64 s[6:7], vcc
	s_cbranch_execz .LBB15_1240
; %bb.1232:
	s_mov_b32 s22, 0
	s_mov_b64 s[10:11], 0
                                        ; implicit-def: $sgpr12_sgpr13
                                        ; implicit-def: $sgpr14_sgpr15
	s_branch .LBB15_1234
.LBB15_1233:                            ;   in Loop: Header=BB15_1234 Depth=1
	s_or_b64 exec, exec, s[20:21]
	s_and_b64 s[16:17], exec, s[18:19]
	s_or_b64 s[10:11], s[16:17], s[10:11]
	s_andn2_b64 s[12:13], s[12:13], exec
	s_and_b64 s[16:17], s[14:15], exec
	s_or_b64 s[12:13], s[12:13], s[16:17]
	s_andn2_b64 exec, exec, s[10:11]
	s_cbranch_execz .LBB15_1238
.LBB15_1234:                            ; =>This Inner Loop Header: Depth=1
	s_add_i32 s22, s22, 1
	s_cmpk_lg_i32 s22, 0x2710
	s_cselect_b64 s[16:17], -1, 0
	s_and_b64 vcc, exec, s[16:17]
                                        ; implicit-def: $sgpr20_sgpr21
	s_cbranch_vccnz .LBB15_1236
; %bb.1235:                             ;   in Loop: Header=BB15_1234 Depth=1
	s_trap 2
	ds_read_b64 v[2:3], v0
	s_andn2_b64 s[16:17], s[16:17], exec
	s_mov_b32 s22, 0
	s_mov_b64 s[20:21], -1
	s_waitcnt vmcnt(0) lgkmcnt(0)
	flat_load_dword v2, v[2:3] sc0 sc1
	s_waitcnt vmcnt(0) lgkmcnt(0)
	buffer_inv sc0 sc1
	v_cmp_eq_u32_e32 vcc, 0, v2
	s_and_b64 s[18:19], vcc, exec
	s_or_b64 s[16:17], s[16:17], s[18:19]
.LBB15_1236:                            ;   in Loop: Header=BB15_1234 Depth=1
	s_andn2_b64 s[14:15], s[14:15], exec
	s_and_b64 s[20:21], s[20:21], exec
	s_mov_b64 s[18:19], -1
	s_or_b64 s[14:15], s[14:15], s[20:21]
	s_and_saveexec_b64 s[20:21], s[16:17]
	s_cbranch_execz .LBB15_1233
; %bb.1237:                             ;   in Loop: Header=BB15_1234 Depth=1
	s_sleep 1
	s_trap 2
	ds_read_b64 v[2:3], v0
	s_andn2_b64 s[14:15], s[14:15], exec
	s_waitcnt lgkmcnt(0)
	v_cmp_ge_u64_e32 vcc, v[2:3], v[0:1]
	s_orn2_b64 s[18:19], vcc, exec
	s_branch .LBB15_1233
.LBB15_1238:
	s_or_b64 exec, exec, s[10:11]
	s_and_saveexec_b64 s[10:11], s[12:13]
	s_xor_b64 s[10:11], exec, s[10:11]
	s_cbranch_execz .LBB15_1240
; %bb.1239:
	v_mov_b32_e32 v0, 1
	ds_write_b32 v0, v0
	s_trap 2
.LBB15_1240:
	s_or_b64 exec, exec, s[6:7]
	;;#ASMSTART
	s_wakeup
	;;#ASMEND
.LBB15_1241:
	s_or_b64 exec, exec, s[4:5]
.LBB15_1242:
	s_andn2_saveexec_b64 s[2:3], s[2:3]
	s_cbranch_execz .LBB15_1244
; %bb.1243:
	s_waitcnt lgkmcnt(0)
	s_barrier
.LBB15_1244:
	s_or_b64 exec, exec, s[0:1]
.LBB15_1245:
	s_andn2_saveexec_b64 s[22:23], s[30:31]
	s_cbranch_execz .LBB15_1247
; %bb.1246:
	s_getpc_b64 s[0:1]
	s_add_u32 s0, s0, __PRETTY_FUNCTION__._ZN10PrimitivesI6__half8FuncProdIS0_E12FanSymmetricILi1EELi0E11ProtoSimpleILi2ELi2ELi0ELi4ELi0ELi0EELi0ELb0ELi0ELi0ELi0EEC2EiiPKiS9_PKvPvmhhhP15ncclDevWorkCollP14ncclDevWorkP2pii@rel32@lo+4
	s_addc_u32 s1, s1, __PRETTY_FUNCTION__._ZN10PrimitivesI6__half8FuncProdIS0_E12FanSymmetricILi1EELi0E11ProtoSimpleILi2ELi2ELi0ELi4ELi0ELi0EELi0ELb0ELi0ELi0ELi0EEC2EiiPKiS9_PKvPvmhhhP15ncclDevWorkCollP14ncclDevWorkP2pii@rel32@hi+12
	v_mov_b32_e32 v0, s0
	v_mov_b32_e32 v1, s1
	s_getpc_b64 s[2:3]
	s_add_u32 s2, s2, __assert_fail@rel32@lo+4
	s_addc_u32 s3, s3, __assert_fail@rel32@hi+12
	s_swappc_b64 s[30:31], s[2:3]
	; divergent unreachable
.LBB15_1247:
	s_or_b64 exec, exec, s[22:23]
	scratch_load_dword a60, off, s33        ; 4-byte Folded Reload
	scratch_load_dword a59, off, s33 offset:4 ; 4-byte Folded Reload
	scratch_load_dword a58, off, s33 offset:8 ; 4-byte Folded Reload
	;; [unrolled: 1-line block ×38, first 2 shown]
	s_waitcnt lgkmcnt(0)
	scratch_load_dword v43, off, s33 offset:156 ; 4-byte Folded Reload
	scratch_load_dword v42, off, s33 offset:160 ; 4-byte Folded Reload
	;; [unrolled: 1-line block ×4, first 2 shown]
	v_readlane_b32 s30, v62, 0
	v_readlane_b32 s31, v62, 1
	;; [unrolled: 1-line block ×67, first 2 shown]
	s_or_saveexec_b64 s[2:3], -1
	scratch_load_dword v63, off, s33 offset:180 ; 4-byte Folded Reload
	scratch_load_dword v62, off, s33 offset:184 ; 4-byte Folded Reload
	s_mov_b64 exec, s[2:3]
	s_addk_i32 s32, 0xff40
	s_mov_b32 s33, s0
	s_waitcnt vmcnt(0)
	s_setpc_b64 s[30:31]
.Lfunc_end15:
	.size	_ZN12_GLOBAL__N_17runRingI6__half8FuncProdIS1_E11ProtoSimpleILi2ELi2ELi0ELi4ELi0ELi0EELi0ELi0ELi4ELi0EEEviiP15ncclDevWorkColl, .Lfunc_end15-_ZN12_GLOBAL__N_17runRingI6__half8FuncProdIS1_E11ProtoSimpleILi2ELi2ELi0ELi4ELi0ELi0EELi0ELi0ELi4ELi0EEEviiP15ncclDevWorkColl
                                        ; -- End function
	.section	.AMDGPU.csdata,"",@progbits
; Function info:
; codeLenInByte = 45336
; NumSgprs: 104
; NumVgprs: 64
; NumAgprs: 61
; TotalNumVgprs: 125
; ScratchSize: 256
; MemoryBound: 1
	.text
	.p2align	2                               ; -- Begin function _Z48ncclDevFunc_AllReduce_RING_SIMPLE_Prod_f16_0_0_4v
	.type	_Z48ncclDevFunc_AllReduce_RING_SIMPLE_Prod_f16_0_0_4v,@function
_Z48ncclDevFunc_AllReduce_RING_SIMPLE_Prod_f16_0_0_4v: ; @_Z48ncclDevFunc_AllReduce_RING_SIMPLE_Prod_f16_0_0_4v
; %bb.0:
	s_waitcnt vmcnt(0) expcnt(0) lgkmcnt(0)
	s_mov_b32 s0, s33
	s_mov_b32 s33, s32
	s_or_saveexec_b64 s[2:3], -1
	scratch_store_dword off, a32, s33 offset:20 ; 4-byte Folded Spill
	scratch_store_dword off, v63, s33 offset:24 ; 4-byte Folded Spill
	;; [unrolled: 1-line block ×5, first 2 shown]
	s_mov_b64 exec, s[2:3]
	v_writelane_b32 v46, s0, 6
	v_writelane_b32 v46, s100, 4
	;; [unrolled: 1-line block ×3, first 2 shown]
	s_add_i32 s32, s32, 48
	scratch_store_dword off, v40, s33 offset:16 ; 4-byte Folded Spill
	scratch_store_dword off, v41, s33 offset:12 ; 4-byte Folded Spill
	;; [unrolled: 1-line block ×4, first 2 shown]
	scratch_store_dword off, v62, s33       ; 4-byte Folded Spill
	v_writelane_b32 v45, s34, 0
	v_writelane_b32 v45, s35, 1
	;; [unrolled: 1-line block ×67, first 2 shown]
	s_nop 1
	v_writelane_b32 v46, s31, 3
	s_trap 2
	ds_read_b32 v0, v0
                                        ; implicit-def: $vgpr44 : SGPR spill to VGPR lane
	v_mov_b32_e32 v40, v31
	s_mov_b32 s99, s12
	v_writelane_b32 v44, s8, 0
	s_waitcnt lgkmcnt(0)
	v_cmp_gt_i32_e32 vcc, 1, v0
	v_writelane_b32 v44, s9, 1
	s_cbranch_vccnz .LBB16_11
; %bb.1:
	s_mov_b32 s98, 0
	v_and_b32_e32 v41, 0x3ff, v40
	v_mov_b32_e32 v43, 6
	s_branch .LBB16_3
.LBB16_2:                               ;   in Loop: Header=BB16_3 Depth=1
	s_or_b64 exec, exec, s[2:3]
	s_trap 2
	ds_read_b32 v0, v0
	s_add_i32 s98, s98, 1
	s_waitcnt lgkmcnt(0)
	v_cmp_lt_i32_e32 vcc, s98, v0
	s_cbranch_vccz .LBB16_11
.LBB16_3:                               ; =>This Inner Loop Header: Depth=1
	s_trap 2
	ds_read_b32 v0, v0
	s_cmp_eq_u32 s98, 0
	s_cbranch_scc1 .LBB16_6
; %bb.4:                                ;   in Loop: Header=BB16_3 Depth=1
	s_trap 2
	s_waitcnt lgkmcnt(0)
	ds_read_b32 v1, v0
	s_waitcnt lgkmcnt(0)
	v_xor_b32_e32 v1, v1, v0
	v_and_b32_e32 v1, 0xff0000, v1
	v_cmp_eq_u32_e32 vcc, 0, v1
	s_cbranch_vccnz .LBB16_6
; %bb.5:                                ;   in Loop: Header=BB16_3 Depth=1
	s_barrier
	ds_read_b32 v0, v0
.LBB16_6:                               ;   in Loop: Header=BB16_3 Depth=1
	s_waitcnt lgkmcnt(0)
	v_lshlrev_b32_sdwa v42, v43, v0 dst_sel:DWORD dst_unused:UNUSED_PAD src0_sel:DWORD src1_sel:BYTE_2
	v_cmp_lt_u32_e32 vcc, v41, v42
	s_and_saveexec_b64 s[2:3], vcc
	s_cbranch_execz .LBB16_2
; %bb.7:                                ;   in Loop: Header=BB16_3 Depth=1
	v_cmp_lt_i32_e32 vcc, -1, v0
	s_mov_b64 s[0:1], -1
	v_writelane_b32 v44, s2, 2
	s_nop 1
	v_writelane_b32 v44, s3, 3
	s_cbranch_vccnz .LBB16_9
; %bb.8:                                ;   in Loop: Header=BB16_3 Depth=1
	v_readlane_b32 s8, v44, 0
	s_mov_b64 s[2:3], src_shared_base
	s_getpc_b64 s[0:1]
	s_add_u32 s0, s0, _ZN12_GLOBAL__N_17runRingI6__half8FuncProdIS1_E11ProtoSimpleILi1ELi4ELi0ELi4ELi0ELi0EELi0ELi0ELi4ELi0EEEviiP15ncclDevWorkColl@rel32@lo+4
	s_addc_u32 s1, s1, _ZN12_GLOBAL__N_17runRingI6__half8FuncProdIS1_E11ProtoSimpleILi1ELi4ELi0ELi4ELi0ELi0EELi0ELi0ELi4ELi0EEEviiP15ncclDevWorkColl@rel32@hi+12
	v_readlane_b32 s9, v44, 1
	s_mov_b32 s12, s99
	v_mov_b32_e32 v31, v40
	v_mov_b32_e32 v0, v41
	;; [unrolled: 1-line block ×4, first 2 shown]
	s_or_saveexec_b64 s[100:101], -1
	v_accvgpr_write_b32 a32, v44
	s_mov_b64 exec, s[100:101]
	s_swappc_b64 s[30:31], s[0:1]
	s_or_saveexec_b64 s[100:101], -1
	v_accvgpr_read_b32 v44, a32
	s_mov_b64 exec, s[100:101]
	v_readlane_b32 s2, v44, 2
	v_readlane_b32 s3, v44, 3
	s_mov_b64 s[0:1], 0
.LBB16_9:                               ;   in Loop: Header=BB16_3 Depth=1
	s_andn2_b64 vcc, exec, s[0:1]
	s_cbranch_vccnz .LBB16_2
; %bb.10:                               ;   in Loop: Header=BB16_3 Depth=1
	v_readlane_b32 s8, v44, 0
	s_mov_b64 s[2:3], src_shared_base
	s_getpc_b64 s[0:1]
	s_add_u32 s0, s0, _ZN12_GLOBAL__N_17runRingI6__half8FuncProdIS1_E11ProtoSimpleILi2ELi2ELi0ELi4ELi0ELi0EELi0ELi0ELi4ELi0EEEviiP15ncclDevWorkColl@rel32@lo+4
	s_addc_u32 s1, s1, _ZN12_GLOBAL__N_17runRingI6__half8FuncProdIS1_E11ProtoSimpleILi2ELi2ELi0ELi4ELi0ELi0EELi0ELi0ELi4ELi0EEEviiP15ncclDevWorkColl@rel32@hi+12
	v_readlane_b32 s9, v44, 1
	s_mov_b32 s12, s99
	v_mov_b32_e32 v31, v40
	v_mov_b32_e32 v0, v41
	;; [unrolled: 1-line block ×4, first 2 shown]
	s_or_saveexec_b64 s[100:101], -1
	v_accvgpr_write_b32 a32, v44
	s_mov_b64 exec, s[100:101]
	s_swappc_b64 s[30:31], s[0:1]
	s_or_saveexec_b64 s[100:101], -1
	v_accvgpr_read_b32 v44, a32
	s_mov_b64 exec, s[100:101]
	v_readlane_b32 s2, v44, 2
	v_readlane_b32 s3, v44, 3
	s_branch .LBB16_2
.LBB16_11:
	scratch_load_dword v62, off, s33        ; 4-byte Folded Reload
	scratch_load_dword v43, off, s33 offset:4 ; 4-byte Folded Reload
	scratch_load_dword v42, off, s33 offset:8 ; 4-byte Folded Reload
	;; [unrolled: 1-line block ×4, first 2 shown]
	v_readlane_b32 s30, v46, 2
	v_readlane_b32 s31, v46, 3
	;; [unrolled: 1-line block ×71, first 2 shown]
	s_or_saveexec_b64 s[2:3], -1
	scratch_load_dword a32, off, s33 offset:20 ; 4-byte Folded Reload
	scratch_load_dword v63, off, s33 offset:24 ; 4-byte Folded Reload
	scratch_load_dword v44, off, s33 offset:28 ; 4-byte Folded Reload
	scratch_load_dword v45, off, s33 offset:32 ; 4-byte Folded Reload
	scratch_load_dword v46, off, s33 offset:36 ; 4-byte Folded Reload
	s_mov_b64 exec, s[2:3]
	s_addk_i32 s32, 0xffd0
	s_mov_b32 s33, s0
	s_waitcnt vmcnt(0)
	s_setpc_b64 s[30:31]
.Lfunc_end16:
	.size	_Z48ncclDevFunc_AllReduce_RING_SIMPLE_Prod_f16_0_0_4v, .Lfunc_end16-_Z48ncclDevFunc_AllReduce_RING_SIMPLE_Prod_f16_0_0_4v
                                        ; -- End function
	.section	.AMDGPU.csdata,"",@progbits
; Function info:
; codeLenInByte = 1816
; NumSgprs: 108
; NumVgprs: 64
; NumAgprs: 61
; TotalNumVgprs: 125
; ScratchSize: 304
; MemoryBound: 0
	.text
	.p2align	2                               ; -- Begin function _ZN12_GLOBAL__N_17runRingI6__half8FuncProdIS1_E11ProtoSimpleILi1ELi4ELi1ELi4ELi0ELi0EELi0ELi1ELi4ELi0EEEviiP15ncclDevWorkColl
	.type	_ZN12_GLOBAL__N_17runRingI6__half8FuncProdIS1_E11ProtoSimpleILi1ELi4ELi1ELi4ELi0ELi0EELi0ELi1ELi4ELi0EEEviiP15ncclDevWorkColl,@function
_ZN12_GLOBAL__N_17runRingI6__half8FuncProdIS1_E11ProtoSimpleILi1ELi4ELi1ELi4ELi0ELi0EELi0ELi1ELi4ELi0EEEviiP15ncclDevWorkColl: ; @_ZN12_GLOBAL__N_17runRingI6__half8FuncProdIS1_E11ProtoSimpleILi1ELi4ELi1ELi4ELi0ELi0EELi0ELi1ELi4ELi0EEEviiP15ncclDevWorkColl
; %bb.0:
	s_waitcnt vmcnt(0) expcnt(0) lgkmcnt(0)
	s_mov_b32 s0, s33
	s_mov_b32 s33, s32
	s_or_saveexec_b64 s[2:3], -1
	scratch_store_dword off, v63, s33 offset:332 ; 4-byte Folded Spill
	scratch_store_dword off, v62, s33 offset:336 ; 4-byte Folded Spill
	s_mov_b64 exec, s[2:3]
	v_writelane_b32 v62, s0, 3
	s_addk_i32 s32, 0x160
	scratch_store_dword off, v40, s33 offset:180 ; 4-byte Folded Spill
	scratch_store_dword off, v41, s33 offset:176 ; 4-byte Folded Spill
	;; [unrolled: 1-line block ×45, first 2 shown]
	scratch_store_dword off, a63, s33       ; 4-byte Folded Spill
	v_writelane_b32 v63, s34, 0
	v_writelane_b32 v63, s35, 1
	;; [unrolled: 1-line block ×66, first 2 shown]
	s_nop 1
	v_writelane_b32 v62, s31, 2
	scratch_store_dword off, v31, s33 offset:276 ; 4-byte Folded Spill
	scratch_store_dword off, v1, s33 offset:264 ; 4-byte Folded Spill
	s_trap 2
	flat_load_dword v5, v[2:3]
	ds_read_b32 v6, v0
	v_accvgpr_write_b32 a41, v0
                                        ; implicit-def: $vgpr0_vgpr1
                                        ; implicit-def: $agpr62_agpr63
                                        ; implicit-def: $vgpr40_vgpr41
	s_waitcnt lgkmcnt(0)
	v_readfirstlane_b32 s72, v6
	s_waitcnt vmcnt(0)
	v_cmp_ne_u32_sdwa s[0:1], v5, v6 src0_sel:BYTE_0 src1_sel:DWORD
	s_and_saveexec_b64 s[2:3], s[0:1]
	s_xor_b64 s[0:1], exec, s[2:3]
	s_cbranch_execz .LBB17_6
; %bb.1:
	v_not_b32_sdwa v4, v5 dst_sel:DWORD dst_unused:UNUSED_PAD src0_sel:BYTE_0
	v_cmp_ne_u32_sdwa s[2:3], v5, v6 src0_sel:BYTE_1 src1_sel:DWORD
                                        ; implicit-def: $vgpr0_vgpr1
                                        ; implicit-def: $agpr62_agpr63
                                        ; implicit-def: $vgpr40_vgpr41
	s_and_saveexec_b64 s[4:5], s[2:3]
	s_xor_b64 s[2:3], exec, s[4:5]
	s_cbranch_execz .LBB17_3
; %bb.2:
	flat_load_dwordx4 v[8:11], v[2:3] offset:72
	flat_load_dwordx2 v[0:1], v[2:3] offset:96
	v_add_u32_e32 v4, v6, v4
	v_ashrrev_i32_e32 v5, 31, v4
	s_waitcnt vmcnt(0) lgkmcnt(0)
	v_mul_lo_u32 v5, v10, v5
	v_mad_u64_u32 v[6:7], s[4:5], v10, v4, v[8:9]
	v_mul_lo_u32 v4, v11, v4
	v_add3_u32 v7, v4, v7, v5
	v_accvgpr_write_b32 a63, v7
	v_lshrrev_b64 v[0:1], 13, v[0:1]
	v_accvgpr_write_b32 a62, v6
	v_mov_b64_e32 v[40:41], v[10:11]
                                        ; implicit-def: $vgpr5
                                        ; implicit-def: $vgpr4
.LBB17_3:
	s_andn2_saveexec_b64 s[2:3], s[2:3]
	s_cbranch_execz .LBB17_5
; %bb.4:
	flat_load_dwordx4 v[6:9], v[2:3] offset:72
	flat_load_dwordx4 v[40:43], v[2:3] offset:88
	v_add_u32_sdwa v0, v5, v4 dst_sel:DWORD dst_unused:UNUSED_PAD src0_sel:BYTE_1 src1_sel:DWORD
	v_ashrrev_i32_e32 v1, 31, v0
	s_waitcnt vmcnt(0) lgkmcnt(0)
	v_mul_lo_u32 v1, v8, v1
	v_mad_u64_u32 v[4:5], s[4:5], v8, v0, v[6:7]
	v_mul_lo_u32 v0, v9, v0
	v_add3_u32 v5, v0, v5, v1
	v_accvgpr_write_b32 a63, v5
	v_accvgpr_write_b32 a62, v4
	v_lshrrev_b32_e32 v0, 2, v43
.LBB17_5:
	s_or_b64 exec, exec, s[2:3]
.LBB17_6:
	s_andn2_saveexec_b64 s[0:1], s[0:1]
	s_cbranch_execz .LBB17_8
; %bb.7:
	flat_load_dwordx2 v[0:1], v[2:3] offset:96
	flat_load_dwordx2 v[40:41], v[2:3] offset:72
	v_mov_b64_e32 v[4:5], 0
	v_accvgpr_write_b32 a63, v5
	v_accvgpr_write_b32 a62, v4
	s_waitcnt vmcnt(0) lgkmcnt(0)
	v_lshlrev_b64 v[0:1], 8, v[0:1]
.LBB17_8:
	s_or_b64 exec, exec, s[0:1]
	s_trap 2
	ds_read_b64 v[4:5], v0
	s_waitcnt lgkmcnt(0)
	v_cmp_ne_u32_e32 vcc, -1, v4
	s_nop 1
	v_cndmask_b32_e64 v1, 0, 1, vcc
	v_cmp_ne_u32_e32 vcc, -1, v5
	scratch_load_dword v5, off, s33 offset:264 ; 4-byte Folded Reload
	s_nop 0
	v_addc_co_u32_e64 v6, s[0:1], 0, v1, vcc
	v_lshlrev_b32_e32 v4, 1, v6
	s_waitcnt vmcnt(0)
	v_cmp_le_i32_e64 s[0:1], v4, v5
	s_and_saveexec_b64 s[2:3], s[0:1]
	s_xor_b64 s[34:35], exec, s[2:3]
	s_cbranch_execz .LBB17_1219
; %bb.9:
	flat_load_dwordx2 v[4:5], v[2:3] offset:104
	flat_load_dwordx4 v[10:13], v[2:3] offset:16
	flat_load_ushort v9, v[2:3] offset:8
	flat_load_dword v8, v[2:3] offset:4
	s_trap 2
	s_load_dword s0, s[8:9], 0x0
	v_mov_b32_e32 v7, 0
	v_mov_b32_e32 v57, 4
	s_waitcnt lgkmcnt(0)
	s_cmp_lt_u32 s12, s0
	s_cselect_b32 s0, 12, 18
	s_add_u32 s0, s8, s0
	s_addc_u32 s1, s9, 0
	global_load_ushort v7, v7, s[0:1]
	s_waitcnt vmcnt(0)
	scratch_store_dword off, v7, s33 offset:280 ; 4-byte Folded Spill
	ds_read_b32 v7, v0
	s_waitcnt lgkmcnt(0)
	v_readfirstlane_b32 s16, v7
	v_accvgpr_read_b32 v7, a41
	v_cmp_ge_i32_e64 s[0:1], v7, v1
	s_and_saveexec_b64 s[2:3], s[0:1]
	s_cbranch_execz .LBB17_19
; %bb.10:
	v_accvgpr_read_b32 v7, a41
	v_cmp_le_u32_e64 s[0:1], v6, v7
                                        ; implicit-def: $vgpr57
	s_and_saveexec_b64 s[4:5], s[0:1]
	s_xor_b64 s[0:1], exec, s[4:5]
	s_cbranch_execz .LBB17_16
; %bb.11:
	scratch_load_dword v14, off, s33 offset:264 ; 4-byte Folded Reload
	v_cndmask_b32_e64 v7, 0, 1, vcc
                                        ; implicit-def: $sgpr6
	s_waitcnt vmcnt(0)
	v_sub_u32_e32 v7, v14, v7
	v_accvgpr_read_b32 v14, a41
	v_cmp_ge_u32_e32 vcc, v14, v7
	s_and_saveexec_b64 s[4:5], vcc
	s_xor_b64 s[4:5], exec, s[4:5]
; %bb.12:
	s_mov_b32 s6, 16
                                        ; implicit-def: $vgpr6
; %bb.13:
	s_or_saveexec_b64 s[4:5], s[4:5]
	v_mov_b32_e32 v57, s6
	s_xor_b64 exec, exec, s[4:5]
	s_cbranch_execz .LBB17_15
; %bb.14:
	scratch_load_dword v7, off, s33 offset:264 ; 4-byte Folded Reload
	s_waitcnt vmcnt(0)
	v_sub_u32_e32 v6, v7, v6
	v_accvgpr_read_b32 v7, a41
	v_cmp_ge_i32_e32 vcc, v7, v6
	s_nop 1
	v_cndmask_b32_e64 v6, 0, 1, vcc
	v_lshlrev_b32_e32 v57, 5, v6
.LBB17_15:
	s_or_b64 exec, exec, s[4:5]
.LBB17_16:
	s_andn2_saveexec_b64 s[0:1], s[0:1]
; %bb.17:
	v_mov_b32_e32 v57, 8
; %bb.18:
	s_or_b64 exec, exec, s[0:1]
.LBB17_19:
	s_or_b64 exec, exec, s[2:3]
	v_and_b32_e32 v6, 36, v57
	v_cmp_ne_u32_e32 vcc, 0, v6
	v_mov_b32_e32 v6, -1
	s_and_saveexec_b64 s[0:1], vcc
	s_cbranch_execz .LBB17_21
; %bb.20:
	s_trap 2
	ds_read_b32 v6, v0
.LBB17_21:
	s_or_b64 exec, exec, s[0:1]
	v_and_b32_e32 v7, 24, v57
	v_cmp_ne_u32_e64 s[0:1], 0, v7
	s_and_saveexec_b64 s[2:3], s[0:1]
	s_cbranch_execz .LBB17_23
; %bb.22:
	s_trap 2
	s_waitcnt lgkmcnt(0)
	ds_read_b32 v6, v0
.LBB17_23:
	s_or_b64 exec, exec, s[2:3]
	v_mov_b64_e32 v[14:15], 0
	v_lshrrev_b64 v[8:9], 31, v[8:9]
	v_accvgpr_write_b32 a33, v15
	v_and_b32_e32 v8, 3, v8
	v_accvgpr_write_b32 a32, v14
                                        ; implicit-def: $vgpr16_vgpr17
                                        ; kill: killed $vgpr16_vgpr17
                                        ; implicit-def: $agpr20
                                        ; implicit-def: $agpr10_agpr11
	scratch_store_dwordx2 off, v[14:15], s33 offset:268 ; 8-byte Folded Spill
                                        ; implicit-def: $vgpr34_vgpr35
                                        ; implicit-def: $vgpr38_vgpr39
                                        ; implicit-def: $vgpr46_vgpr47
	s_and_saveexec_b64 s[0:1], vcc
	s_cbranch_execz .LBB17_33
; %bb.24:
	s_trap 2
	ds_read_b64 v[14:15], v0
	s_waitcnt lgkmcnt(1)
	v_ashrrev_i32_e32 v7, 31, v6
	s_movk_i32 s2, 0xa8
	s_waitcnt lgkmcnt(0)
	v_lshl_add_u64 v[14:15], v[6:7], 3, v[14:15]
	flat_load_dwordx2 v[14:15], v[14:15]
	v_and_b32_e32 v7, 0xffff, v8
	s_waitcnt vmcnt(0) lgkmcnt(0)
	v_mad_u64_u32 v[14:15], s[2:3], v7, s2, v[14:15]
	flat_load_dword v7, v[14:15] offset:640
	s_mov_b64 s[2:3], 0x1f8
	v_lshl_add_u64 v[18:19], v[14:15], 0, s[2:3]
                                        ; implicit-def: $vgpr14_vgpr15
                                        ; kill: killed $vgpr14_vgpr15
	s_waitcnt vmcnt(0) lgkmcnt(0)
	v_cmp_eq_u32_e32 vcc, 1, v7
	s_and_saveexec_b64 s[2:3], vcc
	s_cbranch_execz .LBB17_26
; %bb.25:
	flat_load_dwordx2 v[16:17], v[18:19] offset:144
	v_or_b32_e32 v57, 0x2000, v57
	s_waitcnt vmcnt(0) lgkmcnt(0)
	flat_load_dwordx2 v[14:15], v[16:17]
	s_trap 2
	scratch_store_dwordx2 off, v[16:17], s33 offset:324 ; 8-byte Folded Spill
	s_waitcnt vmcnt(0) lgkmcnt(0)
	ds_write_b64 v0, v[14:15]
	flat_load_dwordx2 v[14:15], v[16:17] offset:8
	s_waitcnt vmcnt(0) lgkmcnt(0)
	ds_write_b64 v0, v[14:15]
	flat_load_dwordx2 v[14:15], v[16:17] offset:16
	s_waitcnt vmcnt(0) lgkmcnt(0)
	ds_write_b64 v0, v[14:15]
.LBB17_26:
	s_or_b64 exec, exec, s[2:3]
	flat_load_dwordx2 v[14:15], v[18:19] offset:104
	v_and_b32_e32 v7, 32, v57
	v_cmp_ne_u32_e32 vcc, 0, v7
	scratch_store_dwordx2 off, v[18:19], s33 offset:268 ; 8-byte Folded Spill
                                        ; implicit-def: $vgpr46_vgpr47
	s_waitcnt vmcnt(0) lgkmcnt(0)
	v_lshl_add_u64 v[14:15], v[14:15], 0, 3
	v_and_b32_e32 v14, -4, v14
	v_accvgpr_write_b32 a10, v14
	v_accvgpr_write_b32 a11, v15
	s_and_saveexec_b64 s[2:3], vcc
	s_cbranch_execz .LBB17_28
; %bb.27:
	scratch_load_dwordx2 v[14:15], off, s33 offset:268 ; 8-byte Folded Reload
	s_waitcnt vmcnt(0)
	flat_load_dwordx2 v[46:47], v[14:15] offset:56
	s_waitcnt vmcnt(0) lgkmcnt(0)
	flat_store_dwordx2 v[46:47], a[10:11] sc0 sc1
.LBB17_28:
	s_or_b64 exec, exec, s[2:3]
	v_mov_b64_e32 v[14:15], 0
	v_and_b32_e32 v7, 4, v57
	v_accvgpr_write_b32 a33, v15
	v_cmp_ne_u32_e32 vcc, 0, v7
	v_accvgpr_write_b32 a32, v14
                                        ; implicit-def: $agpr20
                                        ; implicit-def: $vgpr34_vgpr35
                                        ; implicit-def: $vgpr38_vgpr39
	s_and_saveexec_b64 s[2:3], vcc
	s_cbranch_execz .LBB17_32
; %bb.29:
	v_and_b32_e32 v7, 0x800, v57
	v_cmp_eq_u32_e32 vcc, 0, v7
	s_and_saveexec_b64 s[4:5], vcc
	s_cbranch_execz .LBB17_31
; %bb.30:
	s_trap 2
	scratch_load_dwordx2 v[14:15], off, s33 offset:268 ; 8-byte Folded Reload
	s_waitcnt vmcnt(0)
	ds_write_b64 v0, v[14:15]
.LBB17_31:
	s_or_b64 exec, exec, s[4:5]
	scratch_load_dwordx2 v[14:15], off, s33 offset:268 ; 8-byte Folded Reload
	v_or_b32_e32 v9, 0x100, v57
	s_waitcnt vmcnt(0)
	flat_load_dwordx2 v[46:47], v[14:15] offset:48
	s_waitcnt vmcnt(0) lgkmcnt(0)
	flat_load_dwordx2 v[38:39], v[46:47] sc0 sc1
	flat_load_dword v7, v[14:15] offset:72
	flat_load_dwordx2 v[16:17], v[14:15] offset:96
	flat_load_dwordx2 v[34:35], v[14:15] offset:16
	s_waitcnt vmcnt(0) lgkmcnt(0)
	v_ashrrev_i32_e32 v14, 1, v7
	v_accvgpr_write_b32 a33, v17
	v_cmp_eq_u64_e32 vcc, 0, v[16:17]
	v_accvgpr_write_b32 a20, v14
	v_accvgpr_write_b32 a32, v16
	v_cndmask_b32_e32 v57, v9, v57, vcc
.LBB17_32:
	s_or_b64 exec, exec, s[2:3]
.LBB17_33:
	s_or_b64 exec, exec, s[0:1]
	v_and_b32_e32 v7, 24, v57
	v_cmp_ne_u32_e32 vcc, 0, v7
                                        ; implicit-def: $vgpr36_vgpr37
	s_and_saveexec_b64 s[0:1], vcc
	s_cbranch_execz .LBB17_41
; %bb.34:
	s_trap 2
	ds_read_b64 v[14:15], v0
	s_waitcnt lgkmcnt(0)
	v_ashrrev_i32_e32 v7, 31, v6
	v_and_b32_e32 v8, 0xffff, v8
	s_movk_i32 s2, 0xa8
                                        ; implicit-def: $vgpr36_vgpr37
	v_lshl_add_u64 v[6:7], v[6:7], 3, v[14:15]
	flat_load_dwordx2 v[6:7], v[6:7]
	s_waitcnt vmcnt(0) lgkmcnt(0)
	v_mad_u64_u32 v[8:9], s[2:3], v8, s2, v[6:7]
	flat_load_dwordx4 v[14:17], v[8:9] offset:96
	v_or_b32_e32 v6, 0x100, v57
	s_waitcnt vmcnt(0) lgkmcnt(0)
	v_cmp_eq_u64_e32 vcc, 0, v[14:15]
	s_nop 1
	v_cndmask_b32_e32 v57, v6, v57, vcc
	v_accvgpr_write_b32 a35, v17
	v_and_b32_e32 v6, 16, v57
	v_accvgpr_write_b32 a34, v16
	v_accvgpr_write_b32 a33, v15
	;; [unrolled: 1-line block ×3, first 2 shown]
	v_cmp_ne_u32_e32 vcc, 0, v6
	s_and_saveexec_b64 s[2:3], vcc
	s_cbranch_execz .LBB17_36
; %bb.35:
	flat_load_dwordx2 v[36:37], v[8:9] offset:120
	flat_load_dwordx2 v[46:47], v[8:9] offset:48
	flat_load_dwordx2 v[34:35], v[8:9] offset:16
.LBB17_36:
	s_or_b64 exec, exec, s[2:3]
	v_accvgpr_read_b32 v14, a32
	v_accvgpr_read_b32 v16, a34
	;; [unrolled: 1-line block ×3, first 2 shown]
	v_lshl_add_u64 v[6:7], v[16:17], 0, 3
	v_and_b32_e32 v6, -4, v6
	v_accvgpr_write_b32 a11, v7
	v_accvgpr_write_b32 a10, v6
	v_and_b32_e32 v6, 8, v57
	v_cmp_ne_u32_e32 vcc, 0, v6
	v_accvgpr_read_b32 v15, a33
	s_and_saveexec_b64 s[2:3], vcc
	s_cbranch_execz .LBB17_40
; %bb.37:
	v_and_b32_e32 v6, 0x800, v57
	v_cmp_eq_u32_e32 vcc, 0, v6
	s_and_saveexec_b64 s[4:5], vcc
	s_cbranch_execz .LBB17_39
; %bb.38:
	s_trap 2
	ds_write_b64 v0, v[8:9]
.LBB17_39:
	s_or_b64 exec, exec, s[4:5]
	s_waitcnt vmcnt(0) lgkmcnt(0)
	flat_load_dwordx2 v[46:47], v[8:9] offset:56
	s_waitcnt vmcnt(0) lgkmcnt(0)
	flat_load_dwordx2 v[38:39], v[46:47] sc0 sc1
	flat_load_dword v6, v[8:9] offset:72
	flat_load_dwordx2 v[34:35], v[8:9] offset:16
	s_waitcnt vmcnt(0) lgkmcnt(0)
	v_ashrrev_i32_e32 v6, 1, v6
	v_accvgpr_write_b32 a20, v6
.LBB17_40:
	s_or_b64 exec, exec, s[2:3]
	scratch_store_dwordx2 off, v[8:9], s33 offset:268 ; 8-byte Folded Spill
.LBB17_41:
	s_or_b64 exec, exec, s[0:1]
	s_waitcnt lgkmcnt(0)
	v_accvgpr_read_b32 v6, a41
	v_cmp_eq_u32_e64 s[0:1], 0, v6
	s_and_saveexec_b64 s[2:3], s[0:1]
	s_cbranch_execz .LBB17_43
; %bb.42:
	flat_load_dwordx2 v[6:7], v[2:3] offset:32
	v_mov_b32_e32 v8, v12
	v_mov_b32_e32 v9, v13
	ds_write2_b64 v0, v[8:9], v[10:11] offset1:1
	s_trap 2
	s_waitcnt vmcnt(0) lgkmcnt(0)
	ds_write_b64 v0, v[6:7]
	ds_write_b64 v0, v[4:5]
.LBB17_43:
	s_or_b64 exec, exec, s[2:3]
	s_mov_b64 s[38:39], 0
	v_mov_b64_e32 v[48:49], 0
	v_cmp_lt_i64_e32 vcc, 0, v[40:41]
	s_mov_b64 s[36:37], exec
	scratch_load_dwordx2 v[4:5], off, s33 offset:268 ; 8-byte Folded Reload
	s_and_b64 s[2:3], s[36:37], vcc
	s_mov_b64 exec, s[2:3]
	s_cbranch_execz .LBB17_1183
; %bb.44:
	v_and_b32_e32 v50, 0x1fffff00, v0
	v_accvgpr_read_b32 v0, a20
	s_waitcnt vmcnt(0)
	flat_load_dword v4, v[2:3] offset:4
	v_ashrrev_i32_e32 v3, 31, v0
	scratch_load_dword v2, off, s33 offset:264 ; 4-byte Folded Reload
	s_ashr_i32 s17, s16, 31
	scratch_store_dwordx2 off, v[0:1], s33 offset:220 ; 8-byte Folded Spill
	s_trap 2
	scratch_load_dword v0, off, s33 offset:280 ; 4-byte Folded Reload
	s_lshr_b32 s17, s17, 29
	s_add_i32 s22, s16, s17
	s_ashr_i32 s73, s72, 31
	s_ashr_i32 s23, s22, 4
	v_accvgpr_read_b32 v12, a41
	s_add_u32 s46, s72, -1
	s_addc_u32 s47, s73, -1
	s_add_i32 s77, s72, s72
	s_not_b32 s24, s72
	v_mov_b32_e32 v5, 0xfffff800
	s_cmp_gt_i32 s72, 0
	v_accvgpr_write_b32 a21, v3
	v_mov_b32_e32 v3, 0xffffe000
	s_cselect_b32 s24, s24, -1
	s_ashr_i32 s22, s22, 31
	v_mov_b32_e32 v7, 0xfffff000
	v_mad_i64_i32 v[10:11], s[14:15], v50, s72, 0
	s_lshr_b32 s22, s22, 29
	s_mov_b64 s[18:19], 0x2000
	s_mov_b64 s[20:21], 0x800
	s_add_i32 s78, s24, s77
	s_add_i32 s23, s23, s22
	s_ashr_i32 s79, s78, 31
	s_ashr_i32 s80, s23, 3
	s_cmp_gt_i32 s72, 2
	s_mov_b64 s[24:25], 0x1000
	s_cselect_b64 s[48:49], -1, 0
	s_mov_b64 s[42:43], 0x400
	s_mov_b64 s[44:45], 0x80
	v_mov_b32_e32 v51, 0
	v_mov_b32_e32 v33, v51
	v_mov_b64_e32 v[58:59], 0
	v_accvgpr_write_b32 a61, v51
	v_accvgpr_write_b32 a8, v40
	v_accvgpr_mov_b32 a16, a32
	v_accvgpr_write_b32 a22, v34
	v_accvgpr_write_b32 a24, v36
	s_movk_i32 s74, 0xfc00
	s_movk_i32 s75, 0xff80
	v_cmp_eq_u64_e64 s[10:11], 0, v[36:37]
	v_cmp_ne_u64_e64 s[12:13], 0, v[36:37]
	s_movk_i32 s76, 0xf000
	s_movk_i32 s84, 0x270e
	v_mov_b32_e32 v24, 1
	s_movk_i32 s85, 0x1000
	s_movk_i32 s86, 0x108
	s_mov_b64 s[52:53], 0x780
	s_movk_i32 s87, 0xf880
	s_movk_i32 s88, 0xf900
	;; [unrolled: 1-line block ×10, first 2 shown]
	v_accvgpr_write_b32 a60, v50
	v_mov_b64_e32 v[48:49], v[58:59]
	v_accvgpr_write_b32 a9, v41
	v_accvgpr_mov_b32 a17, a33
	v_accvgpr_write_b32 a23, v35
	v_accvgpr_write_b32 a25, v37
	scratch_store_dwordx2 off, a[62:63], s33 offset:244 ; 8-byte Folded Spill
	scratch_store_dwordx2 off, v[46:47], s33 offset:236 ; 8-byte Folded Spill
	s_waitcnt vmcnt(0)
	v_cmp_ge_i32_e64 s[2:3], v12, v2
	v_cmp_eq_u32_e64 s[4:5], 64, v2
	v_cmp_ne_u32_e64 s[6:7], 64, v2
	v_lshrrev_b32_e32 v32, 6, v2
	v_cmp_ne_u32_sdwa s[40:41], v0, v2 src0_sel:WORD_0 src1_sel:DWORD
	scratch_load_dword v0, off, s33 offset:276 ; 4-byte Folded Reload
	v_ashrrev_i32_e32 v2, 31, v12
	v_lshrrev_b32_e32 v8, 26, v2
	v_lshl_add_u32 v6, v32, 11, v5
	v_add_u32_e32 v5, v12, v8
	v_lshl_add_u32 v2, v32, 13, v3
	v_ashrrev_i32_e32 v29, 6, v5
	v_and_b32_e32 v5, 0xffffffc0, v5
	v_ashrrev_i32_e32 v3, 31, v2
	v_sub_u32_e32 v5, v12, v5
	v_lshl_add_u64 v[22:23], v[2:3], 0, s[18:19]
	v_cmp_lt_i32_e64 s[18:19], v5, v1
	v_lshlrev_b32_e32 v56, 10, v32
	v_lshlrev_b32_e32 v25, 7, v32
	v_add_u32_e32 v8, 0xfffffc00, v56
	v_lshlrev_b32_e32 v2, 13, v29
	v_add_u32_e32 v26, 0xffffff80, v25
	v_ashrrev_i32_e32 v9, 31, v8
	v_lshlrev_b32_e32 v3, 12, v29
	v_lshl_add_u32 v18, v5, 4, v2
	v_ashrrev_i32_e32 v27, 31, v26
	v_accvgpr_write_b32 a37, v9
	v_sub_u32_e32 v2, v18, v3
	v_accvgpr_write_b32 a36, v8
	v_lshl_add_u64 v[8:9], v[8:9], 0, s[42:43]
	v_lshl_add_u64 v[20:21], v[26:27], 0, s[44:45]
	v_ashrrev_i32_e32 v3, 31, v2
	v_accvgpr_write_b32 a49, v9
	v_ashrrev_i32_e32 v19, 31, v18
	scratch_store_dwordx2 off, v[2:3], s33 offset:184 ; 8-byte Folded Spill
	v_accvgpr_write_b32 a30, v32
	v_accvgpr_write_b32 a43, v23
	;; [unrolled: 1-line block ×4, first 2 shown]
	v_cmp_gt_i32_e64 s[16:17], 1, v5
	v_accvgpr_write_b32 a31, v33
	v_accvgpr_write_b32 a42, v22
	;; [unrolled: 1-line block ×3, first 2 shown]
	scratch_store_dword off, v5, s33 offset:216 ; 4-byte Folded Spill
	s_waitcnt vmcnt(0)
	v_and_b32_e32 v0, 63, v0
	v_cmp_eq_u32_e64 s[14:15], 0, v0
	v_lshl_add_u32 v0, v32, 12, v7
	v_ashrrev_i32_e32 v7, 31, v6
	v_lshl_add_u64 v[16:17], v[6:7], 0, s[20:21]
	v_cmp_le_i32_e64 s[20:21], v5, v1
	s_waitcnt lgkmcnt(0)
	v_and_b32_e32 v1, 1, v4
	v_cmp_eq_u32_e64 s[22:23], 1, v1
	v_ashrrev_i32_e32 v1, 31, v0
	v_lshl_add_u64 v[0:1], v[0:1], 0, s[24:25]
	s_xor_b64 s[50:51], s[22:23], -1
	s_add_i32 s24, s72, 1
	s_cmp_le_i32 s72, s24
	s_cselect_b32 s25, s72, 0
	s_sub_i32 s81, s24, s25
	s_mov_b64 s[24:25], 0xc00
	v_lshl_add_u64 v[2:3], v[2:3], 0, s[24:25]
	s_mov_b64 s[24:25], 0x1c00
	v_accvgpr_write_b32 a45, v17
	v_accvgpr_write_b32 a53, v1
	v_mov_b64_e32 v[6:7], v[10:11]
	s_ashr_i32 s82, s81, 31
	s_add_i32 s83, s72, -2
	scratch_store_dwordx2 off, v[2:3], s33 offset:316 ; 8-byte Folded Spill
	v_lshl_add_u64 v[2:3], v[18:19], 0, s[24:25]
	v_accvgpr_write_b32 a44, v16
	v_accvgpr_write_b32 a52, v0
	scratch_store_dwordx2 off, v[2:3], s33 offset:256 ; 8-byte Folded Spill
	scratch_store_dwordx2 off, v[6:7], s33 offset:228 ; 8-byte Folded Spill
	scratch_store_dword off, v56, s33 offset:252 ; 4-byte Folded Spill
	scratch_store_dword off, v25, s33 offset:208 ; 4-byte Folded Spill
	scratch_store_dwordx2 off, v[26:27], s33 offset:200 ; 8-byte Folded Spill
	scratch_store_dword off, v29, s33 offset:212 ; 4-byte Folded Spill
	scratch_store_dwordx2 off, v[18:19], s33 offset:192 ; 8-byte Folded Spill
	s_branch .LBB17_47
.LBB17_45:                              ;   in Loop: Header=BB17_47 Depth=1
	s_or_b64 exec, exec, s[24:25]
.LBB17_46:                              ;   in Loop: Header=BB17_47 Depth=1
	s_or_b64 exec, exec, s[28:29]
	scratch_load_dwordx2 v[6:7], off, s33 offset:228 ; 8-byte Folded Reload
	s_waitcnt vmcnt(0)
	v_lshl_add_u64 v[58:59], v[58:59], 0, v[6:7]
	v_cmp_ge_i64_e32 vcc, v[58:59], v[40:41]
	s_or_b64 s[38:39], vcc, s[38:39]
	s_andn2_b64 exec, exec, s[38:39]
	s_cbranch_execz .LBB17_1182
.LBB17_47:                              ; =>This Loop Header: Depth=1
                                        ;     Child Loop BB17_62 Depth 2
                                        ;     Child Loop BB17_86 Depth 2
	;; [unrolled: 1-line block ×13, first 2 shown]
                                        ;       Child Loop BB17_275 Depth 3
                                        ;       Child Loop BB17_301 Depth 3
	;; [unrolled: 1-line block ×12, first 2 shown]
                                        ;     Child Loop BB17_487 Depth 2
                                        ;     Child Loop BB17_513 Depth 2
	;; [unrolled: 1-line block ×9, first 2 shown]
                                        ;       Child Loop BB17_565 Depth 3
                                        ;     Child Loop BB17_574 Depth 2
                                        ;     Child Loop BB17_579 Depth 2
                                        ;       Child Loop BB17_580 Depth 3
                                        ;     Child Loop BB17_619 Depth 2
                                        ;     Child Loop BB17_638 Depth 2
                                        ;     Child Loop BB17_661 Depth 2
                                        ;     Child Loop BB17_691 Depth 2
                                        ;     Child Loop BB17_710 Depth 2
                                        ;     Child Loop BB17_728 Depth 2
                                        ;       Child Loop BB17_741 Depth 3
                                        ;       Child Loop BB17_774 Depth 3
	;; [unrolled: 1-line block ×9, first 2 shown]
                                        ;         Child Loop BB17_875 Depth 4
                                        ;       Child Loop BB17_884 Depth 3
                                        ;       Child Loop BB17_889 Depth 3
                                        ;         Child Loop BB17_890 Depth 4
                                        ;       Child Loop BB17_929 Depth 3
                                        ;       Child Loop BB17_960 Depth 3
	;; [unrolled: 1-line block ×5, first 2 shown]
                                        ;     Child Loop BB17_987 Depth 2
                                        ;     Child Loop BB17_1011 Depth 2
	;; [unrolled: 1-line block ×12, first 2 shown]
	v_sub_co_u32_e32 v14, vcc, v40, v58
	s_nop 1
	v_subb_co_u32_e32 v15, vcc, v41, v59, vcc
	v_cmp_lt_i64_e32 vcc, v[14:15], v[6:7]
	s_and_saveexec_b64 s[26:27], vcc
	s_cbranch_execz .LBB17_53
; %bb.48:                               ;   in Loop: Header=BB17_47 Depth=1
	v_lshl_add_u64 v[0:1], s[46:47], 0, v[14:15]
	v_or_b32_e32 v3, s73, v1
	v_mov_b32_e32 v2, v51
	v_cmp_ne_u64_e32 vcc, 0, v[2:3]
                                        ; implicit-def: $vgpr4_vgpr5
	s_and_saveexec_b64 s[24:25], vcc
	s_xor_b64 s[28:29], exec, s[24:25]
	s_cbranch_execz .LBB17_50
; %bb.49:                               ;   in Loop: Header=BB17_47 Depth=1
	s_add_u32 s24, s72, s73
	s_mov_b32 s30, s73
	s_mov_b32 s31, s73
	s_addc_u32 s25, s73, s73
	s_xor_b64 s[54:55], s[24:25], s[30:31]
	v_cvt_f32_u32_e32 v2, s54
	v_cvt_f32_u32_e32 v3, s55
	s_sub_u32 s24, 0, s54
	s_subb_u32 s25, 0, s55
	v_fmac_f32_e32 v2, 0x4f800000, v3
	v_rcp_f32_e32 v2, v2
	s_nop 0
	v_mul_f32_e32 v2, 0x5f7ffffc, v2
	v_mul_f32_e32 v3, 0x2f800000, v2
	v_trunc_f32_e32 v3, v3
	v_fmac_f32_e32 v2, 0xcf800000, v3
	v_cvt_u32_f32_e32 v4, v3
	v_cvt_u32_f32_e32 v5, v2
	v_mul_lo_u32 v2, s24, v4
	v_mul_hi_u32 v6, s24, v5
	v_mul_lo_u32 v3, s25, v5
	v_add_u32_e32 v2, v6, v2
	v_mul_lo_u32 v7, s24, v5
	v_add_u32_e32 v6, v2, v3
	v_mul_hi_u32 v3, v5, v6
	v_mul_lo_u32 v2, v5, v6
	v_mul_hi_u32 v50, v5, v7
	v_lshl_add_u64 v[2:3], v[50:51], 0, v[2:3]
	v_mul_hi_u32 v9, v4, v7
	v_mul_lo_u32 v7, v4, v7
	v_add_co_u32_e32 v2, vcc, v2, v7
	v_mul_hi_u32 v8, v4, v6
	s_nop 0
	v_addc_co_u32_e32 v50, vcc, v3, v9, vcc
	v_mul_lo_u32 v2, v4, v6
	s_nop 0
	v_addc_co_u32_e32 v3, vcc, 0, v8, vcc
	v_lshl_add_u64 v[2:3], v[50:51], 0, v[2:3]
	v_add_co_u32_e32 v5, vcc, v5, v2
	v_mul_lo_u32 v8, s24, v5
	s_nop 0
	v_addc_co_u32_e32 v4, vcc, v4, v3, vcc
	v_mul_lo_u32 v2, s24, v4
	v_mul_hi_u32 v3, s24, v5
	v_add_u32_e32 v2, v3, v2
	v_mul_lo_u32 v3, s25, v5
	v_add_u32_e32 v6, v2, v3
	v_mul_hi_u32 v3, v5, v6
	v_mul_lo_u32 v2, v5, v6
	v_mul_hi_u32 v50, v5, v8
	v_mul_lo_u32 v10, v4, v8
	v_lshl_add_u64 v[2:3], v[50:51], 0, v[2:3]
	v_mul_hi_u32 v9, v4, v8
	v_add_co_u32_e32 v2, vcc, v2, v10
	v_mul_hi_u32 v7, v4, v6
	s_nop 0
	v_addc_co_u32_e32 v50, vcc, v3, v9, vcc
	v_mul_lo_u32 v2, v4, v6
	s_nop 0
	v_addc_co_u32_e32 v3, vcc, 0, v7, vcc
	v_lshl_add_u64 v[2:3], v[50:51], 0, v[2:3]
	v_add_co_u32_e32 v6, vcc, v5, v2
	s_nop 1
	v_addc_co_u32_e32 v2, vcc, v4, v3, vcc
	v_ashrrev_i32_e32 v4, 31, v1
	v_mov_b32_e32 v5, v4
	v_lshl_add_u64 v[0:1], v[0:1], 0, v[4:5]
	v_xor_b32_e32 v8, v0, v4
	v_xor_b32_e32 v5, v1, v4
	v_mad_u64_u32 v[0:1], s[24:25], v8, v2, 0
	v_mul_hi_u32 v50, v8, v6
	v_lshl_add_u64 v[0:1], v[50:51], 0, v[0:1]
	v_mad_u64_u32 v[6:7], s[24:25], v5, v6, 0
	v_add_co_u32_e32 v0, vcc, v0, v6
	v_mad_u64_u32 v[2:3], s[24:25], v5, v2, 0
	s_nop 0
	v_addc_co_u32_e32 v50, vcc, v1, v7, vcc
	s_nop 1
	v_addc_co_u32_e32 v3, vcc, 0, v3, vcc
	v_lshl_add_u64 v[0:1], v[50:51], 0, v[2:3]
	v_mul_lo_u32 v6, s55, v0
	v_mul_lo_u32 v7, s54, v1
	v_mad_u64_u32 v[2:3], s[24:25], s54, v0, 0
	v_add3_u32 v9, v3, v7, v6
	v_sub_u32_e32 v3, v5, v9
	v_mov_b32_e32 v6, s55
	v_sub_co_u32_e32 v8, vcc, v8, v2
	s_nop 1
	v_subb_co_u32_e64 v2, s[24:25], v3, v6, vcc
	v_subrev_co_u32_e64 v3, s[24:25], s54, v8
	v_subb_co_u32_e32 v5, vcc, v5, v9, vcc
	s_nop 0
	v_subbrev_co_u32_e64 v2, s[24:25], 0, v2, s[24:25]
	v_cmp_le_u32_e64 s[24:25], s55, v2
	v_cmp_le_u32_e32 vcc, s55, v5
	s_nop 0
	v_cndmask_b32_e64 v6, 0, -1, s[24:25]
	v_cmp_le_u32_e64 s[24:25], s54, v3
	s_nop 1
	v_cndmask_b32_e64 v3, 0, -1, s[24:25]
	v_cmp_eq_u32_e64 s[24:25], s55, v2
	s_nop 1
	v_cndmask_b32_e64 v10, v6, v3, s[24:25]
	v_lshl_add_u64 v[2:3], v[0:1], 0, 2
	v_lshl_add_u64 v[6:7], v[0:1], 0, 1
	v_cmp_ne_u32_e64 s[24:25], 0, v10
	s_nop 1
	v_cndmask_b32_e64 v3, v7, v3, s[24:25]
	v_cndmask_b32_e64 v7, 0, -1, vcc
	v_cmp_le_u32_e32 vcc, s54, v8
	v_cndmask_b32_e64 v2, v6, v2, s[24:25]
	s_nop 0
	v_cndmask_b32_e64 v8, 0, -1, vcc
	v_cmp_eq_u32_e32 vcc, s55, v5
	s_nop 1
	v_cndmask_b32_e32 v5, v7, v8, vcc
	v_cmp_ne_u32_e32 vcc, 0, v5
	s_nop 1
	v_cndmask_b32_e32 v1, v1, v3, vcc
	v_cndmask_b32_e32 v0, v0, v2, vcc
	v_xor_b32_e32 v3, s30, v4
	v_xor_b32_e32 v2, s31, v4
	;; [unrolled: 1-line block ×4, first 2 shown]
	v_sub_co_u32_e32 v4, vcc, v0, v3
	s_nop 1
	v_subb_co_u32_e32 v5, vcc, v1, v2, vcc
                                        ; implicit-def: $vgpr0_vgpr1
.LBB17_50:                              ;   in Loop: Header=BB17_47 Depth=1
	s_andn2_saveexec_b64 s[24:25], s[28:29]
	s_cbranch_execz .LBB17_52
; %bb.51:                               ;   in Loop: Header=BB17_47 Depth=1
	v_cvt_f32_u32_e32 v1, s72
	s_sub_i32 s28, 0, s72
	v_rcp_iflag_f32_e32 v1, v1
	s_nop 0
	v_mul_f32_e32 v1, 0x4f7ffffe, v1
	v_cvt_u32_f32_e32 v1, v1
	v_mul_lo_u32 v2, s28, v1
	v_mul_hi_u32 v2, v1, v2
	v_add_u32_e32 v1, v1, v2
	v_mul_hi_u32 v1, v0, v1
	v_mul_lo_u32 v2, v1, s72
	v_sub_u32_e32 v0, v0, v2
	v_add_u32_e32 v3, 1, v1
	v_subrev_u32_e32 v2, s72, v0
	v_cmp_le_u32_e32 vcc, s72, v0
	s_nop 1
	v_cndmask_b32_e32 v0, v0, v2, vcc
	v_cndmask_b32_e32 v1, v1, v3, vcc
	v_add_u32_e32 v2, 1, v1
	v_cmp_le_u32_e32 vcc, s72, v0
	s_nop 1
	v_cndmask_b32_e32 v50, v1, v2, vcc
	v_mov_b64_e32 v[4:5], v[50:51]
.LBB17_52:                              ;   in Loop: Header=BB17_47 Depth=1
	s_or_b64 exec, exec, s[24:25]
	v_lshl_add_u64 v[0:1], v[4:5], 0, 7
	v_and_b32_e32 v0, -8, v0
	v_accvgpr_write_b32 a61, v1
	v_accvgpr_write_b32 a60, v0
.LBB17_53:                              ;   in Loop: Header=BB17_47 Depth=1
	s_or_b64 exec, exec, s[26:27]
	v_accvgpr_read_b32 v4, a60
	v_accvgpr_read_b32 v5, a61
	v_mul_lo_u32 v2, v5, s78
	v_mul_lo_u32 v3, v4, s79
	v_mad_u64_u32 v[0:1], s[24:25], v4, s78, 0
	v_add3_u32 v1, v1, v3, v2
	v_accvgpr_read_b32 v2, a62
	v_accvgpr_read_b32 v3, a63
	v_lshl_add_u64 v[2:3], v[58:59], 0, v[2:3]
	v_accvgpr_write_b32 a0, v2
	v_accvgpr_write_b32 a1, v3
	v_sub_co_u32_e32 v2, vcc, v14, v0
	s_nop 1
	v_subb_co_u32_e32 v3, vcc, v15, v1, vcc
	v_cmp_lt_i64_e32 vcc, v[4:5], v[2:3]
	s_nop 1
	v_cndmask_b32_e32 v2, v2, v4, vcc
	v_max_i32_e32 v10, 0, v2
	v_add_u32_e32 v3, 15, v10
	v_ashrrev_i32_e32 v4, 31, v3
	v_lshrrev_b32_e32 v4, 28, v4
	v_add_u32_e32 v3, v3, v4
	v_and_b32_e32 v3, -16, v3
	v_cmp_gt_i32_e32 vcc, 1, v2
	v_max_i32_e32 v6, s80, v3
	s_or_b64 s[26:27], s[2:3], vcc
	v_mov_b32_e32 v2, 0
	s_xor_b64 s[24:25], s[26:27], -1
	s_mov_b64 s[28:29], exec
	v_accvgpr_write_b32 a12, v14
	s_and_b64 s[24:25], s[28:29], s[24:25]
	v_accvgpr_write_b32 a13, v15
	s_mov_b64 exec, s[24:25]
	s_cbranch_execz .LBB17_192
; %bb.54:                               ;   in Loop: Header=BB17_47 Depth=1
	s_and_saveexec_b64 s[24:25], s[0:1]
	s_cbranch_execz .LBB17_56
; %bb.55:                               ;   in Loop: Header=BB17_47 Depth=1
	s_trap 2
	ds_read_b64 v[2:3], v0
	v_accvgpr_read_b32 v5, a1
	v_accvgpr_read_b32 v4, a0
	v_mov_b32_e32 v50, v51
	s_waitcnt lgkmcnt(0)
	v_lshl_add_u64 v[2:3], v[4:5], 1, v[2:3]
	v_lshl_add_u64 v[0:1], v[0:1], 1, v[2:3]
	ds_write_b64 v0, v[0:1]
	ds_write_b64 v0, v[50:51]
.LBB17_56:                              ;   in Loop: Header=BB17_47 Depth=1
	s_or_b64 exec, exec, s[24:25]
	v_and_b32_e32 v0, 8, v57
	v_cmp_ne_u32_e32 vcc, 0, v0
	s_mov_b64 s[30:31], -1
	s_and_saveexec_b64 s[24:25], vcc
	s_cbranch_execz .LBB17_68
; %bb.57:                               ;   in Loop: Header=BB17_47 Depth=1
	v_accvgpr_read_b32 v0, a10
	v_accvgpr_read_b32 v1, a11
	v_lshl_add_u64 v[2:3], v[38:39], 0, 8
	v_lshl_add_u64 v[0:1], v[0:1], 0, 4
	v_cmp_lt_u64_e32 vcc, v[2:3], v[0:1]
	v_mov_b32_e32 v2, 1
	s_and_saveexec_b64 s[30:31], vcc
	s_cbranch_execz .LBB17_67
; %bb.58:                               ;   in Loop: Header=BB17_47 Depth=1
	s_mov_b64 s[54:55], 0
	v_mov_b32_e32 v2, 0
                                        ; implicit-def: $sgpr56_sgpr57
	s_branch .LBB17_62
.LBB17_59:                              ;   in Loop: Header=BB17_62 Depth=2
	s_or_b64 exec, exec, s[64:65]
	v_mov_b32_e32 v4, 0
	s_orn2_b64 s[62:63], s[62:63], exec
.LBB17_60:                              ;   in Loop: Header=BB17_62 Depth=2
	s_or_b64 exec, exec, s[60:61]
	s_andn2_b64 vcc, s[56:57], exec
	s_and_b64 s[56:57], s[62:63], exec
	s_or_b64 s[56:57], vcc, s[56:57]
	v_mov_b32_e32 v2, v4
.LBB17_61:                              ;   in Loop: Header=BB17_62 Depth=2
	s_or_b64 exec, exec, s[58:59]
	s_waitcnt vmcnt(0) lgkmcnt(0)
	v_lshl_add_u64 v[4:5], v[38:39], 0, 8
	v_cmp_ge_u64_e32 vcc, v[4:5], v[0:1]
	s_xor_b64 s[58:59], s[56:57], -1
	s_or_b64 vcc, s[58:59], vcc
	s_and_b64 vcc, exec, vcc
	s_or_b64 s[54:55], vcc, s[54:55]
	s_andn2_b64 exec, exec, s[54:55]
	s_cbranch_execz .LBB17_66
.LBB17_62:                              ;   Parent Loop BB17_47 Depth=1
                                        ; =>  This Inner Loop Header: Depth=2
	s_sleep 1
	flat_load_dwordx2 v[38:39], v[46:47] sc0 sc1
	v_and_b32_e32 v3, 64, v57
	v_cmp_eq_u32_e32 vcc, 0, v3
	s_andn2_b64 s[56:57], s[56:57], exec
	s_and_saveexec_b64 s[58:59], vcc
	s_cbranch_execz .LBB17_61
; %bb.63:                               ;   in Loop: Header=BB17_62 Depth=2
	v_add_u32_e32 v4, 1, v2
	v_cmp_lt_i32_e32 vcc, s84, v2
	s_mov_b64 s[62:63], -1
	s_and_saveexec_b64 s[60:61], vcc
	s_cbranch_execz .LBB17_60
; %bb.64:                               ;   in Loop: Header=BB17_62 Depth=2
	s_trap 2
	ds_read_b64 v[2:3], v0
	s_waitcnt vmcnt(0) lgkmcnt(0)
	flat_load_dword v2, v[2:3] sc0 sc1
	s_waitcnt vmcnt(0) lgkmcnt(0)
	buffer_inv sc0 sc1
	v_cmp_ne_u32_e32 vcc, 0, v2
	s_and_saveexec_b64 s[64:65], vcc
	s_cbranch_execz .LBB17_59
; %bb.65:                               ;   in Loop: Header=BB17_62 Depth=2
	v_or_b32_e32 v57, 64, v57
	s_xor_b64 s[62:63], exec, -1
	ds_write_b32 v0, v2
	s_trap 2
	s_branch .LBB17_59
.LBB17_66:                              ;   in Loop: Header=BB17_47 Depth=1
	s_or_b64 exec, exec, s[54:55]
	v_and_b32_e32 v2, 8, v57
.LBB17_67:                              ;   in Loop: Header=BB17_47 Depth=1
	s_or_b64 exec, exec, s[30:31]
	v_cmp_eq_u32_e32 vcc, 0, v2
	s_orn2_b64 s[30:31], vcc, exec
	;;#ASMSTART
	s_wakeup
	;;#ASMEND
.LBB17_68:                              ;   in Loop: Header=BB17_47 Depth=1
	s_or_b64 exec, exec, s[24:25]
	s_xor_b64 s[24:25], s[30:31], -1
	v_min_i32_e32 v6, v6, v10
	s_and_saveexec_b64 s[30:31], s[24:25]
	s_cbranch_execz .LBB17_78
; %bb.69:                               ;   in Loop: Header=BB17_47 Depth=1
	v_and_b32_e32 v0, 0x100, v57
	v_cmp_ne_u32_e32 vcc, 0, v0
	v_accvgpr_read_b32 v0, a10
	v_accvgpr_read_b32 v1, a11
	v_and_b32_e32 v2, 7, v0
	s_mov_b64 s[24:25], -1
                                        ; implicit-def: $vgpr0_vgpr1
	s_and_saveexec_b64 s[54:55], vcc
	s_cbranch_execz .LBB17_73
; %bb.70:                               ;   in Loop: Header=BB17_47 Depth=1
	v_accvgpr_read_b32 v0, a32
	v_accvgpr_read_b32 v1, a33
	v_mad_u64_u32 v[4:5], s[24:25], v2, 24, v[0:1]
	flat_load_dword v3, v[4:5]
	v_ashrrev_i32_e32 v7, 31, v6
	v_lshlrev_b64 v[0:1], 1, v[6:7]
	flat_store_dwordx2 v[4:5], v[0:1] offset:8
                                        ; implicit-def: $vgpr0_vgpr1
	s_waitcnt vmcnt(0) lgkmcnt(0)
	v_cmp_ne_u32_e32 vcc, 1, v3
	v_cmp_eq_u32_e64 s[24:25], 1, v3
	s_and_saveexec_b64 s[56:57], s[24:25]
	s_cbranch_execz .LBB17_72
; %bb.71:                               ;   in Loop: Header=BB17_47 Depth=1
	flat_load_dword v0, v[4:5] offset:4 sc0 sc1
	s_waitcnt vmcnt(0) lgkmcnt(0)
	v_ashrrev_i32_e32 v1, 31, v0
	v_lshrrev_b64 v[0:1], 1, v[0:1]
.LBB17_72:                              ;   in Loop: Header=BB17_47 Depth=1
	s_or_b64 exec, exec, s[56:57]
	s_orn2_b64 s[24:25], vcc, exec
.LBB17_73:                              ;   in Loop: Header=BB17_47 Depth=1
	s_or_b64 exec, exec, s[54:55]
	s_and_saveexec_b64 vcc, s[24:25]
; %bb.74:                               ;   in Loop: Header=BB17_47 Depth=1
	v_accvgpr_read_b32 v0, a20
	v_mad_i64_i32 v[0:1], s[24:25], v2, v0, 0
; %bb.75:                               ;   in Loop: Header=BB17_47 Depth=1
	s_or_b64 exec, exec, vcc
	v_lshl_add_u64 v[0:1], v[0:1], 1, v[34:35]
	ds_write_b64 v0, v[0:1] offset:784
	v_and_b32_e32 v0, 0x2000, v57
	v_cmp_ne_u32_e32 vcc, 0, v0
	s_and_saveexec_b64 s[24:25], vcc
	s_cbranch_execz .LBB17_77
; %bb.76:                               ;   in Loop: Header=BB17_47 Depth=1
	ds_read_b64 v[0:1], v0 offset:584
	s_waitcnt lgkmcnt(0)
	v_lshl_add_u64 v[0:1], v[0:1], 0, 1
	ds_write_b64 v0, v[0:1] offset:584
.LBB17_77:                              ;   in Loop: Header=BB17_47 Depth=1
	s_or_b64 exec, exec, s[24:25]
	v_accvgpr_read_b32 v0, a10
	v_accvgpr_read_b32 v1, a11
	v_lshl_add_u64 v[0:1], v[0:1], 0, 4
	v_accvgpr_write_b32 a11, v1
	v_accvgpr_write_b32 a10, v0
.LBB17_78:                              ;   in Loop: Header=BB17_47 Depth=1
	s_or_b64 exec, exec, s[30:31]
	s_and_saveexec_b64 s[24:25], s[6:7]
	s_cbranch_execz .LBB17_97
; %bb.79:                               ;   in Loop: Header=BB17_47 Depth=1
	s_and_saveexec_b64 vcc, s[40:41]
	s_xor_b64 s[30:31], exec, vcc
	s_cbranch_execz .LBB17_94
; %bb.80:                               ;   in Loop: Header=BB17_47 Depth=1
	s_and_saveexec_b64 s[54:55], s[14:15]
	s_cbranch_execz .LBB17_93
; %bb.81:                               ;   in Loop: Header=BB17_47 Depth=1
	s_mov_b64 s[58:59], exec
	v_mbcnt_lo_u32_b32 v0, s58, 0
	v_mbcnt_hi_u32_b32 v0, s59, v0
	v_cmp_eq_u32_e32 vcc, 0, v0
	s_waitcnt lgkmcnt(0)
	s_and_saveexec_b64 s[56:57], vcc
	s_cbranch_execz .LBB17_83
; %bb.82:                               ;   in Loop: Header=BB17_47 Depth=1
	s_bcnt1_i32_b64 vcc_lo, s[58:59]
	v_mov_b32_e32 v50, vcc_lo
	ds_add_u64 v0, v[50:51]
	s_trap 2
.LBB17_83:                              ;   in Loop: Header=BB17_47 Depth=1
	s_or_b64 exec, exec, s[56:57]
	s_trap 2
	ds_read_b64 v[0:1], v0
	v_lshl_add_u64 v[48:49], v[48:49], 0, v[32:33]
	s_waitcnt lgkmcnt(0)
	v_cmp_lt_u64_e32 vcc, v[0:1], v[48:49]
	s_and_saveexec_b64 s[56:57], vcc
	s_cbranch_execz .LBB17_92
; %bb.84:                               ;   in Loop: Header=BB17_47 Depth=1
	s_mov_b32 s68, 0
	s_mov_b64 s[58:59], 0
                                        ; implicit-def: $sgpr60_sgpr61
                                        ; implicit-def: $sgpr62_sgpr63
	s_branch .LBB17_86
.LBB17_85:                              ;   in Loop: Header=BB17_86 Depth=2
	s_or_b64 exec, exec, s[66:67]
	s_and_b64 vcc, exec, vcc
	s_or_b64 s[58:59], vcc, s[58:59]
	s_andn2_b64 vcc, s[60:61], exec
	s_and_b64 s[60:61], s[62:63], exec
	s_or_b64 s[60:61], vcc, s[60:61]
	s_andn2_b64 exec, exec, s[58:59]
	s_cbranch_execz .LBB17_90
.LBB17_86:                              ;   Parent Loop BB17_47 Depth=1
                                        ; =>  This Inner Loop Header: Depth=2
	s_add_i32 s68, s68, 1
	s_cmpk_lg_i32 s68, 0x2710
	s_cselect_b64 s[64:65], -1, 0
	s_and_b64 vcc, exec, s[64:65]
                                        ; implicit-def: $sgpr66_sgpr67
	s_cbranch_vccnz .LBB17_88
; %bb.87:                               ;   in Loop: Header=BB17_86 Depth=2
	s_trap 2
	ds_read_b64 v[0:1], v0
	s_andn2_b64 s[64:65], s[64:65], exec
	s_mov_b32 s68, 0
	s_mov_b64 s[66:67], -1
	s_waitcnt vmcnt(0) lgkmcnt(0)
	flat_load_dword v0, v[0:1] sc0 sc1
	s_waitcnt vmcnt(0) lgkmcnt(0)
	buffer_inv sc0 sc1
	v_cmp_eq_u32_e32 vcc, 0, v0
	s_and_b64 vcc, vcc, exec
	s_or_b64 s[64:65], s[64:65], vcc
.LBB17_88:                              ;   in Loop: Header=BB17_86 Depth=2
	s_andn2_b64 s[62:63], s[62:63], exec
	s_and_b64 s[66:67], s[66:67], exec
	s_mov_b64 vcc, -1
	s_or_b64 s[62:63], s[62:63], s[66:67]
	s_and_saveexec_b64 s[66:67], s[64:65]
	s_cbranch_execz .LBB17_85
; %bb.89:                               ;   in Loop: Header=BB17_86 Depth=2
	s_sleep 1
	s_trap 2
	ds_read_b64 v[0:1], v0
	s_andn2_b64 s[62:63], s[62:63], exec
	s_waitcnt lgkmcnt(0)
	v_cmp_ge_u64_e32 vcc, v[0:1], v[48:49]
	s_orn2_b64 vcc, vcc, exec
	s_branch .LBB17_85
.LBB17_90:                              ;   in Loop: Header=BB17_47 Depth=1
	s_or_b64 exec, exec, s[58:59]
	s_and_saveexec_b64 vcc, s[60:61]
	s_xor_b64 vcc, exec, vcc
	s_cbranch_execz .LBB17_92
; %bb.91:                               ;   in Loop: Header=BB17_47 Depth=1
	ds_write_b32 v0, v24
	s_trap 2
.LBB17_92:                              ;   in Loop: Header=BB17_47 Depth=1
	s_or_b64 exec, exec, s[56:57]
	;;#ASMSTART
	s_wakeup
	;;#ASMEND
.LBB17_93:                              ;   in Loop: Header=BB17_47 Depth=1
	s_or_b64 exec, exec, s[54:55]
.LBB17_94:                              ;   in Loop: Header=BB17_47 Depth=1
	s_andn2_saveexec_b64 vcc, s[30:31]
	s_cbranch_execz .LBB17_96
; %bb.95:                               ;   in Loop: Header=BB17_47 Depth=1
	s_waitcnt lgkmcnt(0)
	s_barrier
.LBB17_96:                              ;   in Loop: Header=BB17_47 Depth=1
	s_or_b64 exec, exec, vcc
.LBB17_97:                              ;   in Loop: Header=BB17_47 Depth=1
	s_or_b64 exec, exec, s[24:25]
	s_trap 2
	ds_read_b32 v0, v0
	v_and_b32_e32 v1, 0x4000, v57
	v_cmp_ne_u32_e32 vcc, 0, v1
	s_xor_b64 s[24:25], s[4:5], -1
	s_and_b64 vcc, s[24:25], vcc
	s_and_saveexec_b64 s[24:25], vcc
	s_cbranch_execz .LBB17_116
; %bb.98:                               ;   in Loop: Header=BB17_47 Depth=1
	s_and_saveexec_b64 vcc, s[40:41]
	s_xor_b64 s[30:31], exec, vcc
	s_cbranch_execz .LBB17_113
; %bb.99:                               ;   in Loop: Header=BB17_47 Depth=1
	s_and_saveexec_b64 s[54:55], s[14:15]
	s_cbranch_execz .LBB17_112
; %bb.100:                              ;   in Loop: Header=BB17_47 Depth=1
	s_mov_b64 s[58:59], exec
	v_mbcnt_lo_u32_b32 v1, s58, 0
	v_mbcnt_hi_u32_b32 v1, s59, v1
	v_cmp_eq_u32_e32 vcc, 0, v1
	s_waitcnt lgkmcnt(0)
	s_and_saveexec_b64 s[56:57], vcc
	s_cbranch_execz .LBB17_102
; %bb.101:                              ;   in Loop: Header=BB17_47 Depth=1
	s_bcnt1_i32_b64 vcc_lo, s[58:59]
	v_mov_b32_e32 v50, vcc_lo
	ds_add_u64 v0, v[50:51]
	s_trap 2
.LBB17_102:                             ;   in Loop: Header=BB17_47 Depth=1
	s_or_b64 exec, exec, s[56:57]
	s_trap 2
	ds_read_b64 v[2:3], v0
	v_lshl_add_u64 v[48:49], v[48:49], 0, v[32:33]
	s_waitcnt lgkmcnt(0)
	v_cmp_lt_u64_e32 vcc, v[2:3], v[48:49]
	s_and_saveexec_b64 s[56:57], vcc
	s_cbranch_execz .LBB17_111
; %bb.103:                              ;   in Loop: Header=BB17_47 Depth=1
	s_mov_b32 s68, 0
	s_mov_b64 s[58:59], 0
                                        ; implicit-def: $sgpr60_sgpr61
                                        ; implicit-def: $sgpr62_sgpr63
	s_branch .LBB17_105
.LBB17_104:                             ;   in Loop: Header=BB17_105 Depth=2
	s_or_b64 exec, exec, s[66:67]
	s_and_b64 vcc, exec, vcc
	s_or_b64 s[58:59], vcc, s[58:59]
	s_andn2_b64 vcc, s[60:61], exec
	s_and_b64 s[60:61], s[62:63], exec
	s_or_b64 s[60:61], vcc, s[60:61]
	s_andn2_b64 exec, exec, s[58:59]
	s_cbranch_execz .LBB17_109
.LBB17_105:                             ;   Parent Loop BB17_47 Depth=1
                                        ; =>  This Inner Loop Header: Depth=2
	s_add_i32 s68, s68, 1
	s_cmpk_lg_i32 s68, 0x2710
	s_cselect_b64 s[64:65], -1, 0
	s_and_b64 vcc, exec, s[64:65]
                                        ; implicit-def: $sgpr66_sgpr67
	s_cbranch_vccnz .LBB17_107
; %bb.106:                              ;   in Loop: Header=BB17_105 Depth=2
	s_trap 2
	ds_read_b64 v[2:3], v0
	s_andn2_b64 s[64:65], s[64:65], exec
	s_mov_b32 s68, 0
	s_mov_b64 s[66:67], -1
	s_waitcnt vmcnt(0) lgkmcnt(0)
	flat_load_dword v1, v[2:3] sc0 sc1
	s_waitcnt vmcnt(0) lgkmcnt(0)
	buffer_inv sc0 sc1
	v_cmp_eq_u32_e32 vcc, 0, v1
	s_and_b64 vcc, vcc, exec
	s_or_b64 s[64:65], s[64:65], vcc
.LBB17_107:                             ;   in Loop: Header=BB17_105 Depth=2
	s_andn2_b64 s[62:63], s[62:63], exec
	s_and_b64 s[66:67], s[66:67], exec
	s_mov_b64 vcc, -1
	s_or_b64 s[62:63], s[62:63], s[66:67]
	s_and_saveexec_b64 s[66:67], s[64:65]
	s_cbranch_execz .LBB17_104
; %bb.108:                              ;   in Loop: Header=BB17_105 Depth=2
	s_sleep 1
	s_trap 2
	ds_read_b64 v[2:3], v0
	s_andn2_b64 s[62:63], s[62:63], exec
	s_waitcnt lgkmcnt(0)
	v_cmp_ge_u64_e32 vcc, v[2:3], v[48:49]
	s_orn2_b64 vcc, vcc, exec
	s_branch .LBB17_104
.LBB17_109:                             ;   in Loop: Header=BB17_47 Depth=1
	s_or_b64 exec, exec, s[58:59]
	s_and_saveexec_b64 vcc, s[60:61]
	s_xor_b64 vcc, exec, vcc
	s_cbranch_execz .LBB17_111
; %bb.110:                              ;   in Loop: Header=BB17_47 Depth=1
	ds_write_b32 v0, v24
	s_trap 2
.LBB17_111:                             ;   in Loop: Header=BB17_47 Depth=1
	s_or_b64 exec, exec, s[56:57]
	;;#ASMSTART
	s_wakeup
	;;#ASMEND
.LBB17_112:                             ;   in Loop: Header=BB17_47 Depth=1
	s_or_b64 exec, exec, s[54:55]
.LBB17_113:                             ;   in Loop: Header=BB17_47 Depth=1
	s_andn2_saveexec_b64 vcc, s[30:31]
	s_cbranch_execz .LBB17_115
; %bb.114:                              ;   in Loop: Header=BB17_47 Depth=1
	s_waitcnt lgkmcnt(0)
	s_barrier
.LBB17_115:                             ;   in Loop: Header=BB17_47 Depth=1
	s_or_b64 exec, exec, vcc
.LBB17_116:                             ;   in Loop: Header=BB17_47 Depth=1
	s_or_b64 exec, exec, s[24:25]
	s_trap 2
	s_waitcnt lgkmcnt(0)
	ds_read_b64 v[2:3], v0
	s_waitcnt lgkmcnt(0)
	v_readfirstlane_b32 s24, v2
	v_readfirstlane_b32 s25, v3
	s_cmp_eq_u64 s[24:25], 0
	s_cselect_b64 s[24:25], -1, 0
	s_or_b64 vcc, s[24:25], s[24:25]
	s_mov_b64 s[24:25], 0
	s_and_b64 vcc, exec, vcc
	s_cbranch_vccnz .LBB17_123
; %bb.117:                              ;   in Loop: Header=BB17_47 Depth=1
	s_mov_b64 s[24:25], -1
	s_and_saveexec_b64 s[30:31], s[16:17]
	s_cbranch_execz .LBB17_119
; %bb.118:                              ;   in Loop: Header=BB17_47 Depth=1
	ds_read_b32 v1, v0 offset:720
	s_waitcnt lgkmcnt(0)
	v_and_b32_e32 v1, 15, v1
	v_cmp_eq_u32_e32 vcc, 0, v1
	s_orn2_b64 s[24:25], vcc, exec
.LBB17_119:                             ;   in Loop: Header=BB17_47 Depth=1
	s_or_b64 exec, exec, s[30:31]
	s_and_saveexec_b64 s[30:31], s[18:19]
	s_cbranch_execz .LBB17_121
; %bb.120:                              ;   in Loop: Header=BB17_47 Depth=1
	ds_read_b32 v1, v0 offset:784
	s_waitcnt lgkmcnt(0)
	v_and_b32_e32 v1, 15, v1
	v_cmp_eq_u32_e32 vcc, 0, v1
	s_and_b64 vcc, s[24:25], vcc
	s_andn2_b64 s[24:25], s[24:25], exec
	s_and_b64 vcc, vcc, exec
	s_or_b64 s[24:25], s[24:25], vcc
.LBB17_121:                             ;   in Loop: Header=BB17_47 Depth=1
	s_or_b64 exec, exec, s[30:31]
	v_cmp_eq_u32_e32 vcc, 0, v0
	s_xor_b64 s[24:25], s[24:25], -1
	v_cndmask_b32_e64 v0, 0, 1, s[24:25]
	v_cndmask_b32_e32 v2, 0, v6, vcc
	v_mov_b32_e32 v11, 0
	v_lshlrev_b32_e32 v7, 1, v2
	s_mov_b64 s[54:55], -1
	;;#ASMSTART
	;;#ASMEND
	s_nop 0
	v_cmp_ne_u32_e32 vcc, 0, v0
	s_cbranch_vccz .LBB17_129
; %bb.122:                              ;   in Loop: Header=BB17_47 Depth=1
	v_accvgpr_read_b32 v12, a41
	v_mov_b32_e32 v4, v29
	s_and_saveexec_b64 s[24:25], s[54:55]
	s_cbranch_execnz .LBB17_142
	s_branch .LBB17_150
.LBB17_123:                             ;   in Loop: Header=BB17_47 Depth=1
	s_and_saveexec_b64 s[30:31], s[6:7]
	s_cbranch_execnz .LBB17_151
.LBB17_124:                             ;   in Loop: Header=BB17_47 Depth=1
	s_or_b64 exec, exec, s[30:31]
                                        ; implicit-def: $vgpr0
	s_and_saveexec_b64 vcc, s[22:23]
	s_xor_b64 s[30:31], exec, vcc
	s_cbranch_execz .LBB17_169
.LBB17_125:                             ;   in Loop: Header=BB17_47 Depth=1
	v_and_b32_e32 v1, 16, v57
	v_cmp_ne_u32_e32 vcc, 0, v1
	v_and_b32_e32 v0, 16, v57
	s_and_b64 vcc, vcc, s[24:25]
	s_and_saveexec_b64 s[24:25], vcc
	s_cbranch_execz .LBB17_127
; %bb.126:                              ;   in Loop: Header=BB17_47 Depth=1
	v_mov_b32_e32 v0, 1
	buffer_wbl2 sc1
	s_waitcnt vmcnt(0) lgkmcnt(0)
	buffer_inv sc1
.LBB17_127:                             ;   in Loop: Header=BB17_47 Depth=1
	s_or_b64 exec, exec, s[24:25]
	s_andn2_saveexec_b64 s[24:25], s[30:31]
	s_cbranch_execnz .LBB17_170
.LBB17_128:                             ;   in Loop: Header=BB17_47 Depth=1
	s_or_b64 exec, exec, s[24:25]
	v_cmp_ne_u32_e32 vcc, 0, v0
	s_and_saveexec_b64 s[24:25], vcc
	s_cbranch_execnz .LBB17_188
	s_branch .LBB17_191
.LBB17_129:                             ;   in Loop: Header=BB17_47 Depth=1
	v_ashrrev_i32_e32 v0, 31, v7
	v_lshrrev_b32_e32 v0, 19, v0
	v_add_u32_e32 v0, v7, v0
	v_ashrrev_i32_e32 v8, 13, v0
	v_sub_u32_e32 v9, v8, v29
	v_cmp_lt_i32_e32 vcc, 0, v9
	s_and_saveexec_b64 s[30:31], vcc
	s_cbranch_execz .LBB17_133
; %bb.130:                              ;   in Loop: Header=BB17_47 Depth=1
	s_trap 2
	ds_read_b64 v[0:1], v0
	v_accvgpr_write_b32 a14, v48
	v_accvgpr_write_b32 a4, v38
	v_mov_b32_e32 v3, v51
	v_accvgpr_write_b32 a15, v49
	v_accvgpr_write_b32 a5, v39
	s_mov_b64 s[54:55], 0
	s_waitcnt lgkmcnt(0)
	v_mov_b64_e32 v[4:5], v[0:1]
	v_mov_b64_e32 v[44:45], v[32:33]
	;; [unrolled: 1-line block ×3, first 2 shown]
.LBB17_131:                             ;   Parent Loop BB17_47 Depth=1
                                        ; =>  This Inner Loop Header: Depth=2
	s_waitcnt vmcnt(6)
	v_lshl_add_u64 v[28:29], v[18:19], 0, v[4:5]
	v_add_co_u32_e32 v48, vcc, 0x1000, v28
	global_load_dwordx4 v[12:15], v[28:29], off nt
	global_load_dwordx4 v[16:19], v[28:29], off offset:1024 nt
	global_load_dwordx4 v[20:23], v[28:29], off offset:2048 nt
	;; [unrolled: 1-line block ×3, first 2 shown]
	v_addc_co_u32_e32 v49, vcc, 0, v29, vcc
	global_load_dwordx4 v[28:31], v[48:49], off nt
	global_load_dwordx4 v[32:35], v[48:49], off offset:1024 nt
	global_load_dwordx4 v[36:39], v[48:49], off offset:2048 nt
	s_nop 0
	global_load_dwordx4 v[48:51], v[48:49], off offset:3072 nt
	s_nop 0
	scratch_load_dwordx2 v[52:53], off, s33 offset:192 ; 8-byte Folded Reload
	v_sub_u32_e32 v9, v9, v44
	v_cmp_gt_i32_e64 s[24:25], 1, v9
	v_lshl_add_u64 v[4:5], v[4:5], 0, v[60:61]
	s_or_b64 s[54:55], s[24:25], s[54:55]
	s_waitcnt vmcnt(0)
	v_lshl_add_u64 v[52:53], v[52:53], 0, v[0:1]
	global_store_dwordx4 v[52:53], v[12:15], off nt
	global_store_dwordx4 v[52:53], v[16:19], off offset:1024 nt
	scratch_load_dwordx2 v[18:19], off, s33 offset:192 ; 8-byte Folded Reload
	v_lshl_add_u64 v[0:1], v[0:1], 0, v[60:61]
	v_add_co_u32_e32 v54, vcc, 0x1000, v52
	s_nop 1
	v_addc_co_u32_e32 v55, vcc, 0, v53, vcc
	global_store_dwordx4 v[52:53], v[20:23], off offset:2048 nt
	global_store_dwordx4 v[52:53], v[24:27], off offset:3072 nt
	global_store_dwordx4 v[54:55], v[28:31], off nt
	global_store_dwordx4 v[54:55], v[32:35], off offset:1024 nt
	global_store_dwordx4 v[54:55], v[36:39], off offset:2048 nt
	;; [unrolled: 1-line block ×3, first 2 shown]
	s_andn2_b64 exec, exec, s[54:55]
	s_cbranch_execnz .LBB17_131
; %bb.132:                              ;   in Loop: Header=BB17_47 Depth=1
	s_or_b64 exec, exec, s[54:55]
	scratch_load_dword v25, off, s33 offset:208 ; 4-byte Folded Reload
	scratch_load_dwordx2 v[26:27], off, s33 offset:200 ; 8-byte Folded Reload
	scratch_load_dword v29, off, s33 offset:212 ; 4-byte Folded Reload
	v_accvgpr_mov_b32 a33, a17
	v_accvgpr_read_b32 v35, a23
	v_accvgpr_read_b32 v37, a25
	;; [unrolled: 1-line block ×6, first 2 shown]
	v_accvgpr_mov_b32 a32, a16
	v_accvgpr_read_b32 v34, a22
	v_accvgpr_read_b32 v36, a24
	;; [unrolled: 1-line block ×4, first 2 shown]
	v_mov_b32_e32 v51, v3
	v_mov_b64_e32 v[32:33], v[44:45]
	v_mov_b64_e32 v[22:23], v[60:61]
	v_accvgpr_read_b32 v17, a45
	v_accvgpr_read_b32 v21, a51
	v_mov_b32_e32 v24, 1
.LBB17_133:                             ;   in Loop: Header=BB17_47 Depth=1
	s_or_b64 exec, exec, s[30:31]
	v_lshlrev_b32_e32 v8, 13, v8
	v_cmp_ne_u32_e32 vcc, v7, v8
	s_mov_b64 s[54:55], 0
	v_mov_b32_e32 v11, 0
                                        ; implicit-def: $vgpr12
                                        ; implicit-def: $vgpr4
	s_and_saveexec_b64 s[30:31], vcc
	s_cbranch_execz .LBB17_141
; %bb.134:                              ;   in Loop: Header=BB17_47 Depth=1
	scratch_load_dword v3, off, s33 offset:216 ; 4-byte Folded Reload
	v_lshlrev_b32_e32 v1, 6, v9
	v_sub_u32_e32 v0, v7, v8
	s_waitcnt vmcnt(0)
	v_sub_u32_e32 v1, v3, v1
	v_ashrrev_i32_e32 v3, 31, v1
	v_lshrrev_b32_e32 v3, 26, v3
	v_add_u32_e32 v3, v1, v3
	v_ashrrev_i32_e32 v5, 6, v3
	v_and_b32_e32 v3, 0xffffffc0, v3
	v_sub_u32_e32 v9, v1, v3
	v_lshlrev_b32_e32 v1, 4, v9
	v_lshl_add_u32 v4, v5, 10, v1
	v_ashrrev_i32_e32 v1, 31, v0
	v_lshrrev_b32_e32 v1, 22, v1
	v_add_u32_e32 v1, v0, v1
	v_and_b32_e32 v13, 0xfffffc00, v1
	v_sub_u32_e32 v15, v0, v13
	v_ashrrev_i32_e32 v3, 10, v1
	v_cmp_lt_i32_e32 vcc, 15, v15
	v_sub_u32_e32 v11, v0, v4
	s_nop 0
	v_addc_co_u32_e64 v0, s[24:25], 0, v3, vcc
	v_sub_u32_e32 v14, v0, v5
	v_cmp_lt_i32_e64 s[24:25], 15, v11
	s_and_saveexec_b64 s[54:55], s[24:25]
	s_cbranch_execz .LBB17_138
; %bb.135:                              ;   in Loop: Header=BB17_47 Depth=1
	s_trap 2
	ds_read_b64 v[0:1], v0
	v_add_u32_e32 v4, v4, v8
	v_accvgpr_read_b32 v30, a48
	v_ashrrev_i32_e32 v5, 31, v4
	s_mov_b64 s[56:57], 0
	v_accvgpr_read_b32 v31, a49
.LBB17_136:                             ;   Parent Loop BB17_47 Depth=1
                                        ; =>  This Inner Loop Header: Depth=2
	s_waitcnt lgkmcnt(0)
	v_lshl_add_u64 v[20:21], v[0:1], 0, v[4:5]
	global_load_dwordx4 v[16:19], v[20:21], off nt
	v_sub_u32_e32 v11, v11, v56
	v_cmp_gt_i32_e64 s[24:25], 16, v11
	v_sub_u32_e32 v14, v14, v32
	v_lshl_add_u64 v[4:5], v[4:5], 0, v[30:31]
	s_or_b64 s[56:57], s[24:25], s[56:57]
	s_waitcnt vmcnt(0)
	global_store_dwordx4 v[20:21], v[16:19], off nt
	s_andn2_b64 exec, exec, s[56:57]
	s_cbranch_execnz .LBB17_136
; %bb.137:                              ;   in Loop: Header=BB17_47 Depth=1
	s_or_b64 exec, exec, s[56:57]
	scratch_load_dwordx2 v[18:19], off, s33 offset:192 ; 8-byte Folded Reload
	v_accvgpr_read_b32 v16, a44
	v_accvgpr_read_b32 v20, a50
	v_accvgpr_read_b32 v17, a45
	v_accvgpr_read_b32 v21, a51
.LBB17_138:                             ;   in Loop: Header=BB17_47 Depth=1
	s_or_b64 exec, exec, s[54:55]
	v_and_b32_e32 v0, 14, v7
	v_cndmask_b32_e32 v7, v15, v0, vcc
	v_cmp_ne_u32_e64 s[24:25], 0, v7
	s_mov_b64 s[54:55], 0
	v_mov_b32_e32 v11, 0
                                        ; implicit-def: $vgpr12
                                        ; implicit-def: $vgpr4
	s_and_saveexec_b64 s[56:57], s[24:25]
	s_cbranch_execz .LBB17_140
; %bb.139:                              ;   in Loop: Header=BB17_47 Depth=1
	v_sub_u32_e32 v0, v15, v0
	v_cndmask_b32_e32 v0, 0, v0, vcc
	v_cmp_lt_i32_e32 vcc, 0, v14
	v_add3_u32 v11, v13, v8, v0
	s_mov_b64 s[54:55], exec
	v_cndmask_b32_e32 v0, 0, v32, vcc
	v_sub_u32_e32 v0, v0, v14
	v_lshl_add_u32 v12, v0, 6, v9
	v_ashrrev_i32_e32 v0, 31, v12
	v_lshrrev_b32_e32 v0, 26, v0
	v_add_u32_e32 v0, v12, v0
	v_ashrrev_i32_e32 v4, 6, v0
.LBB17_140:                             ;   in Loop: Header=BB17_47 Depth=1
	s_or_b64 exec, exec, s[56:57]
	s_and_b64 s[54:55], s[54:55], exec
.LBB17_141:                             ;   in Loop: Header=BB17_47 Depth=1
	s_or_b64 exec, exec, s[30:31]
	s_and_saveexec_b64 s[24:25], s[54:55]
	s_cbranch_execz .LBB17_150
.LBB17_142:                             ;   in Loop: Header=BB17_47 Depth=1
	v_ashrrev_i32_e32 v0, 31, v7
	v_lshrrev_b32_e32 v0, 21, v0
	v_add_u32_e32 v0, v7, v0
	v_ashrrev_i32_e32 v15, 11, v0
	v_sub_u32_e32 v13, v15, v4
	v_ashrrev_i32_e32 v0, 31, v12
	v_cmp_lt_i32_e32 vcc, 0, v13
	v_lshrrev_b32_e32 v14, 26, v0
	s_and_saveexec_b64 s[30:31], vcc
	s_cbranch_execz .LBB17_146
; %bb.143:                              ;   in Loop: Header=BB17_47 Depth=1
	s_trap 2
	ds_read_b64 v[0:1], v0
	v_add_u32_e32 v3, v12, v14
	v_and_b32_e32 v3, 0x7fffffc0, v3
	v_sub_u32_e32 v3, v12, v3
	v_lshlrev_b32_e32 v3, 1, v3
	v_lshlrev_b32_e32 v4, 11, v4
	v_add3_u32 v4, v3, v11, v4
	v_ashrrev_i32_e32 v5, 31, v4
	s_mov_b64 s[54:55], 0
	s_waitcnt lgkmcnt(0)
	v_mov_b64_e32 v[8:9], v[0:1]
	v_mov_b64_e32 v[54:55], v[32:33]
	;; [unrolled: 1-line block ×3, first 2 shown]
.LBB17_144:                             ;   Parent Loop BB17_47 Depth=1
                                        ; =>  This Inner Loop Header: Depth=2
	v_lshl_add_u64 v[16:17], v[4:5], 0, v[8:9]
	flat_load_ushort v3, v[16:17] nt
	s_waitcnt vmcnt(0)
	flat_load_ushort v18, v[16:17] offset:128 nt
	flat_load_ushort v19, v[16:17] offset:256 nt
	;; [unrolled: 1-line block ×15, first 2 shown]
	v_sub_u32_e32 v13, v13, v54
	v_cmp_gt_i32_e32 vcc, 1, v13
	v_lshl_add_u64 v[16:17], v[4:5], 0, v[0:1]
	v_lshl_add_u64 v[8:9], v[8:9], 0, v[42:43]
	;; [unrolled: 1-line block ×3, first 2 shown]
	s_or_b64 s[54:55], vcc, s[54:55]
	s_waitcnt lgkmcnt(0)
	flat_store_short v[16:17], v3 nt
	s_waitcnt vmcnt(0)
	flat_store_short v[16:17], v18 offset:128 nt
	flat_store_short v[16:17], v19 offset:256 nt
	;; [unrolled: 1-line block ×15, first 2 shown]
	s_andn2_b64 exec, exec, s[54:55]
	s_cbranch_execnz .LBB17_144
; %bb.145:                              ;   in Loop: Header=BB17_47 Depth=1
	s_or_b64 exec, exec, s[54:55]
	scratch_load_dword v25, off, s33 offset:208 ; 4-byte Folded Reload
	scratch_load_dwordx2 v[26:27], off, s33 offset:200 ; 8-byte Folded Reload
	scratch_load_dword v29, off, s33 offset:212 ; 4-byte Folded Reload
	scratch_load_dwordx2 v[18:19], off, s33 offset:192 ; 8-byte Folded Reload
	v_accvgpr_read_b32 v22, a42
	v_accvgpr_read_b32 v20, a50
	v_mov_b64_e32 v[32:33], v[54:55]
	v_accvgpr_read_b32 v23, a43
	v_mov_b64_e32 v[16:17], v[42:43]
	v_accvgpr_read_b32 v21, a51
	v_mov_b32_e32 v24, 1
.LBB17_146:                             ;   in Loop: Header=BB17_47 Depth=1
	s_or_b64 exec, exec, s[30:31]
	v_lshlrev_b32_e32 v0, 11, v15
	v_cmp_ne_u32_e32 vcc, v7, v0
	s_and_b64 exec, exec, vcc
	s_cbranch_execz .LBB17_150
; %bb.147:                              ;   in Loop: Header=BB17_47 Depth=1
	v_add_u32_e32 v1, v12, v14
	v_and_b32_e32 v1, 0xffffffc0, v1
	v_sub_u32_e32 v1, v12, v1
	v_lshlrev_b32_e32 v3, 6, v13
	v_sub_u32_e32 v1, v1, v3
	v_ashrrev_i32_e32 v3, 31, v1
	v_lshrrev_b32_e32 v3, 26, v3
	v_add_u32_e32 v3, v1, v3
	v_and_b32_e32 v4, 0x7fffffc0, v3
	v_sub_u32_e32 v1, v1, v4
	v_lshlrev_b32_e32 v3, 1, v3
	v_and_b32_e32 v3, 0xffffff80, v3
	v_lshlrev_b32_e32 v1, 1, v1
	v_add3_u32 v4, v3, v1, v0
	v_sub_u32_e32 v7, v7, v4
	v_cmp_lt_i32_e32 vcc, 1, v7
	s_and_b64 exec, exec, vcc
	s_cbranch_execz .LBB17_150
; %bb.148:                              ;   in Loop: Header=BB17_47 Depth=1
	s_trap 2
	ds_read_b64 v[0:1], v0
	v_add_u32_e32 v4, v4, v11
	v_ashrrev_i32_e32 v5, 31, v4
	s_mov_b64 s[30:31], 0
.LBB17_149:                             ;   Parent Loop BB17_47 Depth=1
                                        ; =>  This Inner Loop Header: Depth=2
	s_waitcnt lgkmcnt(0)
	v_lshl_add_u64 v[8:9], v[0:1], 0, v[4:5]
	flat_load_ushort v3, v[8:9] nt
	s_waitcnt vmcnt(0)
	v_sub_u32_e32 v7, v7, v25
	v_cmp_gt_i32_e32 vcc, 2, v7
	v_lshl_add_u64 v[4:5], v[4:5], 0, v[20:21]
	s_or_b64 s[30:31], vcc, s[30:31]
	s_waitcnt lgkmcnt(0)
	flat_store_short v[8:9], v3 nt
	s_andn2_b64 exec, exec, s[30:31]
	s_cbranch_execnz .LBB17_149
.LBB17_150:                             ;   in Loop: Header=BB17_47 Depth=1
	s_or_b64 exec, exec, s[24:25]
	v_accvgpr_read_b32 v15, a13
	v_cmp_lt_i32_e64 s[24:25], 0, v2
	v_accvgpr_read_b32 v14, a12
	s_and_saveexec_b64 s[30:31], s[6:7]
	s_cbranch_execz .LBB17_124
.LBB17_151:                             ;   in Loop: Header=BB17_47 Depth=1
	s_and_saveexec_b64 vcc, s[40:41]
	s_xor_b64 s[54:55], exec, vcc
	s_cbranch_execz .LBB17_166
; %bb.152:                              ;   in Loop: Header=BB17_47 Depth=1
	s_and_saveexec_b64 s[56:57], s[14:15]
	s_cbranch_execz .LBB17_165
; %bb.153:                              ;   in Loop: Header=BB17_47 Depth=1
	s_mov_b64 s[60:61], exec
	v_mbcnt_lo_u32_b32 v0, s60, 0
	v_mbcnt_hi_u32_b32 v0, s61, v0
	v_cmp_eq_u32_e32 vcc, 0, v0
	s_waitcnt lgkmcnt(0)
	s_and_saveexec_b64 s[58:59], vcc
	s_cbranch_execz .LBB17_155
; %bb.154:                              ;   in Loop: Header=BB17_47 Depth=1
	s_bcnt1_i32_b64 vcc_lo, s[60:61]
	v_mov_b32_e32 v50, vcc_lo
	ds_add_u64 v0, v[50:51]
	s_trap 2
.LBB17_155:                             ;   in Loop: Header=BB17_47 Depth=1
	s_or_b64 exec, exec, s[58:59]
	s_trap 2
	ds_read_b64 v[0:1], v0
	v_lshl_add_u64 v[48:49], v[48:49], 0, v[32:33]
	s_waitcnt lgkmcnt(0)
	v_cmp_lt_u64_e32 vcc, v[0:1], v[48:49]
	s_and_saveexec_b64 s[58:59], vcc
	s_cbranch_execz .LBB17_164
; %bb.156:                              ;   in Loop: Header=BB17_47 Depth=1
	s_mov_b32 s70, 0
	s_mov_b64 s[60:61], 0
                                        ; implicit-def: $sgpr62_sgpr63
                                        ; implicit-def: $sgpr64_sgpr65
	s_branch .LBB17_158
.LBB17_157:                             ;   in Loop: Header=BB17_158 Depth=2
	s_or_b64 exec, exec, s[68:69]
	s_and_b64 vcc, exec, vcc
	s_or_b64 s[60:61], vcc, s[60:61]
	s_andn2_b64 vcc, s[62:63], exec
	s_and_b64 s[62:63], s[64:65], exec
	s_or_b64 s[62:63], vcc, s[62:63]
	s_andn2_b64 exec, exec, s[60:61]
	s_cbranch_execz .LBB17_162
.LBB17_158:                             ;   Parent Loop BB17_47 Depth=1
                                        ; =>  This Inner Loop Header: Depth=2
	s_add_i32 s70, s70, 1
	s_cmpk_lg_i32 s70, 0x2710
	s_cselect_b64 s[66:67], -1, 0
	s_and_b64 vcc, exec, s[66:67]
                                        ; implicit-def: $sgpr68_sgpr69
	s_cbranch_vccnz .LBB17_160
; %bb.159:                              ;   in Loop: Header=BB17_158 Depth=2
	s_trap 2
	ds_read_b64 v[0:1], v0
	s_andn2_b64 s[66:67], s[66:67], exec
	s_mov_b32 s70, 0
	s_mov_b64 s[68:69], -1
	s_waitcnt vmcnt(0) lgkmcnt(0)
	flat_load_dword v0, v[0:1] sc0 sc1
	s_waitcnt vmcnt(0) lgkmcnt(0)
	buffer_inv sc0 sc1
	v_cmp_eq_u32_e32 vcc, 0, v0
	s_and_b64 vcc, vcc, exec
	s_or_b64 s[66:67], s[66:67], vcc
.LBB17_160:                             ;   in Loop: Header=BB17_158 Depth=2
	s_andn2_b64 s[64:65], s[64:65], exec
	s_and_b64 s[68:69], s[68:69], exec
	s_mov_b64 vcc, -1
	s_or_b64 s[64:65], s[64:65], s[68:69]
	s_and_saveexec_b64 s[68:69], s[66:67]
	s_cbranch_execz .LBB17_157
; %bb.161:                              ;   in Loop: Header=BB17_158 Depth=2
	s_sleep 1
	s_trap 2
	ds_read_b64 v[0:1], v0
	s_andn2_b64 s[64:65], s[64:65], exec
	s_waitcnt lgkmcnt(0)
	v_cmp_ge_u64_e32 vcc, v[0:1], v[48:49]
	s_orn2_b64 vcc, vcc, exec
	s_branch .LBB17_157
.LBB17_162:                             ;   in Loop: Header=BB17_47 Depth=1
	s_or_b64 exec, exec, s[60:61]
	s_and_saveexec_b64 vcc, s[62:63]
	s_xor_b64 vcc, exec, vcc
	s_cbranch_execz .LBB17_164
; %bb.163:                              ;   in Loop: Header=BB17_47 Depth=1
	ds_write_b32 v0, v24
	s_trap 2
.LBB17_164:                             ;   in Loop: Header=BB17_47 Depth=1
	s_or_b64 exec, exec, s[58:59]
	;;#ASMSTART
	s_wakeup
	;;#ASMEND
.LBB17_165:                             ;   in Loop: Header=BB17_47 Depth=1
	s_or_b64 exec, exec, s[56:57]
.LBB17_166:                             ;   in Loop: Header=BB17_47 Depth=1
	s_andn2_saveexec_b64 vcc, s[54:55]
	s_cbranch_execz .LBB17_168
; %bb.167:                              ;   in Loop: Header=BB17_47 Depth=1
	s_waitcnt lgkmcnt(0)
	s_barrier
.LBB17_168:                             ;   in Loop: Header=BB17_47 Depth=1
	s_or_b64 exec, exec, vcc
	s_or_b64 exec, exec, s[30:31]
                                        ; implicit-def: $vgpr0
	s_and_saveexec_b64 vcc, s[22:23]
	s_xor_b64 s[30:31], exec, vcc
	s_cbranch_execnz .LBB17_125
.LBB17_169:                             ;   in Loop: Header=BB17_47 Depth=1
	s_andn2_saveexec_b64 s[24:25], s[30:31]
	s_cbranch_execz .LBB17_128
.LBB17_170:                             ;   in Loop: Header=BB17_47 Depth=1
	s_and_saveexec_b64 vcc, s[40:41]
	s_xor_b64 s[30:31], exec, vcc
	s_cbranch_execz .LBB17_185
; %bb.171:                              ;   in Loop: Header=BB17_47 Depth=1
	s_and_saveexec_b64 s[54:55], s[14:15]
	s_cbranch_execz .LBB17_184
; %bb.172:                              ;   in Loop: Header=BB17_47 Depth=1
	s_mov_b64 s[58:59], exec
	v_mbcnt_lo_u32_b32 v0, s58, 0
	v_mbcnt_hi_u32_b32 v0, s59, v0
	v_cmp_eq_u32_e32 vcc, 0, v0
	;;#ASMSTART
	s_waitcnt lgkmcnt(0) vmcnt(0)
	;;#ASMEND
	s_and_saveexec_b64 s[56:57], vcc
	s_cbranch_execz .LBB17_174
; %bb.173:                              ;   in Loop: Header=BB17_47 Depth=1
	s_bcnt1_i32_b64 vcc_lo, s[58:59]
	v_mov_b32_e32 v50, vcc_lo
	ds_add_u64 v0, v[50:51]
	s_trap 2
.LBB17_174:                             ;   in Loop: Header=BB17_47 Depth=1
	s_or_b64 exec, exec, s[56:57]
	s_trap 2
	ds_read_b64 v[0:1], v0
	v_lshl_add_u64 v[48:49], v[48:49], 0, v[32:33]
	s_waitcnt lgkmcnt(0)
	v_cmp_lt_u64_e32 vcc, v[0:1], v[48:49]
	s_and_saveexec_b64 s[56:57], vcc
	s_cbranch_execz .LBB17_183
; %bb.175:                              ;   in Loop: Header=BB17_47 Depth=1
	s_mov_b32 s68, 0
	s_mov_b64 s[58:59], 0
                                        ; implicit-def: $sgpr60_sgpr61
                                        ; implicit-def: $sgpr62_sgpr63
	s_branch .LBB17_177
.LBB17_176:                             ;   in Loop: Header=BB17_177 Depth=2
	s_or_b64 exec, exec, s[66:67]
	s_and_b64 vcc, exec, vcc
	s_or_b64 s[58:59], vcc, s[58:59]
	s_andn2_b64 vcc, s[60:61], exec
	s_and_b64 s[60:61], s[62:63], exec
	s_or_b64 s[60:61], vcc, s[60:61]
	s_andn2_b64 exec, exec, s[58:59]
	s_cbranch_execz .LBB17_181
.LBB17_177:                             ;   Parent Loop BB17_47 Depth=1
                                        ; =>  This Inner Loop Header: Depth=2
	s_add_i32 s68, s68, 1
	s_cmpk_lg_i32 s68, 0x2710
	s_cselect_b64 s[64:65], -1, 0
	s_and_b64 vcc, exec, s[64:65]
                                        ; implicit-def: $sgpr66_sgpr67
	s_cbranch_vccnz .LBB17_179
; %bb.178:                              ;   in Loop: Header=BB17_177 Depth=2
	s_trap 2
	ds_read_b64 v[0:1], v0
	s_andn2_b64 s[64:65], s[64:65], exec
	s_mov_b32 s68, 0
	s_mov_b64 s[66:67], -1
	s_waitcnt vmcnt(0) lgkmcnt(0)
	flat_load_dword v0, v[0:1] sc0 sc1
	s_waitcnt vmcnt(0) lgkmcnt(0)
	buffer_inv sc0 sc1
	v_cmp_eq_u32_e32 vcc, 0, v0
	s_and_b64 vcc, vcc, exec
	s_or_b64 s[64:65], s[64:65], vcc
.LBB17_179:                             ;   in Loop: Header=BB17_177 Depth=2
	s_andn2_b64 s[62:63], s[62:63], exec
	s_and_b64 s[66:67], s[66:67], exec
	s_mov_b64 vcc, -1
	s_or_b64 s[62:63], s[62:63], s[66:67]
	s_and_saveexec_b64 s[66:67], s[64:65]
	s_cbranch_execz .LBB17_176
; %bb.180:                              ;   in Loop: Header=BB17_177 Depth=2
	s_sleep 1
	s_trap 2
	ds_read_b64 v[0:1], v0
	s_andn2_b64 s[62:63], s[62:63], exec
	s_waitcnt lgkmcnt(0)
	v_cmp_ge_u64_e32 vcc, v[0:1], v[48:49]
	s_orn2_b64 vcc, vcc, exec
	s_branch .LBB17_176
.LBB17_181:                             ;   in Loop: Header=BB17_47 Depth=1
	s_or_b64 exec, exec, s[58:59]
	s_and_saveexec_b64 vcc, s[60:61]
	s_xor_b64 vcc, exec, vcc
	s_cbranch_execz .LBB17_183
; %bb.182:                              ;   in Loop: Header=BB17_47 Depth=1
	ds_write_b32 v0, v24
	s_trap 2
.LBB17_183:                             ;   in Loop: Header=BB17_47 Depth=1
	s_or_b64 exec, exec, s[56:57]
	;;#ASMSTART
	s_wakeup
	;;#ASMEND
.LBB17_184:                             ;   in Loop: Header=BB17_47 Depth=1
	s_or_b64 exec, exec, s[54:55]
.LBB17_185:                             ;   in Loop: Header=BB17_47 Depth=1
	s_andn2_saveexec_b64 vcc, s[30:31]
	s_cbranch_execz .LBB17_187
; %bb.186:                              ;   in Loop: Header=BB17_47 Depth=1
	;;#ASMSTART
	s_waitcnt lgkmcnt(0) vmcnt(0)
	;;#ASMEND
	s_barrier
.LBB17_187:                             ;   in Loop: Header=BB17_47 Depth=1
	s_or_b64 exec, exec, vcc
	v_and_b32_e32 v0, 16, v57
	s_or_b64 exec, exec, s[24:25]
	v_cmp_ne_u32_e32 vcc, 0, v0
	s_and_saveexec_b64 s[24:25], vcc
	s_cbranch_execz .LBB17_191
.LBB17_188:                             ;   in Loop: Header=BB17_47 Depth=1
	s_and_saveexec_b64 vcc, s[12:13]
	s_cbranch_execz .LBB17_190
; %bb.189:                              ;   in Loop: Header=BB17_47 Depth=1
	flat_store_dword v[36:37], v24 sc0 sc1
.LBB17_190:                             ;   in Loop: Header=BB17_47 Depth=1
	s_or_b64 exec, exec, vcc
	v_accvgpr_read_b32 v0, a10
	v_accvgpr_read_b32 v1, a11
	v_lshl_add_u64 v[0:1], v[0:1], 0, 4
	v_accvgpr_write_b32 a11, v1
	v_accvgpr_write_b32 a10, v0
	flat_store_dwordx2 v[46:47], v[0:1] sc0 sc1
.LBB17_191:                             ;   in Loop: Header=BB17_47 Depth=1
	s_or_b64 exec, exec, s[24:25]
	v_mov_b32_e32 v2, v6
.LBB17_192:                             ;   in Loop: Header=BB17_47 Depth=1
	s_or_b64 exec, exec, s[28:29]
	s_and_saveexec_b64 s[28:29], s[26:27]
	s_cbranch_execz .LBB17_262
; %bb.193:                              ;   in Loop: Header=BB17_47 Depth=1
	v_and_b32_e32 v0, 8, v57
	v_cmp_ne_u32_e32 vcc, 0, v0
	s_mov_b64 s[26:27], -1
	s_and_saveexec_b64 s[24:25], vcc
	s_cbranch_execz .LBB17_205
; %bb.194:                              ;   in Loop: Header=BB17_47 Depth=1
	v_accvgpr_read_b32 v0, a10
	v_accvgpr_read_b32 v1, a11
	v_lshl_add_u64 v[4:5], v[38:39], 0, 8
	v_lshl_add_u64 v[0:1], v[0:1], 0, 4
	v_cmp_lt_u64_e32 vcc, v[4:5], v[0:1]
	v_mov_b32_e32 v4, 1
	s_and_saveexec_b64 s[26:27], vcc
	s_cbranch_execz .LBB17_204
; %bb.195:                              ;   in Loop: Header=BB17_47 Depth=1
	s_mov_b64 s[30:31], 0
	v_mov_b32_e32 v4, 0
                                        ; implicit-def: $sgpr54_sgpr55
	s_branch .LBB17_199
.LBB17_196:                             ;   in Loop: Header=BB17_199 Depth=2
	s_or_b64 exec, exec, s[62:63]
	v_mov_b32_e32 v5, 0
	s_orn2_b64 s[60:61], s[60:61], exec
.LBB17_197:                             ;   in Loop: Header=BB17_199 Depth=2
	s_or_b64 exec, exec, s[58:59]
	s_andn2_b64 vcc, s[54:55], exec
	s_and_b64 s[54:55], s[60:61], exec
	s_or_b64 s[54:55], vcc, s[54:55]
	v_mov_b32_e32 v4, v5
.LBB17_198:                             ;   in Loop: Header=BB17_199 Depth=2
	s_or_b64 exec, exec, s[56:57]
	s_waitcnt vmcnt(0) lgkmcnt(0)
	v_lshl_add_u64 v[8:9], v[38:39], 0, 8
	v_cmp_ge_u64_e32 vcc, v[8:9], v[0:1]
	s_xor_b64 s[56:57], s[54:55], -1
	s_or_b64 vcc, s[56:57], vcc
	s_and_b64 vcc, exec, vcc
	s_or_b64 s[30:31], vcc, s[30:31]
	s_andn2_b64 exec, exec, s[30:31]
	s_cbranch_execz .LBB17_203
.LBB17_199:                             ;   Parent Loop BB17_47 Depth=1
                                        ; =>  This Inner Loop Header: Depth=2
	s_sleep 1
	flat_load_dwordx2 v[38:39], v[46:47] sc0 sc1
	v_and_b32_e32 v3, 64, v57
	v_cmp_eq_u32_e32 vcc, 0, v3
	s_andn2_b64 s[54:55], s[54:55], exec
	s_and_saveexec_b64 s[56:57], vcc
	s_cbranch_execz .LBB17_198
; %bb.200:                              ;   in Loop: Header=BB17_199 Depth=2
	v_add_u32_e32 v5, 1, v4
	v_cmp_lt_i32_e32 vcc, s84, v4
	s_mov_b64 s[60:61], -1
	s_and_saveexec_b64 s[58:59], vcc
	s_cbranch_execz .LBB17_197
; %bb.201:                              ;   in Loop: Header=BB17_199 Depth=2
	s_trap 2
	ds_read_b64 v[4:5], v0
	s_waitcnt vmcnt(0) lgkmcnt(0)
	flat_load_dword v4, v[4:5] sc0 sc1
	s_waitcnt vmcnt(0) lgkmcnt(0)
	buffer_inv sc0 sc1
	v_cmp_ne_u32_e32 vcc, 0, v4
	s_and_saveexec_b64 s[62:63], vcc
	s_cbranch_execz .LBB17_196
; %bb.202:                              ;   in Loop: Header=BB17_199 Depth=2
	v_or_b32_e32 v57, 64, v57
	s_xor_b64 s[60:61], exec, -1
	ds_write_b32 v0, v4
	s_trap 2
	s_branch .LBB17_196
.LBB17_203:                             ;   in Loop: Header=BB17_47 Depth=1
	s_or_b64 exec, exec, s[30:31]
	v_and_b32_e32 v4, 8, v57
.LBB17_204:                             ;   in Loop: Header=BB17_47 Depth=1
	s_or_b64 exec, exec, s[26:27]
	v_cmp_eq_u32_e32 vcc, 0, v4
	s_orn2_b64 s[26:27], vcc, exec
	;;#ASMSTART
	s_wakeup
	;;#ASMEND
.LBB17_205:                             ;   in Loop: Header=BB17_47 Depth=1
	s_or_b64 exec, exec, s[24:25]
	v_sub_u32_e32 v0, v10, v2
	s_xor_b64 s[24:25], s[26:27], -1
	v_min_i32_e32 v0, v6, v0
	s_and_saveexec_b64 s[26:27], s[24:25]
	s_cbranch_execz .LBB17_220
; %bb.206:                              ;   in Loop: Header=BB17_47 Depth=1
	v_and_b32_e32 v1, 0x100, v57
	v_accvgpr_read_b32 v2, a10
	v_cmp_ne_u32_e32 vcc, 0, v1
	v_and_b32_e32 v2, 7, v2
	s_mov_b64 s[24:25], -1
	v_accvgpr_read_b32 v3, a11
                                        ; implicit-def: $vgpr4_vgpr5
	s_and_saveexec_b64 s[30:31], vcc
	s_cbranch_execz .LBB17_210
; %bb.207:                              ;   in Loop: Header=BB17_47 Depth=1
	v_accvgpr_read_b32 v4, a32
	v_accvgpr_read_b32 v5, a33
	v_mad_u64_u32 v[6:7], s[24:25], v2, 24, v[4:5]
	flat_load_dword v3, v[6:7]
	v_ashrrev_i32_e32 v1, 31, v0
	v_lshlrev_b64 v[4:5], 1, v[0:1]
	flat_store_dwordx2 v[6:7], v[4:5] offset:8
                                        ; implicit-def: $vgpr4_vgpr5
	s_waitcnt vmcnt(0) lgkmcnt(0)
	v_cmp_ne_u32_e32 vcc, 1, v3
	v_cmp_eq_u32_e64 s[24:25], 1, v3
	s_and_saveexec_b64 s[54:55], s[24:25]
	s_cbranch_execz .LBB17_209
; %bb.208:                              ;   in Loop: Header=BB17_47 Depth=1
	flat_load_dword v4, v[6:7] offset:4 sc0 sc1
	s_waitcnt vmcnt(0) lgkmcnt(0)
	v_ashrrev_i32_e32 v5, 31, v4
	v_lshrrev_b64 v[4:5], 1, v[4:5]
.LBB17_209:                             ;   in Loop: Header=BB17_47 Depth=1
	s_or_b64 exec, exec, s[54:55]
	s_orn2_b64 s[24:25], vcc, exec
.LBB17_210:                             ;   in Loop: Header=BB17_47 Depth=1
	s_or_b64 exec, exec, s[30:31]
	s_and_saveexec_b64 vcc, s[24:25]
; %bb.211:                              ;   in Loop: Header=BB17_47 Depth=1
	v_accvgpr_read_b32 v4, a20
	v_mad_i64_i32 v[4:5], s[24:25], v2, v4, 0
; %bb.212:                              ;   in Loop: Header=BB17_47 Depth=1
	s_or_b64 exec, exec, vcc
	v_and_b32_e32 v1, 0x2000, v57
	v_lshl_add_u64 v[2:3], v[4:5], 1, v[34:35]
	v_cmp_ne_u32_e32 vcc, 0, v1
	ds_write_b64 v0, v[2:3] offset:784
	s_and_saveexec_b64 s[24:25], vcc
	s_cbranch_execz .LBB17_214
; %bb.213:                              ;   in Loop: Header=BB17_47 Depth=1
	ds_read_b64 v[2:3], v0 offset:584
	s_waitcnt lgkmcnt(0)
	v_lshl_add_u64 v[2:3], v[2:3], 0, 1
	ds_write_b64 v0, v[2:3] offset:584
.LBB17_214:                             ;   in Loop: Header=BB17_47 Depth=1
	s_or_b64 exec, exec, s[24:25]
	v_accvgpr_read_b32 v2, a10
	v_accvgpr_read_b32 v3, a11
	v_lshl_add_u64 v[2:3], v[2:3], 0, 4
	v_accvgpr_write_b32 a11, v3
	v_accvgpr_write_b32 a10, v2
	s_or_b64 exec, exec, s[26:27]
	s_and_saveexec_b64 s[24:25], s[6:7]
	s_cbranch_execnz .LBB17_221
.LBB17_215:                             ;   in Loop: Header=BB17_47 Depth=1
	s_or_b64 exec, exec, s[24:25]
                                        ; implicit-def: $vgpr1
	s_and_saveexec_b64 s[24:25], s[22:23]
	s_xor_b64 s[24:25], exec, s[24:25]
	s_cbranch_execz .LBB17_239
.LBB17_216:                             ;   in Loop: Header=BB17_47 Depth=1
	s_trap 2
	ds_read_b32 v2, v0
	v_cmp_lt_i32_e32 vcc, 0, v0
	v_and_b32_e32 v0, 16, v57
	v_and_b32_e32 v1, 16, v57
	s_waitcnt lgkmcnt(0)
	v_readfirstlane_b32 s26, v2
	s_cmp_eq_u32 s26, 0
	s_cselect_b64 s[26:27], -1, 0
	s_and_b64 s[26:27], vcc, s[26:27]
	v_cmp_ne_u32_e32 vcc, 0, v0
	s_and_b64 vcc, vcc, s[26:27]
	s_and_saveexec_b64 s[26:27], vcc
	s_cbranch_execz .LBB17_218
; %bb.217:                              ;   in Loop: Header=BB17_47 Depth=1
	v_mov_b32_e32 v1, 1
	buffer_wbl2 sc1
	s_waitcnt vmcnt(0)
	buffer_inv sc1
.LBB17_218:                             ;   in Loop: Header=BB17_47 Depth=1
	s_or_b64 exec, exec, s[26:27]
	s_andn2_saveexec_b64 s[24:25], s[24:25]
	s_cbranch_execnz .LBB17_240
.LBB17_219:                             ;   in Loop: Header=BB17_47 Depth=1
	s_or_b64 exec, exec, s[24:25]
	v_cmp_ne_u32_e32 vcc, 0, v1
	s_and_saveexec_b64 s[24:25], vcc
	s_cbranch_execnz .LBB17_258
	s_branch .LBB17_261
.LBB17_220:                             ;   in Loop: Header=BB17_47 Depth=1
	s_or_b64 exec, exec, s[26:27]
	s_and_saveexec_b64 s[24:25], s[6:7]
	s_cbranch_execz .LBB17_215
.LBB17_221:                             ;   in Loop: Header=BB17_47 Depth=1
	s_and_saveexec_b64 s[26:27], s[40:41]
	s_xor_b64 s[26:27], exec, s[26:27]
	s_cbranch_execz .LBB17_236
; %bb.222:                              ;   in Loop: Header=BB17_47 Depth=1
	s_and_saveexec_b64 s[30:31], s[14:15]
	s_cbranch_execz .LBB17_235
; %bb.223:                              ;   in Loop: Header=BB17_47 Depth=1
	s_mov_b64 s[56:57], exec
	v_mbcnt_lo_u32_b32 v1, s56, 0
	v_mbcnt_hi_u32_b32 v1, s57, v1
	v_cmp_eq_u32_e32 vcc, 0, v1
	s_waitcnt lgkmcnt(0)
	s_and_saveexec_b64 s[54:55], vcc
	s_cbranch_execz .LBB17_225
; %bb.224:                              ;   in Loop: Header=BB17_47 Depth=1
	s_bcnt1_i32_b64 vcc_lo, s[56:57]
	v_mov_b32_e32 v50, vcc_lo
	ds_add_u64 v0, v[50:51]
	s_trap 2
.LBB17_225:                             ;   in Loop: Header=BB17_47 Depth=1
	s_or_b64 exec, exec, s[54:55]
	s_trap 2
	ds_read_b64 v[2:3], v0
	v_lshl_add_u64 v[48:49], v[48:49], 0, v[32:33]
	s_waitcnt lgkmcnt(0)
	v_cmp_lt_u64_e32 vcc, v[2:3], v[48:49]
	s_and_saveexec_b64 s[54:55], vcc
	s_cbranch_execz .LBB17_234
; %bb.226:                              ;   in Loop: Header=BB17_47 Depth=1
	s_mov_b32 s66, 0
	s_mov_b64 s[56:57], 0
                                        ; implicit-def: $sgpr58_sgpr59
                                        ; implicit-def: $sgpr60_sgpr61
	s_branch .LBB17_228
.LBB17_227:                             ;   in Loop: Header=BB17_228 Depth=2
	s_or_b64 exec, exec, s[64:65]
	s_and_b64 vcc, exec, vcc
	s_or_b64 s[56:57], vcc, s[56:57]
	s_andn2_b64 vcc, s[58:59], exec
	s_and_b64 s[58:59], s[60:61], exec
	s_or_b64 s[58:59], vcc, s[58:59]
	s_andn2_b64 exec, exec, s[56:57]
	s_cbranch_execz .LBB17_232
.LBB17_228:                             ;   Parent Loop BB17_47 Depth=1
                                        ; =>  This Inner Loop Header: Depth=2
	s_add_i32 s66, s66, 1
	s_cmpk_lg_i32 s66, 0x2710
	s_cselect_b64 s[62:63], -1, 0
	s_and_b64 vcc, exec, s[62:63]
                                        ; implicit-def: $sgpr64_sgpr65
	s_cbranch_vccnz .LBB17_230
; %bb.229:                              ;   in Loop: Header=BB17_228 Depth=2
	s_trap 2
	ds_read_b64 v[2:3], v0
	s_andn2_b64 s[62:63], s[62:63], exec
	s_mov_b32 s66, 0
	s_mov_b64 s[64:65], -1
	s_waitcnt vmcnt(0) lgkmcnt(0)
	flat_load_dword v1, v[2:3] sc0 sc1
	s_waitcnt vmcnt(0) lgkmcnt(0)
	buffer_inv sc0 sc1
	v_cmp_eq_u32_e32 vcc, 0, v1
	s_and_b64 vcc, vcc, exec
	s_or_b64 s[62:63], s[62:63], vcc
.LBB17_230:                             ;   in Loop: Header=BB17_228 Depth=2
	s_andn2_b64 s[60:61], s[60:61], exec
	s_and_b64 s[64:65], s[64:65], exec
	s_mov_b64 vcc, -1
	s_or_b64 s[60:61], s[60:61], s[64:65]
	s_and_saveexec_b64 s[64:65], s[62:63]
	s_cbranch_execz .LBB17_227
; %bb.231:                              ;   in Loop: Header=BB17_228 Depth=2
	s_sleep 1
	s_trap 2
	ds_read_b64 v[2:3], v0
	s_andn2_b64 s[60:61], s[60:61], exec
	s_waitcnt lgkmcnt(0)
	v_cmp_ge_u64_e32 vcc, v[2:3], v[48:49]
	s_orn2_b64 vcc, vcc, exec
	s_branch .LBB17_227
.LBB17_232:                             ;   in Loop: Header=BB17_47 Depth=1
	s_or_b64 exec, exec, s[56:57]
	s_and_saveexec_b64 vcc, s[58:59]
	s_xor_b64 vcc, exec, vcc
	s_cbranch_execz .LBB17_234
; %bb.233:                              ;   in Loop: Header=BB17_47 Depth=1
	ds_write_b32 v0, v24
	s_trap 2
.LBB17_234:                             ;   in Loop: Header=BB17_47 Depth=1
	s_or_b64 exec, exec, s[54:55]
	;;#ASMSTART
	s_wakeup
	;;#ASMEND
.LBB17_235:                             ;   in Loop: Header=BB17_47 Depth=1
	s_or_b64 exec, exec, s[30:31]
.LBB17_236:                             ;   in Loop: Header=BB17_47 Depth=1
	s_andn2_saveexec_b64 s[26:27], s[26:27]
	s_cbranch_execz .LBB17_238
; %bb.237:                              ;   in Loop: Header=BB17_47 Depth=1
	s_waitcnt lgkmcnt(0)
	s_barrier
.LBB17_238:                             ;   in Loop: Header=BB17_47 Depth=1
	s_or_b64 exec, exec, s[26:27]
	s_or_b64 exec, exec, s[24:25]
                                        ; implicit-def: $vgpr1
	s_and_saveexec_b64 s[24:25], s[22:23]
	s_xor_b64 s[24:25], exec, s[24:25]
	s_cbranch_execnz .LBB17_216
.LBB17_239:                             ;   in Loop: Header=BB17_47 Depth=1
	s_andn2_saveexec_b64 s[24:25], s[24:25]
	s_cbranch_execz .LBB17_219
.LBB17_240:                             ;   in Loop: Header=BB17_47 Depth=1
	s_and_saveexec_b64 s[26:27], s[40:41]
	s_xor_b64 s[26:27], exec, s[26:27]
	s_cbranch_execz .LBB17_255
; %bb.241:                              ;   in Loop: Header=BB17_47 Depth=1
	s_and_saveexec_b64 s[30:31], s[14:15]
	s_cbranch_execz .LBB17_254
; %bb.242:                              ;   in Loop: Header=BB17_47 Depth=1
	s_mov_b64 s[56:57], exec
	v_mbcnt_lo_u32_b32 v0, s56, 0
	v_mbcnt_hi_u32_b32 v0, s57, v0
	v_cmp_eq_u32_e32 vcc, 0, v0
	;;#ASMSTART
	s_waitcnt lgkmcnt(0) vmcnt(0)
	;;#ASMEND
	s_and_saveexec_b64 s[54:55], vcc
	s_cbranch_execz .LBB17_244
; %bb.243:                              ;   in Loop: Header=BB17_47 Depth=1
	s_bcnt1_i32_b64 vcc_lo, s[56:57]
	v_mov_b32_e32 v50, vcc_lo
	ds_add_u64 v0, v[50:51]
	s_trap 2
.LBB17_244:                             ;   in Loop: Header=BB17_47 Depth=1
	s_or_b64 exec, exec, s[54:55]
	s_trap 2
	ds_read_b64 v[0:1], v0
	v_lshl_add_u64 v[48:49], v[48:49], 0, v[32:33]
	s_waitcnt lgkmcnt(0)
	v_cmp_lt_u64_e32 vcc, v[0:1], v[48:49]
	s_and_saveexec_b64 s[54:55], vcc
	s_cbranch_execz .LBB17_253
; %bb.245:                              ;   in Loop: Header=BB17_47 Depth=1
	s_mov_b32 s66, 0
	s_mov_b64 s[56:57], 0
                                        ; implicit-def: $sgpr58_sgpr59
                                        ; implicit-def: $sgpr60_sgpr61
	s_branch .LBB17_247
.LBB17_246:                             ;   in Loop: Header=BB17_247 Depth=2
	s_or_b64 exec, exec, s[64:65]
	s_and_b64 vcc, exec, vcc
	s_or_b64 s[56:57], vcc, s[56:57]
	s_andn2_b64 vcc, s[58:59], exec
	s_and_b64 s[58:59], s[60:61], exec
	s_or_b64 s[58:59], vcc, s[58:59]
	s_andn2_b64 exec, exec, s[56:57]
	s_cbranch_execz .LBB17_251
.LBB17_247:                             ;   Parent Loop BB17_47 Depth=1
                                        ; =>  This Inner Loop Header: Depth=2
	s_add_i32 s66, s66, 1
	s_cmpk_lg_i32 s66, 0x2710
	s_cselect_b64 s[62:63], -1, 0
	s_and_b64 vcc, exec, s[62:63]
                                        ; implicit-def: $sgpr64_sgpr65
	s_cbranch_vccnz .LBB17_249
; %bb.248:                              ;   in Loop: Header=BB17_247 Depth=2
	s_trap 2
	ds_read_b64 v[0:1], v0
	s_andn2_b64 s[62:63], s[62:63], exec
	s_mov_b32 s66, 0
	s_mov_b64 s[64:65], -1
	s_waitcnt vmcnt(0) lgkmcnt(0)
	flat_load_dword v0, v[0:1] sc0 sc1
	s_waitcnt vmcnt(0) lgkmcnt(0)
	buffer_inv sc0 sc1
	v_cmp_eq_u32_e32 vcc, 0, v0
	s_and_b64 vcc, vcc, exec
	s_or_b64 s[62:63], s[62:63], vcc
.LBB17_249:                             ;   in Loop: Header=BB17_247 Depth=2
	s_andn2_b64 s[60:61], s[60:61], exec
	s_and_b64 s[64:65], s[64:65], exec
	s_mov_b64 vcc, -1
	s_or_b64 s[60:61], s[60:61], s[64:65]
	s_and_saveexec_b64 s[64:65], s[62:63]
	s_cbranch_execz .LBB17_246
; %bb.250:                              ;   in Loop: Header=BB17_247 Depth=2
	s_sleep 1
	s_trap 2
	ds_read_b64 v[0:1], v0
	s_andn2_b64 s[60:61], s[60:61], exec
	s_waitcnt lgkmcnt(0)
	v_cmp_ge_u64_e32 vcc, v[0:1], v[48:49]
	s_orn2_b64 vcc, vcc, exec
	s_branch .LBB17_246
.LBB17_251:                             ;   in Loop: Header=BB17_47 Depth=1
	s_or_b64 exec, exec, s[56:57]
	s_and_saveexec_b64 vcc, s[58:59]
	s_xor_b64 vcc, exec, vcc
	s_cbranch_execz .LBB17_253
; %bb.252:                              ;   in Loop: Header=BB17_47 Depth=1
	ds_write_b32 v0, v24
	s_trap 2
.LBB17_253:                             ;   in Loop: Header=BB17_47 Depth=1
	s_or_b64 exec, exec, s[54:55]
	;;#ASMSTART
	s_wakeup
	;;#ASMEND
.LBB17_254:                             ;   in Loop: Header=BB17_47 Depth=1
	s_or_b64 exec, exec, s[30:31]
.LBB17_255:                             ;   in Loop: Header=BB17_47 Depth=1
	s_andn2_saveexec_b64 s[26:27], s[26:27]
	s_cbranch_execz .LBB17_257
; %bb.256:                              ;   in Loop: Header=BB17_47 Depth=1
	;;#ASMSTART
	s_waitcnt lgkmcnt(0) vmcnt(0)
	;;#ASMEND
	s_barrier
.LBB17_257:                             ;   in Loop: Header=BB17_47 Depth=1
	s_or_b64 exec, exec, s[26:27]
	v_and_b32_e32 v1, 16, v57
	s_or_b64 exec, exec, s[24:25]
	v_cmp_ne_u32_e32 vcc, 0, v1
	s_and_saveexec_b64 s[24:25], vcc
	s_cbranch_execz .LBB17_261
.LBB17_258:                             ;   in Loop: Header=BB17_47 Depth=1
	s_and_saveexec_b64 s[26:27], s[12:13]
	s_cbranch_execz .LBB17_260
; %bb.259:                              ;   in Loop: Header=BB17_47 Depth=1
	flat_store_dword v[36:37], v24 sc0 sc1
.LBB17_260:                             ;   in Loop: Header=BB17_47 Depth=1
	s_or_b64 exec, exec, s[26:27]
	v_accvgpr_read_b32 v0, a10
	v_accvgpr_read_b32 v1, a11
	v_lshl_add_u64 v[0:1], v[0:1], 0, 4
	v_accvgpr_write_b32 a11, v1
	v_accvgpr_write_b32 a10, v0
	flat_store_dwordx2 v[46:47], v[0:1] sc0 sc1
.LBB17_261:                             ;   in Loop: Header=BB17_47 Depth=1
	s_or_b64 exec, exec, s[24:25]
.LBB17_262:                             ;   in Loop: Header=BB17_47 Depth=1
	s_or_b64 exec, exec, s[28:29]
	scratch_load_dwordx2 v[10:11], off, s33 offset:184 ; 8-byte Folded Reload
	v_cndmask_b32_e64 v0, 0, 1, s[48:49]
	v_accvgpr_write_b32 a58, v58
	v_cmp_ne_u32_e64 s[24:25], 1, v0
	s_andn2_b64 vcc, exec, s[48:49]
	v_accvgpr_write_b32 a59, v59
	s_cbranch_vccnz .LBB17_478
; %bb.263:                              ;   in Loop: Header=BB17_47 Depth=1
	s_mov_b32 s97, 2
	s_branch .LBB17_266
.LBB17_264:                             ;   in Loop: Header=BB17_266 Depth=2
	s_or_b64 exec, exec, s[26:27]
.LBB17_265:                             ;   in Loop: Header=BB17_266 Depth=2
	s_or_b64 exec, exec, s[30:31]
	s_add_i32 s97, s97, 1
	s_cmp_eq_u32 s97, s72
	s_cbranch_scc1 .LBB17_478
.LBB17_266:                             ;   Parent Loop BB17_47 Depth=1
                                        ; =>  This Loop Header: Depth=2
                                        ;       Child Loop BB17_275 Depth 3
                                        ;       Child Loop BB17_301 Depth 3
	;; [unrolled: 1-line block ×12, first 2 shown]
	s_sub_i32 s26, s77, s97
	s_cmp_le_i32 s72, s26
	s_cselect_b32 s27, s72, 0
	s_sub_i32 s26, s26, s27
	v_accvgpr_read_b32 v4, a60
	s_ashr_i32 s27, s26, 31
	v_accvgpr_read_b32 v5, a61
	v_mul_lo_u32 v2, v4, s27
	v_mul_lo_u32 v3, v5, s26
	v_mad_u64_u32 v[0:1], s[26:27], v4, s26, 0
	v_add3_u32 v1, v1, v2, v3
	v_sub_co_u32_e32 v2, vcc, v14, v0
	s_nop 1
	v_subb_co_u32_e32 v3, vcc, v15, v1, vcc
	v_cmp_lt_i64_e32 vcc, v[4:5], v[2:3]
	s_nop 1
	v_cndmask_b32_e32 v2, v2, v4, vcc
	v_max_i32_e32 v44, 0, v2
	v_add_u32_e32 v3, 15, v44
	v_ashrrev_i32_e32 v4, 31, v3
	v_lshrrev_b32_e32 v4, 28, v4
	v_add_u32_e32 v3, v3, v4
	v_cmp_gt_i32_e32 vcc, 1, v2
	v_and_b32_e32 v3, -16, v3
	s_or_b64 s[28:29], s[2:3], vcc
	v_max_i32_e32 v6, s80, v3
	s_xor_b64 s[26:27], s[28:29], -1
	v_mov_b32_e32 v4, 0
	s_and_saveexec_b64 s[30:31], s[26:27]
	s_cbranch_execz .LBB17_407
; %bb.267:                              ;   in Loop: Header=BB17_266 Depth=2
	s_and_saveexec_b64 s[26:27], s[0:1]
	s_cbranch_execz .LBB17_269
; %bb.268:                              ;   in Loop: Header=BB17_266 Depth=2
	s_trap 2
	ds_read_b64 v[2:3], v0
	v_accvgpr_read_b32 v5, a1
	v_accvgpr_read_b32 v4, a0
	v_mov_b32_e32 v50, v51
	s_waitcnt lgkmcnt(0)
	v_lshl_add_u64 v[2:3], v[4:5], 1, v[2:3]
	v_lshl_add_u64 v[0:1], v[0:1], 1, v[2:3]
	ds_write_b64 v0, v[0:1]
	ds_write_b64 v0, v[50:51]
.LBB17_269:                             ;   in Loop: Header=BB17_266 Depth=2
	s_or_b64 exec, exec, s[26:27]
	v_and_b32_e32 v0, 12, v57
	v_cmp_ne_u32_e32 vcc, 0, v0
	s_mov_b64 s[54:55], -1
	s_and_saveexec_b64 s[26:27], vcc
	s_cbranch_execz .LBB17_281
; %bb.270:                              ;   in Loop: Header=BB17_266 Depth=2
	v_accvgpr_read_b32 v0, a10
	v_and_b32_e32 v50, 8, v57
	v_accvgpr_read_b32 v1, a11
	v_lshl_add_u64 v[2:3], v[38:39], 0, v[50:51]
	v_lshl_add_u64 v[0:1], v[0:1], 0, 4
	v_cmp_lt_u64_e32 vcc, v[2:3], v[0:1]
	v_mov_b32_e32 v4, 1
	s_and_saveexec_b64 s[54:55], vcc
	s_cbranch_execz .LBB17_280
; %bb.271:                              ;   in Loop: Header=BB17_266 Depth=2
	s_mov_b64 s[56:57], 0
	v_mov_b32_e32 v4, 0
                                        ; implicit-def: $sgpr58_sgpr59
	s_branch .LBB17_275
.LBB17_272:                             ;   in Loop: Header=BB17_275 Depth=3
	s_or_b64 exec, exec, s[66:67]
	v_mov_b32_e32 v5, 0
	s_orn2_b64 s[64:65], s[64:65], exec
.LBB17_273:                             ;   in Loop: Header=BB17_275 Depth=3
	s_or_b64 exec, exec, s[62:63]
	s_andn2_b64 vcc, s[58:59], exec
	s_and_b64 s[58:59], s[64:65], exec
	s_or_b64 s[58:59], vcc, s[58:59]
	v_mov_b32_e32 v4, v5
.LBB17_274:                             ;   in Loop: Header=BB17_275 Depth=3
	s_or_b64 exec, exec, s[60:61]
	s_waitcnt vmcnt(0) lgkmcnt(0)
	v_lshl_add_u64 v[2:3], v[38:39], 0, v[50:51]
	v_cmp_ge_u64_e32 vcc, v[2:3], v[0:1]
	s_xor_b64 s[60:61], s[58:59], -1
	s_or_b64 vcc, s[60:61], vcc
	s_and_b64 vcc, exec, vcc
	s_or_b64 s[56:57], vcc, s[56:57]
	s_andn2_b64 exec, exec, s[56:57]
	s_cbranch_execz .LBB17_279
.LBB17_275:                             ;   Parent Loop BB17_47 Depth=1
                                        ;     Parent Loop BB17_266 Depth=2
                                        ; =>    This Inner Loop Header: Depth=3
	s_sleep 1
	flat_load_dwordx2 v[38:39], v[46:47] sc0 sc1
	v_and_b32_e32 v2, 64, v57
	v_cmp_eq_u32_e32 vcc, 0, v2
	s_andn2_b64 s[58:59], s[58:59], exec
	s_and_saveexec_b64 s[60:61], vcc
	s_cbranch_execz .LBB17_274
; %bb.276:                              ;   in Loop: Header=BB17_275 Depth=3
	v_add_u32_e32 v5, 1, v4
	v_cmp_lt_i32_e32 vcc, s84, v4
	s_mov_b64 s[64:65], -1
	s_and_saveexec_b64 s[62:63], vcc
	s_cbranch_execz .LBB17_273
; %bb.277:                              ;   in Loop: Header=BB17_275 Depth=3
	s_trap 2
	ds_read_b64 v[2:3], v0
	s_waitcnt vmcnt(0) lgkmcnt(0)
	flat_load_dword v4, v[2:3] sc0 sc1
	s_waitcnt vmcnt(0) lgkmcnt(0)
	buffer_inv sc0 sc1
	v_cmp_ne_u32_e32 vcc, 0, v4
	s_and_saveexec_b64 s[66:67], vcc
	s_cbranch_execz .LBB17_272
; %bb.278:                              ;   in Loop: Header=BB17_275 Depth=3
	v_or_b32_e32 v57, 64, v57
	s_xor_b64 s[64:65], exec, -1
	ds_write_b32 v0, v4
	s_trap 2
	s_branch .LBB17_272
.LBB17_279:                             ;   in Loop: Header=BB17_266 Depth=2
	s_or_b64 exec, exec, s[56:57]
	v_and_b32_e32 v4, 12, v57
.LBB17_280:                             ;   in Loop: Header=BB17_266 Depth=2
	s_or_b64 exec, exec, s[54:55]
	v_cmp_eq_u32_e32 vcc, 0, v4
	s_orn2_b64 s[54:55], vcc, exec
	;;#ASMSTART
	s_wakeup
	;;#ASMEND
.LBB17_281:                             ;   in Loop: Header=BB17_266 Depth=2
	s_or_b64 exec, exec, s[26:27]
	s_xor_b64 s[26:27], s[54:55], -1
	v_min_i32_e32 v6, v6, v44
	s_and_saveexec_b64 s[54:55], s[26:27]
	s_cbranch_execz .LBB17_293
; %bb.282:                              ;   in Loop: Header=BB17_266 Depth=2
	v_and_b32_e32 v0, 0x108, v57
	v_cmp_ne_u32_e32 vcc, s86, v0
	v_accvgpr_read_b32 v0, a10
	v_and_b32_e32 v0, 7, v0
	v_accvgpr_read_b32 v1, a11
	s_and_saveexec_b64 s[26:27], vcc
	s_xor_b64 s[26:27], exec, s[26:27]
	s_andn2_saveexec_b64 s[26:27], s[26:27]
	s_cbranch_execz .LBB17_284
; %bb.283:                              ;   in Loop: Header=BB17_266 Depth=2
	v_accvgpr_read_b32 v2, a32
	v_accvgpr_read_b32 v3, a33
	v_ashrrev_i32_e32 v7, 31, v6
	v_mad_u64_u32 v[2:3], vcc, v0, 24, v[2:3]
	v_lshlrev_b64 v[4:5], 1, v[6:7]
	flat_store_dwordx2 v[2:3], v[4:5] offset:8
.LBB17_284:                             ;   in Loop: Header=BB17_266 Depth=2
	s_or_b64 exec, exec, s[26:27]
	v_and_b32_e32 v1, 0x100, v57
	v_cmp_ne_u32_e32 vcc, 0, v1
	s_mov_b64 s[26:27], -1
                                        ; implicit-def: $vgpr4_vgpr5
	s_and_saveexec_b64 s[56:57], vcc
	s_cbranch_execz .LBB17_288
; %bb.285:                              ;   in Loop: Header=BB17_266 Depth=2
	v_accvgpr_read_b32 v2, a32
	v_accvgpr_read_b32 v3, a33
	v_mad_u64_u32 v[8:9], s[26:27], v0, 24, v[2:3]
	v_mov_b32_e32 v2, v9
	v_mad_u64_u32 v[2:3], s[26:27], v51, 24, v[2:3]
	v_mov_b32_e32 v9, v2
	flat_load_dword v1, v[8:9]
                                        ; implicit-def: $vgpr4_vgpr5
	s_waitcnt vmcnt(0) lgkmcnt(0)
	v_cmp_ne_u32_e32 vcc, 1, v1
	v_cmp_eq_u32_e64 s[26:27], 1, v1
	s_and_saveexec_b64 s[58:59], s[26:27]
	s_cbranch_execz .LBB17_287
; %bb.286:                              ;   in Loop: Header=BB17_266 Depth=2
	flat_load_dword v2, v[8:9] offset:4 sc0 sc1
	s_waitcnt vmcnt(0) lgkmcnt(0)
	v_ashrrev_i32_e32 v3, 31, v2
	v_lshrrev_b64 v[4:5], 1, v[2:3]
.LBB17_287:                             ;   in Loop: Header=BB17_266 Depth=2
	s_or_b64 exec, exec, s[58:59]
	s_orn2_b64 s[26:27], vcc, exec
.LBB17_288:                             ;   in Loop: Header=BB17_266 Depth=2
	s_or_b64 exec, exec, s[56:57]
	s_and_saveexec_b64 vcc, s[26:27]
; %bb.289:                              ;   in Loop: Header=BB17_266 Depth=2
	v_accvgpr_read_b32 v4, a20
	v_accvgpr_read_b32 v3, a21
	v_mul_lo_u32 v1, v51, v4
	v_mul_lo_u32 v2, v0, v3
	v_mad_u64_u32 v[4:5], s[26:27], v0, v4, 0
	v_add3_u32 v5, v5, v2, v1
; %bb.290:                              ;   in Loop: Header=BB17_266 Depth=2
	s_or_b64 exec, exec, vcc
	v_lshl_add_u64 v[0:1], v[4:5], 1, v[34:35]
	s_trap 2
	ds_write_b64 v0, v[0:1]
	v_and_b32_e32 v0, 0x2000, v57
	v_cmp_ne_u32_e32 vcc, 0, v0
	s_and_saveexec_b64 s[26:27], vcc
	s_cbranch_execz .LBB17_292
; %bb.291:                              ;   in Loop: Header=BB17_266 Depth=2
	ds_read_b64 v[0:1], v0 offset:584
	s_waitcnt lgkmcnt(0)
	v_lshl_add_u64 v[0:1], v[0:1], 0, 1
	ds_write_b64 v0, v[0:1] offset:584
.LBB17_292:                             ;   in Loop: Header=BB17_266 Depth=2
	s_or_b64 exec, exec, s[26:27]
	v_accvgpr_read_b32 v0, a10
	v_accvgpr_read_b32 v1, a11
	v_lshl_add_u64 v[0:1], v[0:1], 0, 4
	v_accvgpr_write_b32 a11, v1
	v_accvgpr_write_b32 a10, v0
.LBB17_293:                             ;   in Loop: Header=BB17_266 Depth=2
	s_or_b64 exec, exec, s[54:55]
	s_and_saveexec_b64 s[26:27], s[6:7]
	s_cbranch_execz .LBB17_312
; %bb.294:                              ;   in Loop: Header=BB17_266 Depth=2
	s_and_saveexec_b64 vcc, s[40:41]
	s_xor_b64 s[54:55], exec, vcc
	s_cbranch_execz .LBB17_309
; %bb.295:                              ;   in Loop: Header=BB17_266 Depth=2
	s_and_saveexec_b64 s[56:57], s[14:15]
	s_cbranch_execz .LBB17_308
; %bb.296:                              ;   in Loop: Header=BB17_266 Depth=2
	s_mov_b64 s[60:61], exec
	v_mbcnt_lo_u32_b32 v0, s60, 0
	v_mbcnt_hi_u32_b32 v0, s61, v0
	v_cmp_eq_u32_e32 vcc, 0, v0
	s_waitcnt lgkmcnt(0)
	s_and_saveexec_b64 s[58:59], vcc
	s_cbranch_execz .LBB17_298
; %bb.297:                              ;   in Loop: Header=BB17_266 Depth=2
	s_bcnt1_i32_b64 vcc_lo, s[60:61]
	v_mov_b32_e32 v50, vcc_lo
	ds_add_u64 v0, v[50:51]
	s_trap 2
.LBB17_298:                             ;   in Loop: Header=BB17_266 Depth=2
	s_or_b64 exec, exec, s[58:59]
	s_trap 2
	ds_read_b64 v[0:1], v0
	v_lshl_add_u64 v[48:49], v[48:49], 0, v[32:33]
	s_waitcnt lgkmcnt(0)
	v_cmp_lt_u64_e32 vcc, v[0:1], v[48:49]
	s_and_saveexec_b64 s[58:59], vcc
	s_cbranch_execz .LBB17_307
; %bb.299:                              ;   in Loop: Header=BB17_266 Depth=2
	s_mov_b32 s70, 0
	s_mov_b64 s[60:61], 0
                                        ; implicit-def: $sgpr62_sgpr63
                                        ; implicit-def: $sgpr64_sgpr65
	s_branch .LBB17_301
.LBB17_300:                             ;   in Loop: Header=BB17_301 Depth=3
	s_or_b64 exec, exec, s[68:69]
	s_and_b64 vcc, exec, vcc
	s_or_b64 s[60:61], vcc, s[60:61]
	s_andn2_b64 vcc, s[62:63], exec
	s_and_b64 s[62:63], s[64:65], exec
	s_or_b64 s[62:63], vcc, s[62:63]
	s_andn2_b64 exec, exec, s[60:61]
	s_cbranch_execz .LBB17_305
.LBB17_301:                             ;   Parent Loop BB17_47 Depth=1
                                        ;     Parent Loop BB17_266 Depth=2
                                        ; =>    This Inner Loop Header: Depth=3
	s_add_i32 s70, s70, 1
	s_cmpk_lg_i32 s70, 0x2710
	s_cselect_b64 s[66:67], -1, 0
	s_and_b64 vcc, exec, s[66:67]
                                        ; implicit-def: $sgpr68_sgpr69
	s_cbranch_vccnz .LBB17_303
; %bb.302:                              ;   in Loop: Header=BB17_301 Depth=3
	s_trap 2
	ds_read_b64 v[0:1], v0
	s_andn2_b64 s[66:67], s[66:67], exec
	s_mov_b32 s70, 0
	s_mov_b64 s[68:69], -1
	s_waitcnt vmcnt(0) lgkmcnt(0)
	flat_load_dword v0, v[0:1] sc0 sc1
	s_waitcnt vmcnt(0) lgkmcnt(0)
	buffer_inv sc0 sc1
	v_cmp_eq_u32_e32 vcc, 0, v0
	s_and_b64 vcc, vcc, exec
	s_or_b64 s[66:67], s[66:67], vcc
.LBB17_303:                             ;   in Loop: Header=BB17_301 Depth=3
	s_andn2_b64 s[64:65], s[64:65], exec
	s_and_b64 s[68:69], s[68:69], exec
	s_mov_b64 vcc, -1
	s_or_b64 s[64:65], s[64:65], s[68:69]
	s_and_saveexec_b64 s[68:69], s[66:67]
	s_cbranch_execz .LBB17_300
; %bb.304:                              ;   in Loop: Header=BB17_301 Depth=3
	s_sleep 1
	s_trap 2
	ds_read_b64 v[0:1], v0
	s_andn2_b64 s[64:65], s[64:65], exec
	s_waitcnt lgkmcnt(0)
	v_cmp_ge_u64_e32 vcc, v[0:1], v[48:49]
	s_orn2_b64 vcc, vcc, exec
	s_branch .LBB17_300
.LBB17_305:                             ;   in Loop: Header=BB17_266 Depth=2
	s_or_b64 exec, exec, s[60:61]
	s_and_saveexec_b64 vcc, s[62:63]
	s_xor_b64 vcc, exec, vcc
	s_cbranch_execz .LBB17_307
; %bb.306:                              ;   in Loop: Header=BB17_266 Depth=2
	ds_write_b32 v0, v24
	s_trap 2
.LBB17_307:                             ;   in Loop: Header=BB17_266 Depth=2
	s_or_b64 exec, exec, s[58:59]
	;;#ASMSTART
	s_wakeup
	;;#ASMEND
.LBB17_308:                             ;   in Loop: Header=BB17_266 Depth=2
	s_or_b64 exec, exec, s[56:57]
.LBB17_309:                             ;   in Loop: Header=BB17_266 Depth=2
	s_andn2_saveexec_b64 vcc, s[54:55]
	s_cbranch_execz .LBB17_311
; %bb.310:                              ;   in Loop: Header=BB17_266 Depth=2
	s_waitcnt lgkmcnt(0)
	s_barrier
.LBB17_311:                             ;   in Loop: Header=BB17_266 Depth=2
	s_or_b64 exec, exec, vcc
.LBB17_312:                             ;   in Loop: Header=BB17_266 Depth=2
	s_or_b64 exec, exec, s[26:27]
	s_trap 2
	ds_read_b32 v1, v0
	v_and_b32_e32 v0, 0x4000, v57
	v_cmp_ne_u32_e32 vcc, 0, v0
	s_xor_b64 s[26:27], s[4:5], -1
	s_and_b64 vcc, s[26:27], vcc
	s_and_saveexec_b64 s[26:27], vcc
	s_cbranch_execz .LBB17_331
; %bb.313:                              ;   in Loop: Header=BB17_266 Depth=2
	s_and_saveexec_b64 vcc, s[40:41]
	s_xor_b64 s[54:55], exec, vcc
	s_cbranch_execz .LBB17_328
; %bb.314:                              ;   in Loop: Header=BB17_266 Depth=2
	s_and_saveexec_b64 s[56:57], s[14:15]
	s_cbranch_execz .LBB17_327
; %bb.315:                              ;   in Loop: Header=BB17_266 Depth=2
	s_mov_b64 s[60:61], exec
	v_mbcnt_lo_u32_b32 v0, s60, 0
	v_mbcnt_hi_u32_b32 v0, s61, v0
	v_cmp_eq_u32_e32 vcc, 0, v0
	s_waitcnt lgkmcnt(0)
	s_and_saveexec_b64 s[58:59], vcc
	s_cbranch_execz .LBB17_317
; %bb.316:                              ;   in Loop: Header=BB17_266 Depth=2
	s_bcnt1_i32_b64 vcc_lo, s[60:61]
	v_mov_b32_e32 v50, vcc_lo
	ds_add_u64 v0, v[50:51]
	s_trap 2
.LBB17_317:                             ;   in Loop: Header=BB17_266 Depth=2
	s_or_b64 exec, exec, s[58:59]
	s_trap 2
	ds_read_b64 v[2:3], v0
	v_lshl_add_u64 v[48:49], v[48:49], 0, v[32:33]
	s_waitcnt lgkmcnt(0)
	v_cmp_lt_u64_e32 vcc, v[2:3], v[48:49]
	s_and_saveexec_b64 s[58:59], vcc
	s_cbranch_execz .LBB17_326
; %bb.318:                              ;   in Loop: Header=BB17_266 Depth=2
	s_mov_b32 s70, 0
	s_mov_b64 s[60:61], 0
                                        ; implicit-def: $sgpr62_sgpr63
                                        ; implicit-def: $sgpr64_sgpr65
	s_branch .LBB17_320
.LBB17_319:                             ;   in Loop: Header=BB17_320 Depth=3
	s_or_b64 exec, exec, s[68:69]
	s_and_b64 vcc, exec, vcc
	s_or_b64 s[60:61], vcc, s[60:61]
	s_andn2_b64 vcc, s[62:63], exec
	s_and_b64 s[62:63], s[64:65], exec
	s_or_b64 s[62:63], vcc, s[62:63]
	s_andn2_b64 exec, exec, s[60:61]
	s_cbranch_execz .LBB17_324
.LBB17_320:                             ;   Parent Loop BB17_47 Depth=1
                                        ;     Parent Loop BB17_266 Depth=2
                                        ; =>    This Inner Loop Header: Depth=3
	s_add_i32 s70, s70, 1
	s_cmpk_lg_i32 s70, 0x2710
	s_cselect_b64 s[66:67], -1, 0
	s_and_b64 vcc, exec, s[66:67]
                                        ; implicit-def: $sgpr68_sgpr69
	s_cbranch_vccnz .LBB17_322
; %bb.321:                              ;   in Loop: Header=BB17_320 Depth=3
	s_trap 2
	ds_read_b64 v[2:3], v0
	s_andn2_b64 s[66:67], s[66:67], exec
	s_mov_b32 s70, 0
	s_mov_b64 s[68:69], -1
	s_waitcnt vmcnt(0) lgkmcnt(0)
	flat_load_dword v0, v[2:3] sc0 sc1
	s_waitcnt vmcnt(0) lgkmcnt(0)
	buffer_inv sc0 sc1
	v_cmp_eq_u32_e32 vcc, 0, v0
	s_and_b64 vcc, vcc, exec
	s_or_b64 s[66:67], s[66:67], vcc
.LBB17_322:                             ;   in Loop: Header=BB17_320 Depth=3
	s_andn2_b64 s[64:65], s[64:65], exec
	s_and_b64 s[68:69], s[68:69], exec
	s_mov_b64 vcc, -1
	s_or_b64 s[64:65], s[64:65], s[68:69]
	s_and_saveexec_b64 s[68:69], s[66:67]
	s_cbranch_execz .LBB17_319
; %bb.323:                              ;   in Loop: Header=BB17_320 Depth=3
	s_sleep 1
	s_trap 2
	ds_read_b64 v[2:3], v0
	s_andn2_b64 s[64:65], s[64:65], exec
	s_waitcnt lgkmcnt(0)
	v_cmp_ge_u64_e32 vcc, v[2:3], v[48:49]
	s_orn2_b64 vcc, vcc, exec
	s_branch .LBB17_319
.LBB17_324:                             ;   in Loop: Header=BB17_266 Depth=2
	s_or_b64 exec, exec, s[60:61]
	s_and_saveexec_b64 vcc, s[62:63]
	s_xor_b64 vcc, exec, vcc
	s_cbranch_execz .LBB17_326
; %bb.325:                              ;   in Loop: Header=BB17_266 Depth=2
	ds_write_b32 v0, v24
	s_trap 2
.LBB17_326:                             ;   in Loop: Header=BB17_266 Depth=2
	s_or_b64 exec, exec, s[58:59]
	;;#ASMSTART
	s_wakeup
	;;#ASMEND
.LBB17_327:                             ;   in Loop: Header=BB17_266 Depth=2
	s_or_b64 exec, exec, s[56:57]
.LBB17_328:                             ;   in Loop: Header=BB17_266 Depth=2
	s_andn2_saveexec_b64 vcc, s[54:55]
	s_cbranch_execz .LBB17_330
; %bb.329:                              ;   in Loop: Header=BB17_266 Depth=2
	s_waitcnt lgkmcnt(0)
	s_barrier
.LBB17_330:                             ;   in Loop: Header=BB17_266 Depth=2
	s_or_b64 exec, exec, vcc
.LBB17_331:                             ;   in Loop: Header=BB17_266 Depth=2
	s_or_b64 exec, exec, s[26:27]
	s_trap 2
	ds_read_b64 v[2:3], v0
	s_waitcnt lgkmcnt(0)
	v_readfirstlane_b32 s26, v2
	v_readfirstlane_b32 s27, v3
	s_cmp_eq_u64 s[26:27], 0
	s_cselect_b64 s[26:27], -1, 0
	s_or_b64 vcc, s[26:27], s[26:27]
	s_mov_b64 s[26:27], 0
	s_and_b64 vcc, exec, vcc
	s_cbranch_vccnz .LBB17_338
; %bb.332:                              ;   in Loop: Header=BB17_266 Depth=2
	s_mov_b64 s[26:27], -1
	s_and_saveexec_b64 s[54:55], s[20:21]
	s_cbranch_execz .LBB17_334
; %bb.333:                              ;   in Loop: Header=BB17_266 Depth=2
	ds_read_b32 v0, v0 offset:720
	s_waitcnt lgkmcnt(0)
	v_and_b32_e32 v0, 15, v0
	v_cmp_eq_u32_e32 vcc, 0, v0
	s_orn2_b64 s[26:27], vcc, exec
.LBB17_334:                             ;   in Loop: Header=BB17_266 Depth=2
	s_or_b64 exec, exec, s[54:55]
	s_and_saveexec_b64 s[54:55], s[18:19]
	s_cbranch_execz .LBB17_336
; %bb.335:                              ;   in Loop: Header=BB17_266 Depth=2
	ds_read_b32 v0, v0 offset:784
	s_waitcnt lgkmcnt(0)
	v_and_b32_e32 v0, 15, v0
	v_cmp_eq_u32_e32 vcc, 0, v0
	s_and_b64 vcc, s[26:27], vcc
	s_andn2_b64 s[26:27], s[26:27], exec
	s_and_b64 vcc, vcc, exec
	s_or_b64 s[26:27], s[26:27], vcc
.LBB17_336:                             ;   in Loop: Header=BB17_266 Depth=2
	s_or_b64 exec, exec, s[54:55]
	v_cmp_eq_u32_e32 vcc, 0, v1
	s_xor_b64 s[26:27], s[26:27], -1
	v_cndmask_b32_e64 v1, 0, 1, s[26:27]
	v_cndmask_b32_e32 v2, 0, v6, vcc
	v_mov_b32_e32 v0, 0
	v_lshlrev_b32_e32 v7, 1, v2
	s_mov_b64 s[56:57], -1
	;;#ASMSTART
	;;#ASMEND
	s_nop 0
	v_cmp_ne_u32_e32 vcc, 0, v1
	s_cbranch_vccz .LBB17_343
; %bb.337:                              ;   in Loop: Header=BB17_266 Depth=2
	v_accvgpr_read_b32 v1, a41
	s_waitcnt vmcnt(0)
	v_mov_b32_e32 v8, v29
	s_and_saveexec_b64 s[26:27], s[56:57]
	s_cbranch_execnz .LBB17_356
	s_branch .LBB17_364
.LBB17_338:                             ;   in Loop: Header=BB17_266 Depth=2
	s_and_saveexec_b64 s[54:55], s[6:7]
	s_cbranch_execnz .LBB17_365
.LBB17_339:                             ;   in Loop: Header=BB17_266 Depth=2
	s_or_b64 exec, exec, s[54:55]
                                        ; implicit-def: $vgpr0
	s_and_saveexec_b64 vcc, s[22:23]
	s_xor_b64 s[54:55], exec, vcc
	s_cbranch_execz .LBB17_383
.LBB17_340:                             ;   in Loop: Header=BB17_266 Depth=2
	v_and_b32_e32 v1, 16, v57
	v_cmp_ne_u32_e32 vcc, 0, v1
	v_and_b32_e32 v0, 16, v57
	s_and_b64 vcc, vcc, s[26:27]
	s_and_saveexec_b64 s[26:27], vcc
	s_cbranch_execz .LBB17_342
; %bb.341:                              ;   in Loop: Header=BB17_266 Depth=2
	v_mov_b32_e32 v0, 1
	buffer_wbl2 sc1
	s_waitcnt vmcnt(0) lgkmcnt(0)
	buffer_inv sc1
.LBB17_342:                             ;   in Loop: Header=BB17_266 Depth=2
	s_or_b64 exec, exec, s[26:27]
	s_andn2_saveexec_b64 s[26:27], s[54:55]
	s_cbranch_execz .LBB17_402
	s_branch .LBB17_384
.LBB17_343:                             ;   in Loop: Header=BB17_266 Depth=2
	v_ashrrev_i32_e32 v0, 31, v7
	v_lshrrev_b32_e32 v0, 20, v0
	v_add_u32_e32 v0, v7, v0
	v_ashrrev_i32_e32 v31, 12, v0
	s_waitcnt vmcnt(0)
	v_sub_u32_e32 v30, v31, v29
	v_cmp_lt_i32_e32 vcc, 0, v30
	s_and_saveexec_b64 s[26:27], vcc
	s_cbranch_execz .LBB17_347
; %bb.344:                              ;   in Loop: Header=BB17_266 Depth=2
	s_trap 2
	ds_read_b128 v[8:11], v0
	ds_read_b64 v[12:13], v0
	scratch_load_dwordx2 v[14:15], off, s33 offset:184 ; 8-byte Folded Reload
	v_accvgpr_write_b32 a14, v48
	v_accvgpr_write_b32 a4, v38
	v_accvgpr_read_b32 v59, a53
	v_accvgpr_write_b32 a3, v51
	v_accvgpr_write_b32 a15, v49
	;; [unrolled: 1-line block ×3, first 2 shown]
	s_mov_b64 s[54:55], 0
	v_mov_b64_e32 v[60:61], v[32:33]
	v_accvgpr_read_b32 v58, a52
	s_waitcnt vmcnt(0) lgkmcnt(1)
	v_lshl_add_u64 v[0:1], v[8:9], 0, v[14:15]
	v_lshl_add_u64 v[4:5], v[10:11], 0, v[14:15]
	s_waitcnt lgkmcnt(0)
	v_lshl_add_u64 v[28:29], v[12:13], 0, v[14:15]
.LBB17_345:                             ;   Parent Loop BB17_47 Depth=1
                                        ;     Parent Loop BB17_266 Depth=2
                                        ; =>    This Inner Loop Header: Depth=3
	global_load_dwordx4 v[36:39], v[4:5], off nt
	global_load_dwordx4 v[48:51], v[0:1], off nt
	global_load_dwordx4 v[24:27], v[0:1], off offset:1024 nt
	global_load_dwordx4 v[32:35], v[4:5], off offset:1024 nt
	;; [unrolled: 1-line block ×6, first 2 shown]
	v_sub_u32_e32 v30, v30, v60
	v_cmp_gt_i32_e32 vcc, 1, v30
	v_lshl_add_u64 v[0:1], v[0:1], 0, v[58:59]
	v_lshl_add_u64 v[4:5], v[4:5], 0, v[58:59]
	s_or_b64 s[54:55], vcc, s[54:55]
	s_waitcnt vmcnt(6)
	v_mul_f16_e32 v3, v48, v36
	v_mul_f16_sdwa v36, v48, v36 dst_sel:WORD_1 dst_unused:UNUSED_PAD src0_sel:WORD_1 src1_sel:WORD_1
	v_mul_f16_e32 v48, v49, v37
	v_mul_f16_sdwa v37, v49, v37 dst_sel:WORD_1 dst_unused:UNUSED_PAD src0_sel:WORD_1 src1_sel:WORD_1
	v_mul_f16_e32 v49, v50, v38
	v_mul_f16_sdwa v38, v50, v38 dst_sel:WORD_1 dst_unused:UNUSED_PAD src0_sel:WORD_1 src1_sel:WORD_1
	v_mul_f16_e32 v50, v51, v39
	v_mul_f16_sdwa v39, v51, v39 dst_sel:WORD_1 dst_unused:UNUSED_PAD src0_sel:WORD_1 src1_sel:WORD_1
	s_waitcnt vmcnt(4)
	v_mul_f16_e32 v51, v24, v32
	v_mul_f16_sdwa v24, v24, v32 dst_sel:WORD_1 dst_unused:UNUSED_PAD src0_sel:WORD_1 src1_sel:WORD_1
	v_mul_f16_e32 v32, v25, v33
	v_mul_f16_sdwa v25, v25, v33 dst_sel:WORD_1 dst_unused:UNUSED_PAD src0_sel:WORD_1 src1_sel:WORD_1
	v_mul_f16_e32 v33, v26, v34
	v_mul_f16_sdwa v26, v26, v34 dst_sel:WORD_1 dst_unused:UNUSED_PAD src0_sel:WORD_1 src1_sel:WORD_1
	v_mul_f16_e32 v34, v27, v35
	v_mul_f16_sdwa v27, v27, v35 dst_sel:WORD_1 dst_unused:UNUSED_PAD src0_sel:WORD_1 src1_sel:WORD_1
	;; [unrolled: 9-line block ×4, first 2 shown]
	v_or_b32_e32 v9, v37, v48
	v_or_b32_e32 v8, v36, v3
	;; [unrolled: 1-line block ×16, first 2 shown]
	global_store_dwordx4 v[28:29], v[8:11], off nt
	global_store_dwordx4 v[28:29], v[12:15], off offset:1024 nt
	global_store_dwordx4 v[28:29], v[16:19], off offset:2048 nt
	;; [unrolled: 1-line block ×3, first 2 shown]
	v_lshl_add_u64 v[28:29], v[28:29], 0, v[58:59]
	s_andn2_b64 exec, exec, s[54:55]
	s_cbranch_execnz .LBB17_345
; %bb.346:                              ;   in Loop: Header=BB17_266 Depth=2
	s_or_b64 exec, exec, s[54:55]
	scratch_load_dwordx2 v[0:1], off, s33 offset:220 ; 8-byte Folded Reload
	scratch_load_dword v25, off, s33 offset:208 ; 4-byte Folded Reload
	scratch_load_dwordx2 v[26:27], off, s33 offset:200 ; 8-byte Folded Reload
	scratch_load_dword v29, off, s33 offset:212 ; 4-byte Folded Reload
	scratch_load_dwordx2 v[18:19], off, s33 offset:192 ; 8-byte Folded Reload
	v_accvgpr_read_b32 v41, a9
	v_accvgpr_mov_b32 a33, a17
	v_accvgpr_read_b32 v35, a23
	v_accvgpr_read_b32 v37, a25
	;; [unrolled: 1-line block ×9, first 2 shown]
	v_accvgpr_mov_b32 a32, a16
	v_accvgpr_read_b32 v34, a22
	v_accvgpr_read_b32 v36, a24
	;; [unrolled: 1-line block ×5, first 2 shown]
	v_mov_b64_e32 v[32:33], v[60:61]
	v_accvgpr_read_b32 v23, a43
	v_accvgpr_read_b32 v17, a45
	;; [unrolled: 1-line block ×4, first 2 shown]
	v_mov_b32_e32 v24, 1
	s_waitcnt vmcnt(4)
	v_accvgpr_write_b32 a20, v0
.LBB17_347:                             ;   in Loop: Header=BB17_266 Depth=2
	s_or_b64 exec, exec, s[26:27]
	v_lshlrev_b32_e32 v10, 12, v31
	v_cmp_ne_u32_e32 vcc, v7, v10
	s_mov_b64 s[56:57], 0
	v_mov_b32_e32 v0, 0
                                        ; implicit-def: $vgpr1
                                        ; implicit-def: $vgpr8
	s_and_saveexec_b64 s[54:55], vcc
	s_cbranch_execz .LBB17_355
; %bb.348:                              ;   in Loop: Header=BB17_266 Depth=2
	scratch_load_dword v3, off, s33 offset:216 ; 4-byte Folded Reload
	v_lshlrev_b32_e32 v0, 6, v30
	v_sub_u32_e32 v1, v7, v10
	s_waitcnt vmcnt(0)
	v_sub_u32_e32 v0, v3, v0
	v_ashrrev_i32_e32 v3, 31, v0
	v_lshrrev_b32_e32 v3, 26, v3
	v_add_u32_e32 v3, v0, v3
	v_ashrrev_i32_e32 v4, 6, v3
	v_and_b32_e32 v3, 0xffffffc0, v3
	v_sub_u32_e32 v11, v0, v3
	v_ashrrev_i32_e32 v3, 31, v1
	v_lshrrev_b32_e32 v3, 22, v3
	v_add_u32_e32 v3, v1, v3
	v_and_b32_e32 v12, 0xfffffc00, v3
	v_lshlrev_b32_e32 v0, 4, v11
	v_sub_u32_e32 v14, v1, v12
	v_lshl_add_u32 v0, v4, 10, v0
	v_ashrrev_i32_e32 v5, 10, v3
	v_cmp_lt_i32_e32 vcc, 15, v14
	v_sub_u32_e32 v15, v1, v0
	s_nop 0
	v_addc_co_u32_e64 v1, s[26:27], 0, v5, vcc
	v_sub_u32_e32 v13, v1, v4
	v_cmp_lt_i32_e64 s[26:27], 15, v15
	s_and_saveexec_b64 s[56:57], s[26:27]
	s_cbranch_execz .LBB17_352
; %bb.349:                              ;   in Loop: Header=BB17_266 Depth=2
	s_trap 2
	ds_read_b128 v[16:19], v0
	ds_read_b64 v[8:9], v0
	v_add_u32_e32 v20, v0, v10
	v_ashrrev_i32_e32 v21, 31, v20
	v_accvgpr_read_b32 v30, a48
	s_waitcnt lgkmcnt(1)
	v_lshl_add_u64 v[0:1], v[16:17], 0, v[20:21]
	v_lshl_add_u64 v[4:5], v[18:19], 0, v[20:21]
	s_waitcnt lgkmcnt(0)
	v_lshl_add_u64 v[8:9], v[8:9], 0, v[20:21]
	s_mov_b64 s[58:59], 0
	v_accvgpr_read_b32 v31, a49
.LBB17_350:                             ;   Parent Loop BB17_47 Depth=1
                                        ;     Parent Loop BB17_266 Depth=2
                                        ; =>    This Inner Loop Header: Depth=3
	global_load_dwordx4 v[16:19], v[0:1], off nt
	global_load_dwordx4 v[20:23], v[4:5], off nt
	v_sub_u32_e32 v15, v15, v56
	v_cmp_gt_i32_e64 s[26:27], 16, v15
	v_lshl_add_u64 v[0:1], v[0:1], 0, v[30:31]
	v_lshl_add_u64 v[4:5], v[4:5], 0, v[30:31]
	v_sub_u32_e32 v13, v13, v32
	s_or_b64 s[58:59], s[26:27], s[58:59]
	s_waitcnt vmcnt(0)
	v_mul_f16_e32 v3, v16, v20
	v_mul_f16_sdwa v16, v16, v20 dst_sel:WORD_1 dst_unused:UNUSED_PAD src0_sel:WORD_1 src1_sel:WORD_1
	v_mul_f16_e32 v20, v17, v21
	v_mul_f16_sdwa v17, v17, v21 dst_sel:WORD_1 dst_unused:UNUSED_PAD src0_sel:WORD_1 src1_sel:WORD_1
	;; [unrolled: 2-line block ×4, first 2 shown]
	v_or_b32_e32 v17, v17, v20
	v_or_b32_e32 v16, v16, v3
	;; [unrolled: 1-line block ×4, first 2 shown]
	global_store_dwordx4 v[8:9], v[16:19], off nt
	v_lshl_add_u64 v[8:9], v[8:9], 0, v[30:31]
	s_andn2_b64 exec, exec, s[58:59]
	s_cbranch_execnz .LBB17_350
; %bb.351:                              ;   in Loop: Header=BB17_266 Depth=2
	s_or_b64 exec, exec, s[58:59]
	scratch_load_dwordx2 v[18:19], off, s33 offset:192 ; 8-byte Folded Reload
	v_accvgpr_read_b32 v22, a42
	v_accvgpr_read_b32 v16, a44
	;; [unrolled: 1-line block ×6, first 2 shown]
.LBB17_352:                             ;   in Loop: Header=BB17_266 Depth=2
	s_or_b64 exec, exec, s[56:57]
	v_and_b32_e32 v4, 14, v7
	v_cndmask_b32_e32 v7, v14, v4, vcc
	v_cmp_ne_u32_e64 s[26:27], 0, v7
	s_mov_b64 s[56:57], 0
	v_mov_b32_e32 v0, 0
                                        ; implicit-def: $vgpr1
                                        ; implicit-def: $vgpr8
	s_and_saveexec_b64 s[58:59], s[26:27]
	s_cbranch_execz .LBB17_354
; %bb.353:                              ;   in Loop: Header=BB17_266 Depth=2
	v_sub_u32_e32 v0, v14, v4
	v_cndmask_b32_e32 v0, 0, v0, vcc
	v_cmp_lt_i32_e32 vcc, 0, v13
	s_mov_b64 s[56:57], exec
	v_add3_u32 v0, v12, v10, v0
	v_cndmask_b32_e32 v1, 0, v32, vcc
	v_sub_u32_e32 v1, v1, v13
	v_lshl_add_u32 v1, v1, 6, v11
	v_ashrrev_i32_e32 v3, 31, v1
	v_lshrrev_b32_e32 v3, 26, v3
	v_add_u32_e32 v3, v1, v3
	v_ashrrev_i32_e32 v8, 6, v3
.LBB17_354:                             ;   in Loop: Header=BB17_266 Depth=2
	s_or_b64 exec, exec, s[58:59]
	s_and_b64 s[56:57], s[56:57], exec
.LBB17_355:                             ;   in Loop: Header=BB17_266 Depth=2
	s_or_b64 exec, exec, s[54:55]
	s_and_saveexec_b64 s[26:27], s[56:57]
	s_cbranch_execz .LBB17_364
.LBB17_356:                             ;   in Loop: Header=BB17_266 Depth=2
	v_ashrrev_i32_e32 v3, 31, v7
	v_lshrrev_b32_e32 v3, 21, v3
	v_add_u32_e32 v3, v7, v3
	v_ashrrev_i32_e32 v14, 11, v3
	v_sub_u32_e32 v4, v14, v8
	v_ashrrev_i32_e32 v3, 31, v1
	v_cmp_lt_i32_e32 vcc, 0, v4
	v_lshrrev_b32_e32 v5, 26, v3
	s_and_saveexec_b64 s[54:55], vcc
	s_cbranch_execz .LBB17_360
; %bb.357:                              ;   in Loop: Header=BB17_266 Depth=2
	v_add_u32_e32 v3, v1, v5
	s_trap 2
	v_and_b32_e32 v3, 0x7fffffc0, v3
	ds_read_b128 v[10:13], v0
	v_mov_b64_e32 v[60:61], v[16:17]
	ds_read_b64 v[16:17], v0
	v_sub_u32_e32 v3, v1, v3
	v_lshlrev_b32_e32 v3, 1, v3
	v_lshlrev_b32_e32 v8, 11, v8
	s_waitcnt vmcnt(0)
	v_add3_u32 v18, v3, v0, v8
	v_ashrrev_i32_e32 v19, 31, v18
	v_accvgpr_write_b32 a4, v48
	s_waitcnt lgkmcnt(1)
	v_lshl_add_u64 v[8:9], v[10:11], 0, v[18:19]
	v_lshl_add_u64 v[10:11], v[12:13], 0, v[18:19]
	s_waitcnt lgkmcnt(0)
	v_lshl_add_u64 v[12:13], v[16:17], 0, s[52:53]
	v_accvgpr_write_b32 a3, v51
	v_accvgpr_write_b32 a5, v49
	v_mov_b64_e32 v[54:55], v[38:39]
	v_lshl_add_u64 v[12:13], v[12:13], 0, v[18:19]
	s_mov_b64 s[56:57], 0
.LBB17_358:                             ;   Parent Loop BB17_47 Depth=1
                                        ;     Parent Loop BB17_266 Depth=2
                                        ; =>    This Inner Loop Header: Depth=3
	flat_load_ushort v3, v[8:9] nt
	flat_load_ushort v15, v[8:9] offset:128 nt
	flat_load_ushort v16, v[8:9] offset:256 nt
	;; [unrolled: 1-line block ×15, first 2 shown]
	flat_load_ushort v23, v[10:11] nt
	flat_load_ushort v31, v[10:11] offset:128 nt
	flat_load_ushort v32, v[10:11] offset:256 nt
	;; [unrolled: 1-line block ×15, first 2 shown]
	v_lshl_add_u64 v[8:9], v[8:9], 0, v[60:61]
	v_lshl_add_u64 v[10:11], v[10:11], 0, v[60:61]
	s_waitcnt vmcnt(0) lgkmcnt(0)
	v_mul_f16_e32 v3, v3, v23
	v_mul_f16_e32 v31, v15, v31
	;; [unrolled: 1-line block ×10, first 2 shown]
	v_add_co_u32_e32 v24, vcc, s87, v12
	v_mul_f16_e32 v20, v25, v48
	s_nop 0
	v_addc_co_u32_e32 v25, vcc, -1, v13, vcc
	flat_store_short v[24:25], v3 nt
	v_add_co_u32_e32 v24, vcc, s88, v12
	v_mul_f16_e32 v19, v26, v49
	s_nop 0
	v_addc_co_u32_e32 v25, vcc, -1, v13, vcc
	flat_store_short v[24:25], v31 nt
	;; [unrolled: 5-line block ×4, first 2 shown]
	v_add_co_u32_e32 v24, vcc, s91, v12
	v_accvgpr_read_b32 v33, a31
	s_nop 0
	v_addc_co_u32_e32 v25, vcc, -1, v13, vcc
	flat_store_short v[24:25], v34 nt
	v_add_co_u32_e32 v24, vcc, s92, v12
	v_accvgpr_read_b32 v32, a30
	s_nop 0
	v_addc_co_u32_e32 v25, vcc, -1, v13, vcc
	flat_store_short v[24:25], v35 nt
	v_add_co_u32_e32 v24, vcc, s93, v12
	v_sub_u32_e32 v4, v4, v32
	s_nop 0
	v_addc_co_u32_e32 v25, vcc, -1, v13, vcc
	flat_store_short v[24:25], v36 nt
	v_add_co_u32_e32 v24, vcc, s74, v12
	v_mul_f16_e32 v15, v29, v52
	s_nop 0
	v_addc_co_u32_e32 v25, vcc, -1, v13, vcc
	flat_store_short v[24:25], v23 nt
	v_add_co_u32_e32 v24, vcc, s94, v12
	v_mul_f16_e32 v16, v30, v53
	s_nop 0
	v_addc_co_u32_e32 v25, vcc, -1, v13, vcc
	flat_store_short v[24:25], v22 nt
	v_add_co_u32_e32 v22, vcc, s95, v12
	s_nop 1
	v_addc_co_u32_e32 v23, vcc, -1, v13, vcc
	flat_store_short v[22:23], v21 nt
	v_add_co_u32_e32 v22, vcc, s96, v12
	s_nop 1
	v_addc_co_u32_e32 v23, vcc, -1, v13, vcc
	flat_store_short v[22:23], v20 nt
	v_add_co_u32_e32 v20, vcc, 0xfffffe00, v12
	s_nop 1
	v_addc_co_u32_e32 v21, vcc, -1, v13, vcc
	flat_store_short v[20:21], v19 nt
	v_add_co_u32_e32 v20, vcc, 0xfffffe80, v12
	s_nop 1
	v_addc_co_u32_e32 v21, vcc, -1, v13, vcc
	flat_store_short v[20:21], v18 nt
	v_add_co_u32_e32 v18, vcc, 0xffffff00, v12
	s_nop 1
	v_addc_co_u32_e32 v19, vcc, -1, v13, vcc
	flat_store_short v[18:19], v17 nt
	v_add_co_u32_e32 v18, vcc, 0xffffff80, v12
	s_nop 1
	v_addc_co_u32_e32 v19, vcc, -1, v13, vcc
	v_cmp_gt_i32_e32 vcc, 1, v4
	flat_store_short v[18:19], v15 nt
	flat_store_short v[12:13], v16 nt
	v_lshl_add_u64 v[12:13], v[12:13], 0, v[60:61]
	s_or_b64 s[56:57], vcc, s[56:57]
	s_andn2_b64 exec, exec, s[56:57]
	s_cbranch_execnz .LBB17_358
; %bb.359:                              ;   in Loop: Header=BB17_266 Depth=2
	s_or_b64 exec, exec, s[56:57]
	scratch_load_dword v25, off, s33 offset:208 ; 4-byte Folded Reload
	scratch_load_dwordx2 v[26:27], off, s33 offset:200 ; 8-byte Folded Reload
	scratch_load_dword v29, off, s33 offset:212 ; 4-byte Folded Reload
	scratch_load_dwordx2 v[18:19], off, s33 offset:192 ; 8-byte Folded Reload
	v_accvgpr_mov_b32 a33, a17
	v_accvgpr_read_b32 v35, a23
	v_accvgpr_read_b32 v37, a25
	;; [unrolled: 1-line block ×5, first 2 shown]
	v_accvgpr_mov_b32 a32, a16
	v_accvgpr_read_b32 v34, a22
	v_accvgpr_read_b32 v36, a24
	v_mov_b64_e32 v[38:39], v[54:55]
	v_accvgpr_read_b32 v48, a4
	v_accvgpr_read_b32 v51, a3
	;; [unrolled: 1-line block ×3, first 2 shown]
	v_mov_b64_e32 v[16:17], v[60:61]
	v_accvgpr_read_b32 v21, a51
	v_mov_b32_e32 v24, 1
.LBB17_360:                             ;   in Loop: Header=BB17_266 Depth=2
	s_or_b64 exec, exec, s[54:55]
	v_lshlrev_b32_e32 v8, 11, v14
	v_cmp_ne_u32_e32 vcc, v7, v8
	s_and_b64 exec, exec, vcc
	s_cbranch_execz .LBB17_364
; %bb.361:                              ;   in Loop: Header=BB17_266 Depth=2
	v_add_u32_e32 v3, v1, v5
	v_and_b32_e32 v3, 0xffffffc0, v3
	v_sub_u32_e32 v1, v1, v3
	v_lshlrev_b32_e32 v3, 6, v4
	v_sub_u32_e32 v1, v1, v3
	v_ashrrev_i32_e32 v3, 31, v1
	v_lshrrev_b32_e32 v3, 26, v3
	v_add_u32_e32 v3, v1, v3
	v_and_b32_e32 v4, 0x7fffffc0, v3
	v_sub_u32_e32 v1, v1, v4
	v_lshlrev_b32_e32 v3, 1, v3
	v_and_b32_e32 v3, 0xffffff80, v3
	v_lshlrev_b32_e32 v1, 1, v1
	v_add3_u32 v1, v3, v1, v8
	v_sub_u32_e32 v7, v7, v1
	v_cmp_lt_i32_e32 vcc, 1, v7
	s_and_b64 exec, exec, vcc
	s_cbranch_execz .LBB17_364
; %bb.362:                              ;   in Loop: Header=BB17_266 Depth=2
	s_trap 2
	ds_read_b128 v[8:11], v0
	ds_read_b64 v[12:13], v0
	v_add_u32_e32 v14, v1, v0
	v_ashrrev_i32_e32 v15, 31, v14
	s_mov_b64 s[54:55], 0
	s_waitcnt lgkmcnt(0)
	v_lshl_add_u64 v[0:1], v[8:9], 0, v[14:15]
	v_lshl_add_u64 v[4:5], v[10:11], 0, v[14:15]
	;; [unrolled: 1-line block ×3, first 2 shown]
.LBB17_363:                             ;   Parent Loop BB17_47 Depth=1
                                        ;     Parent Loop BB17_266 Depth=2
                                        ; =>    This Inner Loop Header: Depth=3
	flat_load_ushort v3, v[0:1] nt
	flat_load_ushort v10, v[4:5] nt
	s_waitcnt vmcnt(0)
	v_sub_u32_e32 v7, v7, v25
	v_cmp_gt_i32_e32 vcc, 2, v7
	v_lshl_add_u64 v[0:1], v[0:1], 0, v[20:21]
	v_lshl_add_u64 v[4:5], v[4:5], 0, v[20:21]
	s_or_b64 s[54:55], vcc, s[54:55]
	s_waitcnt lgkmcnt(0)
	v_mul_f16_e32 v3, v3, v10
	flat_store_short v[8:9], v3 nt
	v_lshl_add_u64 v[8:9], v[8:9], 0, v[20:21]
	s_andn2_b64 exec, exec, s[54:55]
	s_cbranch_execnz .LBB17_363
.LBB17_364:                             ;   in Loop: Header=BB17_266 Depth=2
	s_or_b64 exec, exec, s[26:27]
	scratch_load_dwordx2 v[10:11], off, s33 offset:184 ; 8-byte Folded Reload
	v_accvgpr_read_b32 v15, a13
	v_cmp_lt_i32_e64 s[26:27], 0, v2
	v_accvgpr_read_b32 v14, a12
	s_and_saveexec_b64 s[54:55], s[6:7]
	s_cbranch_execz .LBB17_339
.LBB17_365:                             ;   in Loop: Header=BB17_266 Depth=2
	s_and_saveexec_b64 vcc, s[40:41]
	s_xor_b64 s[56:57], exec, vcc
	s_cbranch_execz .LBB17_380
; %bb.366:                              ;   in Loop: Header=BB17_266 Depth=2
	s_and_saveexec_b64 s[58:59], s[14:15]
	s_cbranch_execz .LBB17_379
; %bb.367:                              ;   in Loop: Header=BB17_266 Depth=2
	s_mov_b64 s[62:63], exec
	v_mbcnt_lo_u32_b32 v0, s62, 0
	v_mbcnt_hi_u32_b32 v0, s63, v0
	v_cmp_eq_u32_e32 vcc, 0, v0
	s_waitcnt lgkmcnt(0)
	s_and_saveexec_b64 s[60:61], vcc
	s_cbranch_execz .LBB17_369
; %bb.368:                              ;   in Loop: Header=BB17_266 Depth=2
	s_bcnt1_i32_b64 vcc_lo, s[62:63]
	v_mov_b32_e32 v50, vcc_lo
	ds_add_u64 v0, v[50:51]
	s_trap 2
.LBB17_369:                             ;   in Loop: Header=BB17_266 Depth=2
	s_or_b64 exec, exec, s[60:61]
	s_trap 2
	ds_read_b64 v[0:1], v0
	v_lshl_add_u64 v[48:49], v[48:49], 0, v[32:33]
	s_waitcnt lgkmcnt(0)
	v_cmp_lt_u64_e32 vcc, v[0:1], v[48:49]
	s_and_saveexec_b64 s[60:61], vcc
	s_cbranch_execz .LBB17_378
; %bb.370:                              ;   in Loop: Header=BB17_266 Depth=2
	s_mov_b32 s98, 0
	s_mov_b64 s[62:63], 0
                                        ; implicit-def: $sgpr64_sgpr65
                                        ; implicit-def: $sgpr66_sgpr67
	s_branch .LBB17_372
.LBB17_371:                             ;   in Loop: Header=BB17_372 Depth=3
	s_or_b64 exec, exec, s[70:71]
	s_and_b64 vcc, exec, vcc
	s_or_b64 s[62:63], vcc, s[62:63]
	s_andn2_b64 vcc, s[64:65], exec
	s_and_b64 s[64:65], s[66:67], exec
	s_or_b64 s[64:65], vcc, s[64:65]
	s_andn2_b64 exec, exec, s[62:63]
	s_cbranch_execz .LBB17_376
.LBB17_372:                             ;   Parent Loop BB17_47 Depth=1
                                        ;     Parent Loop BB17_266 Depth=2
                                        ; =>    This Inner Loop Header: Depth=3
	s_add_i32 s98, s98, 1
	s_cmpk_lg_i32 s98, 0x2710
	s_cselect_b64 s[68:69], -1, 0
	s_and_b64 vcc, exec, s[68:69]
                                        ; implicit-def: $sgpr70_sgpr71
	s_cbranch_vccnz .LBB17_374
; %bb.373:                              ;   in Loop: Header=BB17_372 Depth=3
	s_trap 2
	ds_read_b64 v[0:1], v0
	s_andn2_b64 s[68:69], s[68:69], exec
	s_mov_b32 s98, 0
	s_mov_b64 s[70:71], -1
	s_waitcnt vmcnt(0) lgkmcnt(0)
	flat_load_dword v0, v[0:1] sc0 sc1
	s_waitcnt vmcnt(0) lgkmcnt(0)
	buffer_inv sc0 sc1
	v_cmp_eq_u32_e32 vcc, 0, v0
	s_and_b64 vcc, vcc, exec
	s_or_b64 s[68:69], s[68:69], vcc
.LBB17_374:                             ;   in Loop: Header=BB17_372 Depth=3
	s_andn2_b64 s[66:67], s[66:67], exec
	s_and_b64 s[70:71], s[70:71], exec
	s_mov_b64 vcc, -1
	s_or_b64 s[66:67], s[66:67], s[70:71]
	s_and_saveexec_b64 s[70:71], s[68:69]
	s_cbranch_execz .LBB17_371
; %bb.375:                              ;   in Loop: Header=BB17_372 Depth=3
	s_sleep 1
	s_trap 2
	ds_read_b64 v[0:1], v0
	s_andn2_b64 s[66:67], s[66:67], exec
	s_waitcnt lgkmcnt(0)
	v_cmp_ge_u64_e32 vcc, v[0:1], v[48:49]
	s_orn2_b64 vcc, vcc, exec
	s_branch .LBB17_371
.LBB17_376:                             ;   in Loop: Header=BB17_266 Depth=2
	s_or_b64 exec, exec, s[62:63]
	s_and_saveexec_b64 vcc, s[64:65]
	s_xor_b64 vcc, exec, vcc
	s_cbranch_execz .LBB17_378
; %bb.377:                              ;   in Loop: Header=BB17_266 Depth=2
	ds_write_b32 v0, v24
	s_trap 2
.LBB17_378:                             ;   in Loop: Header=BB17_266 Depth=2
	s_or_b64 exec, exec, s[60:61]
	;;#ASMSTART
	s_wakeup
	;;#ASMEND
.LBB17_379:                             ;   in Loop: Header=BB17_266 Depth=2
	s_or_b64 exec, exec, s[58:59]
.LBB17_380:                             ;   in Loop: Header=BB17_266 Depth=2
	s_andn2_saveexec_b64 vcc, s[56:57]
	s_cbranch_execz .LBB17_382
; %bb.381:                              ;   in Loop: Header=BB17_266 Depth=2
	s_waitcnt lgkmcnt(0)
	s_barrier
.LBB17_382:                             ;   in Loop: Header=BB17_266 Depth=2
	s_or_b64 exec, exec, vcc
	s_or_b64 exec, exec, s[54:55]
                                        ; implicit-def: $vgpr0
	s_and_saveexec_b64 vcc, s[22:23]
	s_xor_b64 s[54:55], exec, vcc
	s_cbranch_execnz .LBB17_340
.LBB17_383:                             ;   in Loop: Header=BB17_266 Depth=2
	s_andn2_saveexec_b64 s[26:27], s[54:55]
	s_cbranch_execz .LBB17_402
.LBB17_384:                             ;   in Loop: Header=BB17_266 Depth=2
	s_and_saveexec_b64 vcc, s[40:41]
	s_xor_b64 s[54:55], exec, vcc
	s_cbranch_execz .LBB17_399
; %bb.385:                              ;   in Loop: Header=BB17_266 Depth=2
	s_and_saveexec_b64 s[56:57], s[14:15]
	s_cbranch_execz .LBB17_398
; %bb.386:                              ;   in Loop: Header=BB17_266 Depth=2
	s_mov_b64 s[60:61], exec
	v_mbcnt_lo_u32_b32 v0, s60, 0
	v_mbcnt_hi_u32_b32 v0, s61, v0
	v_cmp_eq_u32_e32 vcc, 0, v0
	;;#ASMSTART
	s_waitcnt lgkmcnt(0) vmcnt(0)
	;;#ASMEND
	s_and_saveexec_b64 s[58:59], vcc
	s_cbranch_execz .LBB17_388
; %bb.387:                              ;   in Loop: Header=BB17_266 Depth=2
	s_bcnt1_i32_b64 vcc_lo, s[60:61]
	v_mov_b32_e32 v50, vcc_lo
	ds_add_u64 v0, v[50:51]
	s_trap 2
.LBB17_388:                             ;   in Loop: Header=BB17_266 Depth=2
	s_or_b64 exec, exec, s[58:59]
	s_trap 2
	ds_read_b64 v[0:1], v0
	v_lshl_add_u64 v[48:49], v[48:49], 0, v[32:33]
	s_waitcnt lgkmcnt(0)
	v_cmp_lt_u64_e32 vcc, v[0:1], v[48:49]
	s_and_saveexec_b64 s[58:59], vcc
	s_cbranch_execz .LBB17_397
; %bb.389:                              ;   in Loop: Header=BB17_266 Depth=2
	s_mov_b32 s70, 0
	s_mov_b64 s[60:61], 0
                                        ; implicit-def: $sgpr62_sgpr63
                                        ; implicit-def: $sgpr64_sgpr65
	s_branch .LBB17_391
.LBB17_390:                             ;   in Loop: Header=BB17_391 Depth=3
	s_or_b64 exec, exec, s[68:69]
	s_and_b64 vcc, exec, vcc
	s_or_b64 s[60:61], vcc, s[60:61]
	s_andn2_b64 vcc, s[62:63], exec
	s_and_b64 s[62:63], s[64:65], exec
	s_or_b64 s[62:63], vcc, s[62:63]
	s_andn2_b64 exec, exec, s[60:61]
	s_cbranch_execz .LBB17_395
.LBB17_391:                             ;   Parent Loop BB17_47 Depth=1
                                        ;     Parent Loop BB17_266 Depth=2
                                        ; =>    This Inner Loop Header: Depth=3
	s_add_i32 s70, s70, 1
	s_cmpk_lg_i32 s70, 0x2710
	s_cselect_b64 s[66:67], -1, 0
	s_and_b64 vcc, exec, s[66:67]
                                        ; implicit-def: $sgpr68_sgpr69
	s_cbranch_vccnz .LBB17_393
; %bb.392:                              ;   in Loop: Header=BB17_391 Depth=3
	s_trap 2
	ds_read_b64 v[0:1], v0
	s_andn2_b64 s[66:67], s[66:67], exec
	s_mov_b32 s70, 0
	s_mov_b64 s[68:69], -1
	s_waitcnt vmcnt(0) lgkmcnt(0)
	flat_load_dword v0, v[0:1] sc0 sc1
	s_waitcnt vmcnt(0) lgkmcnt(0)
	buffer_inv sc0 sc1
	v_cmp_eq_u32_e32 vcc, 0, v0
	s_and_b64 vcc, vcc, exec
	s_or_b64 s[66:67], s[66:67], vcc
.LBB17_393:                             ;   in Loop: Header=BB17_391 Depth=3
	s_andn2_b64 s[64:65], s[64:65], exec
	s_and_b64 s[68:69], s[68:69], exec
	s_mov_b64 vcc, -1
	s_or_b64 s[64:65], s[64:65], s[68:69]
	s_and_saveexec_b64 s[68:69], s[66:67]
	s_cbranch_execz .LBB17_390
; %bb.394:                              ;   in Loop: Header=BB17_391 Depth=3
	s_sleep 1
	s_trap 2
	ds_read_b64 v[0:1], v0
	s_andn2_b64 s[64:65], s[64:65], exec
	s_waitcnt lgkmcnt(0)
	v_cmp_ge_u64_e32 vcc, v[0:1], v[48:49]
	s_orn2_b64 vcc, vcc, exec
	s_branch .LBB17_390
.LBB17_395:                             ;   in Loop: Header=BB17_266 Depth=2
	s_or_b64 exec, exec, s[60:61]
	s_and_saveexec_b64 vcc, s[62:63]
	s_xor_b64 vcc, exec, vcc
	s_cbranch_execz .LBB17_397
; %bb.396:                              ;   in Loop: Header=BB17_266 Depth=2
	ds_write_b32 v0, v24
	s_trap 2
.LBB17_397:                             ;   in Loop: Header=BB17_266 Depth=2
	s_or_b64 exec, exec, s[58:59]
	;;#ASMSTART
	s_wakeup
	;;#ASMEND
.LBB17_398:                             ;   in Loop: Header=BB17_266 Depth=2
	s_or_b64 exec, exec, s[56:57]
.LBB17_399:                             ;   in Loop: Header=BB17_266 Depth=2
	s_andn2_saveexec_b64 vcc, s[54:55]
	s_cbranch_execz .LBB17_401
; %bb.400:                              ;   in Loop: Header=BB17_266 Depth=2
	;;#ASMSTART
	s_waitcnt lgkmcnt(0) vmcnt(0)
	;;#ASMEND
	s_barrier
.LBB17_401:                             ;   in Loop: Header=BB17_266 Depth=2
	s_or_b64 exec, exec, vcc
	v_and_b32_e32 v0, 16, v57
.LBB17_402:                             ;   in Loop: Header=BB17_266 Depth=2
	s_or_b64 exec, exec, s[26:27]
	v_cmp_ne_u32_e32 vcc, 0, v0
	s_xor_b64 s[26:27], s[10:11], -1
	s_and_b64 vcc, vcc, s[26:27]
	s_and_saveexec_b64 s[26:27], vcc
	s_cbranch_execz .LBB17_404
; %bb.403:                              ;   in Loop: Header=BB17_266 Depth=2
	flat_store_dword v[36:37], v24 sc0 sc1
.LBB17_404:                             ;   in Loop: Header=BB17_266 Depth=2
	s_or_b64 exec, exec, s[26:27]
	v_and_b32_e32 v0, 48, v57
	v_cmp_ne_u32_e32 vcc, 0, v0
	s_and_saveexec_b64 s[26:27], vcc
	s_cbranch_execz .LBB17_406
; %bb.405:                              ;   in Loop: Header=BB17_266 Depth=2
	v_accvgpr_read_b32 v0, a10
	v_accvgpr_read_b32 v1, a11
	v_lshl_add_u64 v[0:1], v[0:1], 0, 4
	v_accvgpr_write_b32 a11, v1
	v_accvgpr_write_b32 a10, v0
	flat_store_dwordx2 v[46:47], v[0:1] sc0 sc1
.LBB17_406:                             ;   in Loop: Header=BB17_266 Depth=2
	s_or_b64 exec, exec, s[26:27]
	v_mov_b32_e32 v4, v6
.LBB17_407:                             ;   in Loop: Header=BB17_266 Depth=2
	s_or_b64 exec, exec, s[30:31]
	s_and_saveexec_b64 s[30:31], s[28:29]
	s_cbranch_execz .LBB17_265
; %bb.408:                              ;   in Loop: Header=BB17_266 Depth=2
	v_and_b32_e32 v0, 12, v57
	v_cmp_ne_u32_e32 vcc, 0, v0
	s_mov_b64 s[28:29], -1
	s_and_saveexec_b64 s[26:27], vcc
	s_cbranch_execz .LBB17_420
; %bb.409:                              ;   in Loop: Header=BB17_266 Depth=2
	v_accvgpr_read_b32 v0, a10
	v_and_b32_e32 v50, 8, v57
	v_accvgpr_read_b32 v1, a11
	v_lshl_add_u64 v[2:3], v[38:39], 0, v[50:51]
	v_lshl_add_u64 v[0:1], v[0:1], 0, 4
	v_cmp_lt_u64_e32 vcc, v[2:3], v[0:1]
	v_mov_b32_e32 v5, 1
	s_and_saveexec_b64 s[28:29], vcc
	s_cbranch_execz .LBB17_419
; %bb.410:                              ;   in Loop: Header=BB17_266 Depth=2
	s_mov_b64 s[54:55], 0
	v_mov_b32_e32 v5, 0
                                        ; implicit-def: $sgpr56_sgpr57
	s_branch .LBB17_414
.LBB17_411:                             ;   in Loop: Header=BB17_414 Depth=3
	s_or_b64 exec, exec, s[64:65]
	v_mov_b32_e32 v7, 0
	s_orn2_b64 s[62:63], s[62:63], exec
.LBB17_412:                             ;   in Loop: Header=BB17_414 Depth=3
	s_or_b64 exec, exec, s[60:61]
	s_andn2_b64 vcc, s[56:57], exec
	s_and_b64 s[56:57], s[62:63], exec
	s_or_b64 s[56:57], vcc, s[56:57]
	v_mov_b32_e32 v5, v7
.LBB17_413:                             ;   in Loop: Header=BB17_414 Depth=3
	s_or_b64 exec, exec, s[58:59]
	s_waitcnt vmcnt(0) lgkmcnt(0)
	v_lshl_add_u64 v[2:3], v[38:39], 0, v[50:51]
	v_cmp_ge_u64_e32 vcc, v[2:3], v[0:1]
	s_xor_b64 s[58:59], s[56:57], -1
	s_or_b64 vcc, s[58:59], vcc
	s_and_b64 vcc, exec, vcc
	s_or_b64 s[54:55], vcc, s[54:55]
	s_andn2_b64 exec, exec, s[54:55]
	s_cbranch_execz .LBB17_418
.LBB17_414:                             ;   Parent Loop BB17_47 Depth=1
                                        ;     Parent Loop BB17_266 Depth=2
                                        ; =>    This Inner Loop Header: Depth=3
	s_sleep 1
	flat_load_dwordx2 v[38:39], v[46:47] sc0 sc1
	v_and_b32_e32 v2, 64, v57
	v_cmp_eq_u32_e32 vcc, 0, v2
	s_andn2_b64 s[56:57], s[56:57], exec
	s_and_saveexec_b64 s[58:59], vcc
	s_cbranch_execz .LBB17_413
; %bb.415:                              ;   in Loop: Header=BB17_414 Depth=3
	v_add_u32_e32 v7, 1, v5
	v_cmp_lt_i32_e32 vcc, s84, v5
	s_mov_b64 s[62:63], -1
	s_and_saveexec_b64 s[60:61], vcc
	s_cbranch_execz .LBB17_412
; %bb.416:                              ;   in Loop: Header=BB17_414 Depth=3
	s_trap 2
	ds_read_b64 v[2:3], v0
	s_waitcnt vmcnt(0) lgkmcnt(0)
	flat_load_dword v5, v[2:3] sc0 sc1
	s_waitcnt vmcnt(0) lgkmcnt(0)
	buffer_inv sc0 sc1
	v_cmp_ne_u32_e32 vcc, 0, v5
	s_and_saveexec_b64 s[64:65], vcc
	s_cbranch_execz .LBB17_411
; %bb.417:                              ;   in Loop: Header=BB17_414 Depth=3
	v_or_b32_e32 v57, 64, v57
	s_xor_b64 s[62:63], exec, -1
	ds_write_b32 v0, v5
	s_trap 2
	s_branch .LBB17_411
.LBB17_418:                             ;   in Loop: Header=BB17_266 Depth=2
	s_or_b64 exec, exec, s[54:55]
	v_and_b32_e32 v5, 12, v57
.LBB17_419:                             ;   in Loop: Header=BB17_266 Depth=2
	s_or_b64 exec, exec, s[28:29]
	v_cmp_eq_u32_e32 vcc, 0, v5
	s_orn2_b64 s[28:29], vcc, exec
	;;#ASMSTART
	s_wakeup
	;;#ASMEND
.LBB17_420:                             ;   in Loop: Header=BB17_266 Depth=2
	s_or_b64 exec, exec, s[26:27]
	v_sub_u32_e32 v0, v44, v4
	s_xor_b64 s[26:27], s[28:29], -1
	v_min_i32_e32 v0, v6, v0
	s_and_saveexec_b64 s[28:29], s[26:27]
	s_cbranch_execz .LBB17_444
; %bb.421:                              ;   in Loop: Header=BB17_266 Depth=2
	v_and_b32_e32 v1, 0x108, v57
	v_accvgpr_read_b32 v2, a10
	v_cmp_ne_u32_e32 vcc, s86, v1
	v_and_b32_e32 v2, 7, v2
	v_accvgpr_read_b32 v3, a11
	s_and_saveexec_b64 s[26:27], vcc
	s_xor_b64 s[26:27], exec, s[26:27]
	s_andn2_saveexec_b64 s[26:27], s[26:27]
	s_cbranch_execz .LBB17_423
; %bb.422:                              ;   in Loop: Header=BB17_266 Depth=2
	v_accvgpr_read_b32 v4, a32
	v_accvgpr_read_b32 v5, a33
	v_ashrrev_i32_e32 v1, 31, v0
	v_mad_u64_u32 v[4:5], vcc, v2, 24, v[4:5]
	v_lshlrev_b64 v[6:7], 1, v[0:1]
	flat_store_dwordx2 v[4:5], v[6:7] offset:8
.LBB17_423:                             ;   in Loop: Header=BB17_266 Depth=2
	s_or_b64 exec, exec, s[26:27]
	v_and_b32_e32 v1, 0x100, v57
	v_cmp_ne_u32_e32 vcc, 0, v1
	s_mov_b64 s[26:27], -1
                                        ; implicit-def: $vgpr4_vgpr5
	s_and_saveexec_b64 s[54:55], vcc
	s_cbranch_execz .LBB17_427
; %bb.424:                              ;   in Loop: Header=BB17_266 Depth=2
	v_accvgpr_read_b32 v4, a32
	v_accvgpr_read_b32 v5, a33
	v_mad_u64_u32 v[6:7], s[26:27], v2, 24, v[4:5]
	v_mov_b32_e32 v4, v7
	v_mad_u64_u32 v[4:5], s[26:27], v51, 24, v[4:5]
	v_mov_b32_e32 v7, v4
	flat_load_dword v1, v[6:7]
                                        ; implicit-def: $vgpr4_vgpr5
	s_waitcnt vmcnt(0) lgkmcnt(0)
	v_cmp_ne_u32_e32 vcc, 1, v1
	v_cmp_eq_u32_e64 s[26:27], 1, v1
	s_and_saveexec_b64 s[56:57], s[26:27]
	s_cbranch_execz .LBB17_426
; %bb.425:                              ;   in Loop: Header=BB17_266 Depth=2
	flat_load_dword v4, v[6:7] offset:4 sc0 sc1
	s_waitcnt vmcnt(0) lgkmcnt(0)
	v_ashrrev_i32_e32 v5, 31, v4
	v_lshrrev_b64 v[4:5], 1, v[4:5]
.LBB17_426:                             ;   in Loop: Header=BB17_266 Depth=2
	s_or_b64 exec, exec, s[56:57]
	s_orn2_b64 s[26:27], vcc, exec
.LBB17_427:                             ;   in Loop: Header=BB17_266 Depth=2
	s_or_b64 exec, exec, s[54:55]
	s_and_saveexec_b64 vcc, s[26:27]
; %bb.428:                              ;   in Loop: Header=BB17_266 Depth=2
	v_accvgpr_read_b32 v4, a20
	v_accvgpr_read_b32 v3, a21
	v_mul_lo_u32 v1, v51, v4
	v_mul_lo_u32 v3, v2, v3
	v_mad_u64_u32 v[4:5], s[26:27], v2, v4, 0
	v_add3_u32 v5, v5, v3, v1
; %bb.429:                              ;   in Loop: Header=BB17_266 Depth=2
	s_or_b64 exec, exec, vcc
	v_and_b32_e32 v1, 0x2000, v57
	v_lshl_add_u64 v[2:3], v[4:5], 1, v[34:35]
	v_cmp_ne_u32_e32 vcc, 0, v1
	s_trap 2
	ds_write_b64 v0, v[2:3]
	s_and_saveexec_b64 s[26:27], vcc
	s_cbranch_execz .LBB17_431
; %bb.430:                              ;   in Loop: Header=BB17_266 Depth=2
	ds_read_b64 v[2:3], v0 offset:584
	s_waitcnt lgkmcnt(0)
	v_lshl_add_u64 v[2:3], v[2:3], 0, 1
	ds_write_b64 v0, v[2:3] offset:584
.LBB17_431:                             ;   in Loop: Header=BB17_266 Depth=2
	s_or_b64 exec, exec, s[26:27]
	v_accvgpr_read_b32 v2, a10
	v_accvgpr_read_b32 v3, a11
	v_lshl_add_u64 v[2:3], v[2:3], 0, 4
	v_accvgpr_write_b32 a11, v3
	v_accvgpr_write_b32 a10, v2
	s_or_b64 exec, exec, s[28:29]
	s_and_saveexec_b64 s[26:27], s[6:7]
	s_cbranch_execnz .LBB17_445
.LBB17_432:                             ;   in Loop: Header=BB17_266 Depth=2
	s_or_b64 exec, exec, s[26:27]
                                        ; implicit-def: $vgpr1
	s_and_saveexec_b64 s[26:27], s[50:51]
	s_xor_b64 s[26:27], exec, s[26:27]
	s_cbranch_execz .LBB17_470
.LBB17_433:                             ;   in Loop: Header=BB17_266 Depth=2
	s_and_saveexec_b64 s[28:29], s[40:41]
	s_xor_b64 s[28:29], exec, s[28:29]
	s_cbranch_execz .LBB17_460
; %bb.434:                              ;   in Loop: Header=BB17_266 Depth=2
	s_and_saveexec_b64 s[54:55], s[14:15]
	s_cbranch_execz .LBB17_459
; %bb.435:                              ;   in Loop: Header=BB17_266 Depth=2
	s_mov_b64 s[58:59], exec
	v_mbcnt_lo_u32_b32 v0, s58, 0
	v_mbcnt_hi_u32_b32 v0, s59, v0
	v_cmp_eq_u32_e32 vcc, 0, v0
	;;#ASMSTART
	s_waitcnt lgkmcnt(0) vmcnt(0)
	;;#ASMEND
	s_and_saveexec_b64 s[56:57], vcc
	s_cbranch_execz .LBB17_437
; %bb.436:                              ;   in Loop: Header=BB17_266 Depth=2
	s_bcnt1_i32_b64 vcc_lo, s[58:59]
	v_mov_b32_e32 v50, vcc_lo
	ds_add_u64 v0, v[50:51]
	s_trap 2
.LBB17_437:                             ;   in Loop: Header=BB17_266 Depth=2
	s_or_b64 exec, exec, s[56:57]
	s_trap 2
	ds_read_b64 v[0:1], v0
	v_lshl_add_u64 v[48:49], v[48:49], 0, v[32:33]
	s_waitcnt lgkmcnt(0)
	v_cmp_lt_u64_e32 vcc, v[0:1], v[48:49]
	s_and_saveexec_b64 s[56:57], vcc
	s_cbranch_execz .LBB17_458
; %bb.438:                              ;   in Loop: Header=BB17_266 Depth=2
	s_mov_b32 s68, 0
	s_mov_b64 s[58:59], 0
                                        ; implicit-def: $sgpr60_sgpr61
                                        ; implicit-def: $sgpr62_sgpr63
	s_branch .LBB17_440
.LBB17_439:                             ;   in Loop: Header=BB17_440 Depth=3
	s_or_b64 exec, exec, s[66:67]
	s_and_b64 vcc, exec, vcc
	s_or_b64 s[58:59], vcc, s[58:59]
	s_andn2_b64 vcc, s[60:61], exec
	s_and_b64 s[60:61], s[62:63], exec
	s_or_b64 s[60:61], vcc, s[60:61]
	s_andn2_b64 exec, exec, s[58:59]
	s_cbranch_execz .LBB17_456
.LBB17_440:                             ;   Parent Loop BB17_47 Depth=1
                                        ;     Parent Loop BB17_266 Depth=2
                                        ; =>    This Inner Loop Header: Depth=3
	s_add_i32 s68, s68, 1
	s_cmpk_lg_i32 s68, 0x2710
	s_cselect_b64 s[64:65], -1, 0
	s_and_b64 vcc, exec, s[64:65]
                                        ; implicit-def: $sgpr66_sgpr67
	s_cbranch_vccnz .LBB17_442
; %bb.441:                              ;   in Loop: Header=BB17_440 Depth=3
	s_trap 2
	ds_read_b64 v[0:1], v0
	s_andn2_b64 s[64:65], s[64:65], exec
	s_mov_b32 s68, 0
	s_mov_b64 s[66:67], -1
	s_waitcnt vmcnt(0) lgkmcnt(0)
	flat_load_dword v0, v[0:1] sc0 sc1
	s_waitcnt vmcnt(0) lgkmcnt(0)
	buffer_inv sc0 sc1
	v_cmp_eq_u32_e32 vcc, 0, v0
	s_and_b64 vcc, vcc, exec
	s_or_b64 s[64:65], s[64:65], vcc
.LBB17_442:                             ;   in Loop: Header=BB17_440 Depth=3
	s_andn2_b64 s[62:63], s[62:63], exec
	s_and_b64 s[66:67], s[66:67], exec
	s_mov_b64 vcc, -1
	s_or_b64 s[62:63], s[62:63], s[66:67]
	s_and_saveexec_b64 s[66:67], s[64:65]
	s_cbranch_execz .LBB17_439
; %bb.443:                              ;   in Loop: Header=BB17_440 Depth=3
	s_sleep 1
	s_trap 2
	ds_read_b64 v[0:1], v0
	s_andn2_b64 s[62:63], s[62:63], exec
	s_waitcnt lgkmcnt(0)
	v_cmp_ge_u64_e32 vcc, v[0:1], v[48:49]
	s_orn2_b64 vcc, vcc, exec
	s_branch .LBB17_439
.LBB17_444:                             ;   in Loop: Header=BB17_266 Depth=2
	s_or_b64 exec, exec, s[28:29]
	s_and_saveexec_b64 s[26:27], s[6:7]
	s_cbranch_execz .LBB17_432
.LBB17_445:                             ;   in Loop: Header=BB17_266 Depth=2
	s_and_saveexec_b64 s[28:29], s[40:41]
	s_xor_b64 s[28:29], exec, s[28:29]
	s_cbranch_execz .LBB17_467
; %bb.446:                              ;   in Loop: Header=BB17_266 Depth=2
	s_and_saveexec_b64 s[54:55], s[14:15]
	s_cbranch_execz .LBB17_466
; %bb.447:                              ;   in Loop: Header=BB17_266 Depth=2
	s_mov_b64 s[58:59], exec
	v_mbcnt_lo_u32_b32 v1, s58, 0
	v_mbcnt_hi_u32_b32 v1, s59, v1
	v_cmp_eq_u32_e32 vcc, 0, v1
	s_waitcnt lgkmcnt(0)
	s_and_saveexec_b64 s[56:57], vcc
	s_cbranch_execz .LBB17_449
; %bb.448:                              ;   in Loop: Header=BB17_266 Depth=2
	s_bcnt1_i32_b64 vcc_lo, s[58:59]
	v_mov_b32_e32 v50, vcc_lo
	ds_add_u64 v0, v[50:51]
	s_trap 2
.LBB17_449:                             ;   in Loop: Header=BB17_266 Depth=2
	s_or_b64 exec, exec, s[56:57]
	s_trap 2
	ds_read_b64 v[2:3], v0
	v_lshl_add_u64 v[48:49], v[48:49], 0, v[32:33]
	s_waitcnt lgkmcnt(0)
	v_cmp_lt_u64_e32 vcc, v[2:3], v[48:49]
	s_and_saveexec_b64 s[56:57], vcc
	s_cbranch_execz .LBB17_465
; %bb.450:                              ;   in Loop: Header=BB17_266 Depth=2
	s_mov_b32 s68, 0
	s_mov_b64 s[58:59], 0
                                        ; implicit-def: $sgpr60_sgpr61
                                        ; implicit-def: $sgpr62_sgpr63
	s_branch .LBB17_452
.LBB17_451:                             ;   in Loop: Header=BB17_452 Depth=3
	s_or_b64 exec, exec, s[66:67]
	s_and_b64 vcc, exec, vcc
	s_or_b64 s[58:59], vcc, s[58:59]
	s_andn2_b64 vcc, s[60:61], exec
	s_and_b64 s[60:61], s[62:63], exec
	s_or_b64 s[60:61], vcc, s[60:61]
	s_andn2_b64 exec, exec, s[58:59]
	s_cbranch_execz .LBB17_463
.LBB17_452:                             ;   Parent Loop BB17_47 Depth=1
                                        ;     Parent Loop BB17_266 Depth=2
                                        ; =>    This Inner Loop Header: Depth=3
	s_add_i32 s68, s68, 1
	s_cmpk_lg_i32 s68, 0x2710
	s_cselect_b64 s[64:65], -1, 0
	s_and_b64 vcc, exec, s[64:65]
                                        ; implicit-def: $sgpr66_sgpr67
	s_cbranch_vccnz .LBB17_454
; %bb.453:                              ;   in Loop: Header=BB17_452 Depth=3
	s_trap 2
	ds_read_b64 v[2:3], v0
	s_andn2_b64 s[64:65], s[64:65], exec
	s_mov_b32 s68, 0
	s_mov_b64 s[66:67], -1
	s_waitcnt vmcnt(0) lgkmcnt(0)
	flat_load_dword v1, v[2:3] sc0 sc1
	s_waitcnt vmcnt(0) lgkmcnt(0)
	buffer_inv sc0 sc1
	v_cmp_eq_u32_e32 vcc, 0, v1
	s_and_b64 vcc, vcc, exec
	s_or_b64 s[64:65], s[64:65], vcc
.LBB17_454:                             ;   in Loop: Header=BB17_452 Depth=3
	s_andn2_b64 s[62:63], s[62:63], exec
	s_and_b64 s[66:67], s[66:67], exec
	s_mov_b64 vcc, -1
	s_or_b64 s[62:63], s[62:63], s[66:67]
	s_and_saveexec_b64 s[66:67], s[64:65]
	s_cbranch_execz .LBB17_451
; %bb.455:                              ;   in Loop: Header=BB17_452 Depth=3
	s_sleep 1
	s_trap 2
	ds_read_b64 v[2:3], v0
	s_andn2_b64 s[62:63], s[62:63], exec
	s_waitcnt lgkmcnt(0)
	v_cmp_ge_u64_e32 vcc, v[2:3], v[48:49]
	s_orn2_b64 vcc, vcc, exec
	s_branch .LBB17_451
.LBB17_456:                             ;   in Loop: Header=BB17_266 Depth=2
	s_or_b64 exec, exec, s[58:59]
	s_and_saveexec_b64 vcc, s[60:61]
	s_xor_b64 vcc, exec, vcc
	s_cbranch_execz .LBB17_458
; %bb.457:                              ;   in Loop: Header=BB17_266 Depth=2
	ds_write_b32 v0, v24
	s_trap 2
.LBB17_458:                             ;   in Loop: Header=BB17_266 Depth=2
	s_or_b64 exec, exec, s[56:57]
	;;#ASMSTART
	s_wakeup
	;;#ASMEND
.LBB17_459:                             ;   in Loop: Header=BB17_266 Depth=2
	s_or_b64 exec, exec, s[54:55]
.LBB17_460:                             ;   in Loop: Header=BB17_266 Depth=2
	s_andn2_saveexec_b64 s[28:29], s[28:29]
	s_cbranch_execz .LBB17_462
; %bb.461:                              ;   in Loop: Header=BB17_266 Depth=2
	;;#ASMSTART
	s_waitcnt lgkmcnt(0) vmcnt(0)
	;;#ASMEND
	s_barrier
.LBB17_462:                             ;   in Loop: Header=BB17_266 Depth=2
	s_or_b64 exec, exec, s[28:29]
	v_and_b32_e32 v1, 16, v57
                                        ; implicit-def: $vgpr0
	s_andn2_saveexec_b64 s[26:27], s[26:27]
	s_cbranch_execz .LBB17_474
	s_branch .LBB17_471
.LBB17_463:                             ;   in Loop: Header=BB17_266 Depth=2
	s_or_b64 exec, exec, s[58:59]
	s_and_saveexec_b64 vcc, s[60:61]
	s_xor_b64 vcc, exec, vcc
	s_cbranch_execz .LBB17_465
; %bb.464:                              ;   in Loop: Header=BB17_266 Depth=2
	ds_write_b32 v0, v24
	s_trap 2
.LBB17_465:                             ;   in Loop: Header=BB17_266 Depth=2
	s_or_b64 exec, exec, s[56:57]
	;;#ASMSTART
	s_wakeup
	;;#ASMEND
.LBB17_466:                             ;   in Loop: Header=BB17_266 Depth=2
	s_or_b64 exec, exec, s[54:55]
.LBB17_467:                             ;   in Loop: Header=BB17_266 Depth=2
	s_andn2_saveexec_b64 s[28:29], s[28:29]
	s_cbranch_execz .LBB17_469
; %bb.468:                              ;   in Loop: Header=BB17_266 Depth=2
	s_waitcnt lgkmcnt(0)
	s_barrier
.LBB17_469:                             ;   in Loop: Header=BB17_266 Depth=2
	s_or_b64 exec, exec, s[28:29]
	s_or_b64 exec, exec, s[26:27]
                                        ; implicit-def: $vgpr1
	s_and_saveexec_b64 s[26:27], s[50:51]
	s_xor_b64 s[26:27], exec, s[26:27]
	s_cbranch_execnz .LBB17_433
.LBB17_470:                             ;   in Loop: Header=BB17_266 Depth=2
	s_andn2_saveexec_b64 s[26:27], s[26:27]
	s_cbranch_execz .LBB17_474
.LBB17_471:                             ;   in Loop: Header=BB17_266 Depth=2
	s_trap 2
	ds_read_b32 v2, v0
	v_cmp_lt_i32_e32 vcc, 0, v0
	v_and_b32_e32 v0, 16, v57
	v_and_b32_e32 v1, 16, v57
	s_waitcnt lgkmcnt(0)
	v_readfirstlane_b32 s28, v2
	s_cmp_eq_u32 s28, 0
	s_cselect_b64 s[28:29], -1, 0
	s_and_b64 s[28:29], vcc, s[28:29]
	v_cmp_ne_u32_e32 vcc, 0, v0
	s_and_b64 vcc, vcc, s[28:29]
	s_and_saveexec_b64 s[28:29], vcc
	s_cbranch_execz .LBB17_473
; %bb.472:                              ;   in Loop: Header=BB17_266 Depth=2
	v_mov_b32_e32 v1, 1
	buffer_wbl2 sc1
	s_waitcnt vmcnt(0)
	buffer_inv sc1
.LBB17_473:                             ;   in Loop: Header=BB17_266 Depth=2
	s_or_b64 exec, exec, s[28:29]
.LBB17_474:                             ;   in Loop: Header=BB17_266 Depth=2
	s_or_b64 exec, exec, s[26:27]
	v_cmp_ne_u32_e32 vcc, 0, v1
	s_xor_b64 s[26:27], s[10:11], -1
	s_and_b64 s[28:29], vcc, s[26:27]
	s_and_saveexec_b64 s[26:27], s[28:29]
	s_cbranch_execz .LBB17_476
; %bb.475:                              ;   in Loop: Header=BB17_266 Depth=2
	flat_store_dword v[36:37], v24 sc0 sc1
.LBB17_476:                             ;   in Loop: Header=BB17_266 Depth=2
	s_or_b64 exec, exec, s[26:27]
	v_and_b32_e32 v0, 48, v57
	v_cmp_ne_u32_e32 vcc, 0, v0
	s_and_saveexec_b64 s[26:27], vcc
	s_cbranch_execz .LBB17_264
; %bb.477:                              ;   in Loop: Header=BB17_266 Depth=2
	v_accvgpr_read_b32 v0, a10
	v_accvgpr_read_b32 v1, a11
	v_lshl_add_u64 v[0:1], v[0:1], 0, 4
	v_accvgpr_write_b32 a11, v1
	v_accvgpr_write_b32 a10, v0
	flat_store_dwordx2 v[46:47], v[0:1] sc0 sc1
	s_branch .LBB17_264
.LBB17_478:                             ;   in Loop: Header=BB17_47 Depth=1
	v_accvgpr_read_b32 v4, a60
	v_accvgpr_read_b32 v5, a61
	v_mul_lo_u32 v2, v5, s72
	v_mul_lo_u32 v3, v4, s73
	v_mad_u64_u32 v[0:1], s[26:27], v4, s72, 0
	v_add3_u32 v1, v1, v3, v2
	v_sub_co_u32_e32 v2, vcc, v14, v0
	s_nop 1
	v_subb_co_u32_e32 v3, vcc, v15, v1, vcc
	v_cmp_lt_i64_e32 vcc, v[4:5], v[2:3]
	s_nop 1
	v_cndmask_b32_e32 v2, v2, v4, vcc
	s_waitcnt lgkmcnt(0)
	v_max_i32_e32 v42, 0, v2
	v_add_u32_e32 v3, 15, v42
	v_ashrrev_i32_e32 v4, 31, v3
	v_lshrrev_b32_e32 v4, 28, v4
	v_add_u32_e32 v3, v3, v4
	v_cmp_gt_i32_e32 vcc, 1, v2
	v_and_b32_e32 v3, -16, v3
	s_or_b64 s[54:55], s[2:3], vcc
	v_max_i32_e32 v54, s80, v3
	s_xor_b64 s[26:27], s[54:55], -1
	v_mov_b32_e32 v4, 0
	s_and_saveexec_b64 s[56:57], s[26:27]
	s_cbranch_execz .LBB17_654
; %bb.479:                              ;   in Loop: Header=BB17_47 Depth=1
	s_and_saveexec_b64 s[26:27], s[0:1]
	s_cbranch_execz .LBB17_481
; %bb.480:                              ;   in Loop: Header=BB17_47 Depth=1
	v_accvgpr_read_b32 v3, a1
	s_trap 2
	ds_read2_b64 v[4:7], v0 offset1:1
	v_accvgpr_read_b32 v2, a0
	v_lshl_add_u64 v[0:1], v[0:1], 0, v[2:3]
	ds_read_b64 v[2:3], v0
	v_lshlrev_b64 v[0:1], 1, v[0:1]
	s_waitcnt lgkmcnt(0)
	v_lshl_add_u64 v[4:5], v[4:5], 0, v[0:1]
	ds_write_b64 v0, v[4:5]
	v_lshl_add_u64 v[4:5], v[6:7], 0, v[0:1]
	ds_write_b64 v0, v[4:5]
	v_lshl_add_u64 v[0:1], v[2:3], 0, v[0:1]
	v_cmp_ne_u64_e32 vcc, 0, v[2:3]
	s_nop 1
	v_cndmask_b32_e32 v1, 0, v1, vcc
	v_cndmask_b32_e32 v0, 0, v0, vcc
	ds_write_b64 v0, v[0:1]
.LBB17_481:                             ;   in Loop: Header=BB17_47 Depth=1
	s_or_b64 exec, exec, s[26:27]
	v_and_b32_e32 v0, 12, v57
	v_cmp_ne_u32_e32 vcc, 0, v0
	s_mov_b64 s[28:29], -1
	s_and_saveexec_b64 s[26:27], vcc
	s_cbranch_execz .LBB17_493
; %bb.482:                              ;   in Loop: Header=BB17_47 Depth=1
	v_accvgpr_read_b32 v0, a10
	v_and_b32_e32 v50, 8, v57
	v_accvgpr_read_b32 v1, a11
	v_lshl_add_u64 v[2:3], v[38:39], 0, v[50:51]
	v_lshl_add_u64 v[0:1], v[0:1], 0, 4
	v_cmp_lt_u64_e32 vcc, v[2:3], v[0:1]
	v_mov_b32_e32 v4, 1
	s_and_saveexec_b64 s[28:29], vcc
	s_cbranch_execz .LBB17_492
; %bb.483:                              ;   in Loop: Header=BB17_47 Depth=1
	s_mov_b64 s[30:31], 0
	v_mov_b32_e32 v4, 0
                                        ; implicit-def: $sgpr58_sgpr59
	s_branch .LBB17_487
.LBB17_484:                             ;   in Loop: Header=BB17_487 Depth=2
	s_or_b64 exec, exec, s[66:67]
	v_mov_b32_e32 v5, 0
	s_orn2_b64 s[64:65], s[64:65], exec
.LBB17_485:                             ;   in Loop: Header=BB17_487 Depth=2
	s_or_b64 exec, exec, s[62:63]
	s_andn2_b64 vcc, s[58:59], exec
	s_and_b64 s[58:59], s[64:65], exec
	s_or_b64 s[58:59], vcc, s[58:59]
	v_mov_b32_e32 v4, v5
.LBB17_486:                             ;   in Loop: Header=BB17_487 Depth=2
	s_or_b64 exec, exec, s[60:61]
	s_waitcnt vmcnt(0) lgkmcnt(0)
	v_lshl_add_u64 v[2:3], v[38:39], 0, v[50:51]
	v_cmp_ge_u64_e32 vcc, v[2:3], v[0:1]
	s_xor_b64 s[60:61], s[58:59], -1
	s_or_b64 vcc, s[60:61], vcc
	s_and_b64 vcc, exec, vcc
	s_or_b64 s[30:31], vcc, s[30:31]
	s_andn2_b64 exec, exec, s[30:31]
	s_cbranch_execz .LBB17_491
.LBB17_487:                             ;   Parent Loop BB17_47 Depth=1
                                        ; =>  This Inner Loop Header: Depth=2
	s_sleep 1
	flat_load_dwordx2 v[38:39], v[46:47] sc0 sc1
	v_and_b32_e32 v2, 64, v57
	v_cmp_eq_u32_e32 vcc, 0, v2
	s_andn2_b64 s[58:59], s[58:59], exec
	s_and_saveexec_b64 s[60:61], vcc
	s_cbranch_execz .LBB17_486
; %bb.488:                              ;   in Loop: Header=BB17_487 Depth=2
	v_add_u32_e32 v5, 1, v4
	v_cmp_lt_i32_e32 vcc, s84, v4
	s_mov_b64 s[64:65], -1
	s_and_saveexec_b64 s[62:63], vcc
	s_cbranch_execz .LBB17_485
; %bb.489:                              ;   in Loop: Header=BB17_487 Depth=2
	s_trap 2
	ds_read_b64 v[2:3], v0
	s_waitcnt vmcnt(0) lgkmcnt(0)
	flat_load_dword v4, v[2:3] sc0 sc1
	s_waitcnt vmcnt(0) lgkmcnt(0)
	buffer_inv sc0 sc1
	v_cmp_ne_u32_e32 vcc, 0, v4
	s_and_saveexec_b64 s[66:67], vcc
	s_cbranch_execz .LBB17_484
; %bb.490:                              ;   in Loop: Header=BB17_487 Depth=2
	v_or_b32_e32 v57, 64, v57
	s_xor_b64 s[64:65], exec, -1
	ds_write_b32 v0, v4
	s_trap 2
	s_branch .LBB17_484
.LBB17_491:                             ;   in Loop: Header=BB17_47 Depth=1
	s_or_b64 exec, exec, s[30:31]
	v_and_b32_e32 v4, 12, v57
.LBB17_492:                             ;   in Loop: Header=BB17_47 Depth=1
	s_or_b64 exec, exec, s[28:29]
	v_cmp_eq_u32_e32 vcc, 0, v4
	s_orn2_b64 s[28:29], vcc, exec
	;;#ASMSTART
	s_wakeup
	;;#ASMEND
.LBB17_493:                             ;   in Loop: Header=BB17_47 Depth=1
	s_or_b64 exec, exec, s[26:27]
	s_xor_b64 s[26:27], s[28:29], -1
	v_min_i32_e32 v54, v54, v42
	s_and_saveexec_b64 s[28:29], s[26:27]
	s_cbranch_execz .LBB17_505
; %bb.494:                              ;   in Loop: Header=BB17_47 Depth=1
	v_and_b32_e32 v0, 0x108, v57
	v_cmp_ne_u32_e32 vcc, s86, v0
	v_accvgpr_read_b32 v0, a10
	v_and_b32_e32 v0, 7, v0
	v_accvgpr_read_b32 v1, a11
	s_and_saveexec_b64 s[26:27], vcc
	s_xor_b64 s[26:27], exec, s[26:27]
	s_andn2_saveexec_b64 s[26:27], s[26:27]
	s_cbranch_execz .LBB17_496
; %bb.495:                              ;   in Loop: Header=BB17_47 Depth=1
	v_accvgpr_read_b32 v2, a32
	v_accvgpr_read_b32 v3, a33
	v_ashrrev_i32_e32 v55, 31, v54
	v_mad_u64_u32 v[2:3], vcc, v0, 24, v[2:3]
	v_lshlrev_b64 v[4:5], 1, v[54:55]
	flat_store_dwordx2 v[2:3], v[4:5] offset:8
.LBB17_496:                             ;   in Loop: Header=BB17_47 Depth=1
	s_or_b64 exec, exec, s[26:27]
	v_and_b32_e32 v1, 0x100, v57
	v_cmp_ne_u32_e32 vcc, 0, v1
	s_mov_b64 s[26:27], -1
                                        ; implicit-def: $vgpr4_vgpr5
	s_and_saveexec_b64 s[30:31], vcc
	s_cbranch_execz .LBB17_500
; %bb.497:                              ;   in Loop: Header=BB17_47 Depth=1
	v_accvgpr_read_b32 v2, a32
	v_accvgpr_read_b32 v3, a33
	v_mad_u64_u32 v[6:7], s[26:27], v0, 24, v[2:3]
	v_mov_b32_e32 v2, v7
	v_mad_u64_u32 v[2:3], s[26:27], v51, 24, v[2:3]
	v_mov_b32_e32 v7, v2
	flat_load_dword v1, v[6:7]
                                        ; implicit-def: $vgpr4_vgpr5
	s_waitcnt vmcnt(0) lgkmcnt(0)
	v_cmp_ne_u32_e32 vcc, 1, v1
	v_cmp_eq_u32_e64 s[26:27], 1, v1
	s_and_saveexec_b64 s[58:59], s[26:27]
	s_cbranch_execz .LBB17_499
; %bb.498:                              ;   in Loop: Header=BB17_47 Depth=1
	flat_load_dword v2, v[6:7] offset:4 sc0 sc1
	s_waitcnt vmcnt(0) lgkmcnt(0)
	v_ashrrev_i32_e32 v3, 31, v2
	v_lshrrev_b64 v[4:5], 1, v[2:3]
.LBB17_499:                             ;   in Loop: Header=BB17_47 Depth=1
	s_or_b64 exec, exec, s[58:59]
	s_orn2_b64 s[26:27], vcc, exec
.LBB17_500:                             ;   in Loop: Header=BB17_47 Depth=1
	s_or_b64 exec, exec, s[30:31]
	s_and_saveexec_b64 vcc, s[26:27]
; %bb.501:                              ;   in Loop: Header=BB17_47 Depth=1
	v_accvgpr_read_b32 v4, a20
	v_accvgpr_read_b32 v3, a21
	v_mul_lo_u32 v1, v51, v4
	v_mul_lo_u32 v2, v0, v3
	v_mad_u64_u32 v[4:5], s[26:27], v0, v4, 0
	v_add3_u32 v5, v5, v2, v1
; %bb.502:                              ;   in Loop: Header=BB17_47 Depth=1
	s_or_b64 exec, exec, vcc
	v_lshl_add_u64 v[0:1], v[4:5], 1, v[34:35]
	s_trap 2
	ds_write_b64 v0, v[0:1]
	v_and_b32_e32 v0, 0x2000, v57
	v_cmp_ne_u32_e32 vcc, 0, v0
	s_and_saveexec_b64 s[26:27], vcc
	s_cbranch_execz .LBB17_504
; %bb.503:                              ;   in Loop: Header=BB17_47 Depth=1
	ds_read_b64 v[0:1], v0 offset:584
	s_waitcnt lgkmcnt(0)
	v_lshl_add_u64 v[0:1], v[0:1], 0, 1
	ds_write_b64 v0, v[0:1] offset:584
.LBB17_504:                             ;   in Loop: Header=BB17_47 Depth=1
	s_or_b64 exec, exec, s[26:27]
	v_accvgpr_read_b32 v0, a10
	v_accvgpr_read_b32 v1, a11
	v_lshl_add_u64 v[0:1], v[0:1], 0, 4
	v_accvgpr_write_b32 a11, v1
	v_accvgpr_write_b32 a10, v0
.LBB17_505:                             ;   in Loop: Header=BB17_47 Depth=1
	s_or_b64 exec, exec, s[28:29]
	s_and_saveexec_b64 s[26:27], s[6:7]
	s_cbranch_execz .LBB17_524
; %bb.506:                              ;   in Loop: Header=BB17_47 Depth=1
	s_and_saveexec_b64 s[28:29], s[40:41]
	s_xor_b64 s[28:29], exec, s[28:29]
	s_cbranch_execz .LBB17_521
; %bb.507:                              ;   in Loop: Header=BB17_47 Depth=1
	s_and_saveexec_b64 s[30:31], s[14:15]
	s_cbranch_execz .LBB17_520
; %bb.508:                              ;   in Loop: Header=BB17_47 Depth=1
	s_mov_b64 s[60:61], exec
	v_mbcnt_lo_u32_b32 v0, s60, 0
	v_mbcnt_hi_u32_b32 v0, s61, v0
	v_cmp_eq_u32_e32 vcc, 0, v0
	s_waitcnt lgkmcnt(0)
	s_and_saveexec_b64 s[58:59], vcc
	s_cbranch_execz .LBB17_510
; %bb.509:                              ;   in Loop: Header=BB17_47 Depth=1
	s_bcnt1_i32_b64 vcc_lo, s[60:61]
	v_mov_b32_e32 v50, vcc_lo
	ds_add_u64 v0, v[50:51]
	s_trap 2
.LBB17_510:                             ;   in Loop: Header=BB17_47 Depth=1
	s_or_b64 exec, exec, s[58:59]
	s_trap 2
	ds_read_b64 v[0:1], v0
	v_lshl_add_u64 v[48:49], v[48:49], 0, v[32:33]
	s_waitcnt lgkmcnt(0)
	v_cmp_lt_u64_e32 vcc, v[0:1], v[48:49]
	s_and_saveexec_b64 s[58:59], vcc
	s_cbranch_execz .LBB17_519
; %bb.511:                              ;   in Loop: Header=BB17_47 Depth=1
	s_mov_b32 s70, 0
	s_mov_b64 s[60:61], 0
                                        ; implicit-def: $sgpr62_sgpr63
                                        ; implicit-def: $sgpr64_sgpr65
	s_branch .LBB17_513
.LBB17_512:                             ;   in Loop: Header=BB17_513 Depth=2
	s_or_b64 exec, exec, s[68:69]
	s_and_b64 vcc, exec, vcc
	s_or_b64 s[60:61], vcc, s[60:61]
	s_andn2_b64 vcc, s[62:63], exec
	s_and_b64 s[62:63], s[64:65], exec
	s_or_b64 s[62:63], vcc, s[62:63]
	s_andn2_b64 exec, exec, s[60:61]
	s_cbranch_execz .LBB17_517
.LBB17_513:                             ;   Parent Loop BB17_47 Depth=1
                                        ; =>  This Inner Loop Header: Depth=2
	s_add_i32 s70, s70, 1
	s_cmpk_lg_i32 s70, 0x2710
	s_cselect_b64 s[66:67], -1, 0
	s_and_b64 vcc, exec, s[66:67]
                                        ; implicit-def: $sgpr68_sgpr69
	s_cbranch_vccnz .LBB17_515
; %bb.514:                              ;   in Loop: Header=BB17_513 Depth=2
	s_trap 2
	ds_read_b64 v[0:1], v0
	s_andn2_b64 s[66:67], s[66:67], exec
	s_mov_b32 s70, 0
	s_mov_b64 s[68:69], -1
	s_waitcnt vmcnt(0) lgkmcnt(0)
	flat_load_dword v0, v[0:1] sc0 sc1
	s_waitcnt vmcnt(0) lgkmcnt(0)
	buffer_inv sc0 sc1
	v_cmp_eq_u32_e32 vcc, 0, v0
	s_and_b64 vcc, vcc, exec
	s_or_b64 s[66:67], s[66:67], vcc
.LBB17_515:                             ;   in Loop: Header=BB17_513 Depth=2
	s_andn2_b64 s[64:65], s[64:65], exec
	s_and_b64 s[68:69], s[68:69], exec
	s_mov_b64 vcc, -1
	s_or_b64 s[64:65], s[64:65], s[68:69]
	s_and_saveexec_b64 s[68:69], s[66:67]
	s_cbranch_execz .LBB17_512
; %bb.516:                              ;   in Loop: Header=BB17_513 Depth=2
	s_sleep 1
	s_trap 2
	ds_read_b64 v[0:1], v0
	s_andn2_b64 s[64:65], s[64:65], exec
	s_waitcnt lgkmcnt(0)
	v_cmp_ge_u64_e32 vcc, v[0:1], v[48:49]
	s_orn2_b64 vcc, vcc, exec
	s_branch .LBB17_512
.LBB17_517:                             ;   in Loop: Header=BB17_47 Depth=1
	s_or_b64 exec, exec, s[60:61]
	s_and_saveexec_b64 vcc, s[62:63]
	s_xor_b64 vcc, exec, vcc
	s_cbranch_execz .LBB17_519
; %bb.518:                              ;   in Loop: Header=BB17_47 Depth=1
	ds_write_b32 v0, v24
	s_trap 2
.LBB17_519:                             ;   in Loop: Header=BB17_47 Depth=1
	s_or_b64 exec, exec, s[58:59]
	;;#ASMSTART
	s_wakeup
	;;#ASMEND
.LBB17_520:                             ;   in Loop: Header=BB17_47 Depth=1
	s_or_b64 exec, exec, s[30:31]
.LBB17_521:                             ;   in Loop: Header=BB17_47 Depth=1
	s_andn2_saveexec_b64 s[28:29], s[28:29]
	s_cbranch_execz .LBB17_523
; %bb.522:                              ;   in Loop: Header=BB17_47 Depth=1
	s_waitcnt lgkmcnt(0)
	s_barrier
.LBB17_523:                             ;   in Loop: Header=BB17_47 Depth=1
	s_or_b64 exec, exec, s[28:29]
.LBB17_524:                             ;   in Loop: Header=BB17_47 Depth=1
	s_or_b64 exec, exec, s[26:27]
	s_trap 2
	ds_read_b32 v0, v0
	v_and_b32_e32 v1, 0x4000, v57
	v_cmp_ne_u32_e32 vcc, 0, v1
	s_xor_b64 s[26:27], s[4:5], -1
	s_and_b64 s[28:29], s[26:27], vcc
	s_and_saveexec_b64 s[26:27], s[28:29]
	s_cbranch_execz .LBB17_543
; %bb.525:                              ;   in Loop: Header=BB17_47 Depth=1
	s_and_saveexec_b64 s[28:29], s[40:41]
	s_xor_b64 s[28:29], exec, s[28:29]
	s_cbranch_execz .LBB17_540
; %bb.526:                              ;   in Loop: Header=BB17_47 Depth=1
	s_and_saveexec_b64 s[30:31], s[14:15]
	s_cbranch_execz .LBB17_539
; %bb.527:                              ;   in Loop: Header=BB17_47 Depth=1
	s_mov_b64 s[60:61], exec
	v_mbcnt_lo_u32_b32 v1, s60, 0
	v_mbcnt_hi_u32_b32 v1, s61, v1
	v_cmp_eq_u32_e32 vcc, 0, v1
	s_waitcnt lgkmcnt(0)
	s_and_saveexec_b64 s[58:59], vcc
	s_cbranch_execz .LBB17_529
; %bb.528:                              ;   in Loop: Header=BB17_47 Depth=1
	s_bcnt1_i32_b64 vcc_lo, s[60:61]
	v_mov_b32_e32 v50, vcc_lo
	ds_add_u64 v0, v[50:51]
	s_trap 2
.LBB17_529:                             ;   in Loop: Header=BB17_47 Depth=1
	s_or_b64 exec, exec, s[58:59]
	s_trap 2
	ds_read_b64 v[2:3], v0
	v_lshl_add_u64 v[48:49], v[48:49], 0, v[32:33]
	s_waitcnt lgkmcnt(0)
	v_cmp_lt_u64_e32 vcc, v[2:3], v[48:49]
	s_and_saveexec_b64 s[58:59], vcc
	s_cbranch_execz .LBB17_538
; %bb.530:                              ;   in Loop: Header=BB17_47 Depth=1
	s_mov_b32 s70, 0
	s_mov_b64 s[60:61], 0
                                        ; implicit-def: $sgpr62_sgpr63
                                        ; implicit-def: $sgpr64_sgpr65
	s_branch .LBB17_532
.LBB17_531:                             ;   in Loop: Header=BB17_532 Depth=2
	s_or_b64 exec, exec, s[68:69]
	s_and_b64 vcc, exec, vcc
	s_or_b64 s[60:61], vcc, s[60:61]
	s_andn2_b64 vcc, s[62:63], exec
	s_and_b64 s[62:63], s[64:65], exec
	s_or_b64 s[62:63], vcc, s[62:63]
	s_andn2_b64 exec, exec, s[60:61]
	s_cbranch_execz .LBB17_536
.LBB17_532:                             ;   Parent Loop BB17_47 Depth=1
                                        ; =>  This Inner Loop Header: Depth=2
	s_add_i32 s70, s70, 1
	s_cmpk_lg_i32 s70, 0x2710
	s_cselect_b64 s[66:67], -1, 0
	s_and_b64 vcc, exec, s[66:67]
                                        ; implicit-def: $sgpr68_sgpr69
	s_cbranch_vccnz .LBB17_534
; %bb.533:                              ;   in Loop: Header=BB17_532 Depth=2
	s_trap 2
	ds_read_b64 v[2:3], v0
	s_andn2_b64 s[66:67], s[66:67], exec
	s_mov_b32 s70, 0
	s_mov_b64 s[68:69], -1
	s_waitcnt vmcnt(0) lgkmcnt(0)
	flat_load_dword v1, v[2:3] sc0 sc1
	s_waitcnt vmcnt(0) lgkmcnt(0)
	buffer_inv sc0 sc1
	v_cmp_eq_u32_e32 vcc, 0, v1
	s_and_b64 vcc, vcc, exec
	s_or_b64 s[66:67], s[66:67], vcc
.LBB17_534:                             ;   in Loop: Header=BB17_532 Depth=2
	s_andn2_b64 s[64:65], s[64:65], exec
	s_and_b64 s[68:69], s[68:69], exec
	s_mov_b64 vcc, -1
	s_or_b64 s[64:65], s[64:65], s[68:69]
	s_and_saveexec_b64 s[68:69], s[66:67]
	s_cbranch_execz .LBB17_531
; %bb.535:                              ;   in Loop: Header=BB17_532 Depth=2
	s_sleep 1
	s_trap 2
	ds_read_b64 v[2:3], v0
	s_andn2_b64 s[64:65], s[64:65], exec
	s_waitcnt lgkmcnt(0)
	v_cmp_ge_u64_e32 vcc, v[2:3], v[48:49]
	s_orn2_b64 vcc, vcc, exec
	s_branch .LBB17_531
.LBB17_536:                             ;   in Loop: Header=BB17_47 Depth=1
	s_or_b64 exec, exec, s[60:61]
	s_and_saveexec_b64 vcc, s[62:63]
	s_xor_b64 vcc, exec, vcc
	s_cbranch_execz .LBB17_538
; %bb.537:                              ;   in Loop: Header=BB17_47 Depth=1
	ds_write_b32 v0, v24
	s_trap 2
.LBB17_538:                             ;   in Loop: Header=BB17_47 Depth=1
	s_or_b64 exec, exec, s[58:59]
	;;#ASMSTART
	s_wakeup
	;;#ASMEND
.LBB17_539:                             ;   in Loop: Header=BB17_47 Depth=1
	s_or_b64 exec, exec, s[30:31]
.LBB17_540:                             ;   in Loop: Header=BB17_47 Depth=1
	s_andn2_saveexec_b64 s[28:29], s[28:29]
	s_cbranch_execz .LBB17_542
; %bb.541:                              ;   in Loop: Header=BB17_47 Depth=1
	s_waitcnt lgkmcnt(0)
	s_barrier
.LBB17_542:                             ;   in Loop: Header=BB17_47 Depth=1
	s_or_b64 exec, exec, s[28:29]
.LBB17_543:                             ;   in Loop: Header=BB17_47 Depth=1
	s_or_b64 exec, exec, s[26:27]
	s_trap 2
	s_waitcnt lgkmcnt(0)
	ds_read_b64 v[2:3], v0
	s_waitcnt lgkmcnt(0)
	v_readfirstlane_b32 s26, v2
	v_readfirstlane_b32 s27, v3
	s_cmp_eq_u64 s[26:27], 0
	s_cselect_b64 s[26:27], -1, 0
	s_or_b64 s[28:29], s[26:27], s[26:27]
	s_mov_b64 s[26:27], 0
	s_and_b64 vcc, exec, s[28:29]
	s_cbranch_vccnz .LBB17_551
; %bb.544:                              ;   in Loop: Header=BB17_47 Depth=1
	s_trap 2
	ds_read_b64 v[2:3], v0
	v_cmp_eq_u32_e64 s[26:27], 0, v0
	s_waitcnt lgkmcnt(0)
	v_cmp_ne_u64_e32 vcc, 0, v[2:3]
	v_cndmask_b32_e64 v50, 0, v54, s[26:27]
	s_cbranch_vccz .LBB17_556
; %bb.545:                              ;   in Loop: Header=BB17_47 Depth=1
	s_trap 2
	ds_read_b64 v[44:45], v0
	s_mov_b64 s[28:29], -1
	s_and_saveexec_b64 s[26:27], s[20:21]
	s_cbranch_execz .LBB17_547
; %bb.546:                              ;   in Loop: Header=BB17_47 Depth=1
	ds_read_b32 v0, v0 offset:720
	s_waitcnt lgkmcnt(0)
	v_and_b32_e32 v0, 15, v0
	v_cmp_eq_u32_e32 vcc, 0, v0
	s_orn2_b64 s[28:29], vcc, exec
.LBB17_547:                             ;   in Loop: Header=BB17_47 Depth=1
	s_or_b64 exec, exec, s[26:27]
	s_and_saveexec_b64 s[26:27], s[20:21]
	s_cbranch_execz .LBB17_549
; %bb.548:                              ;   in Loop: Header=BB17_47 Depth=1
	ds_read_b32 v0, v0 offset:784
	s_waitcnt lgkmcnt(0)
	v_and_b32_e32 v0, 15, v0
	v_cmp_eq_u32_e32 vcc, 0, v0
	s_and_b64 vcc, s[28:29], vcc
	s_andn2_b64 s[28:29], s[28:29], exec
	s_and_b64 vcc, vcc, exec
	s_or_b64 s[28:29], s[28:29], vcc
.LBB17_549:                             ;   in Loop: Header=BB17_47 Depth=1
	s_or_b64 exec, exec, s[26:27]
	s_xor_b64 s[28:29], s[28:29], -1
	v_cndmask_b32_e64 v0, 0, 1, s[28:29]
	v_lshlrev_b32_e32 v55, 1, v50
	s_mov_b64 s[26:27], -1
	;;#ASMSTART
	;;#ASMEND
	v_mov_b32_e32 v12, 0
	v_cmp_ne_u32_e32 vcc, 0, v0
	s_cbranch_vccz .LBB17_557
; %bb.550:                              ;   in Loop: Header=BB17_47 Depth=1
	v_accvgpr_read_b32 v13, a41
	s_waitcnt vmcnt(0)
	v_mov_b32_e32 v0, v29
	s_and_saveexec_b64 s[30:31], s[26:27]
	s_cbranch_execnz .LBB17_572
	s_branch .LBB17_582
.LBB17_551:                             ;   in Loop: Header=BB17_47 Depth=1
	s_and_saveexec_b64 s[28:29], s[6:7]
	s_cbranch_execnz .LBB17_612
.LBB17_552:                             ;   in Loop: Header=BB17_47 Depth=1
	s_or_b64 exec, exec, s[28:29]
                                        ; implicit-def: $vgpr0
	s_and_saveexec_b64 s[28:29], s[22:23]
	s_xor_b64 s[28:29], exec, s[28:29]
	s_cbranch_execz .LBB17_630
.LBB17_553:                             ;   in Loop: Header=BB17_47 Depth=1
	v_and_b32_e32 v1, 16, v57
	v_cmp_ne_u32_e32 vcc, 0, v1
	v_and_b32_e32 v0, 16, v57
	s_and_b64 vcc, vcc, s[26:27]
	s_and_saveexec_b64 s[26:27], vcc
	s_cbranch_execz .LBB17_555
; %bb.554:                              ;   in Loop: Header=BB17_47 Depth=1
	v_mov_b32_e32 v0, 1
	buffer_wbl2 sc1
	s_waitcnt vmcnt(0) lgkmcnt(0)
	buffer_inv sc1
.LBB17_555:                             ;   in Loop: Header=BB17_47 Depth=1
	s_or_b64 exec, exec, s[26:27]
	s_andn2_saveexec_b64 s[26:27], s[28:29]
	s_cbranch_execz .LBB17_649
	s_branch .LBB17_631
.LBB17_556:                             ;   in Loop: Header=BB17_47 Depth=1
	s_cbranch_execnz .LBB17_583
	s_branch .LBB17_611
.LBB17_557:                             ;   in Loop: Header=BB17_47 Depth=1
	v_ashrrev_i32_e32 v0, 31, v55
	v_lshrrev_b32_e32 v0, 20, v0
	v_add_u32_e32 v0, v55, v0
	v_ashrrev_i32_e32 v0, 12, v0
	s_waitcnt vmcnt(0)
	v_sub_u32_e32 v53, v0, v29
	v_cmp_lt_i32_e32 vcc, 0, v53
	s_and_saveexec_b64 s[26:27], vcc
	s_cbranch_execz .LBB17_561
; %bb.558:                              ;   in Loop: Header=BB17_47 Depth=1
	scratch_store_dword off, v0, s33 offset:284 ; 4-byte Folded Spill
	scratch_store_dword off, v55, s33 offset:288 ; 4-byte Folded Spill
	;; [unrolled: 1-line block ×3, first 2 shown]
	scratch_store_dwordx2 off, v[54:55], s33 offset:300 ; 8-byte Folded Spill
	scratch_store_dword off, v42, s33 offset:296 ; 4-byte Folded Spill
	scratch_store_dwordx2 off, v[50:51], s33 offset:308 ; 8-byte Folded Spill
	s_trap 2
	ds_read_b128 v[8:11], v0
	scratch_load_dwordx2 v[0:1], off, s33 offset:184 ; 8-byte Folded Reload
	v_accvgpr_mov_b32 a4, a10
	v_accvgpr_write_b32 a26, v48
	v_accvgpr_write_b32 a14, v38
	v_accvgpr_mov_b32 a5, a11
	s_waitcnt lgkmcnt(1)
	v_accvgpr_write_b32 a6, v44
	v_accvgpr_write_b32 a18, v32
	v_accvgpr_mov_b32 a10, a52
	v_accvgpr_write_b32 a27, v49
	v_accvgpr_write_b32 a15, v39
	;; [unrolled: 1-line block ×3, first 2 shown]
	s_mov_b64 s[28:29], 0
	v_accvgpr_write_b32 a19, v33
	v_accvgpr_mov_b32 a11, a53
	s_waitcnt vmcnt(0)
	v_lshl_add_u64 v[6:7], v[44:45], 0, v[0:1]
	s_waitcnt lgkmcnt(0)
	v_lshl_add_u64 v[28:29], v[8:9], 0, v[0:1]
	v_lshl_add_u64 v[0:1], v[10:11], 0, v[0:1]
	v_mov_b64_e32 v[44:45], v[28:29]
	v_mov_b64_e32 v[4:5], v[0:1]
.LBB17_559:                             ;   Parent Loop BB17_47 Depth=1
                                        ; =>  This Inner Loop Header: Depth=2
	global_load_dwordx4 v[16:19], v[0:1], off nt
	global_load_dwordx4 v[20:23], v[28:29], off nt
	global_load_dwordx4 v[24:27], v[28:29], off offset:1024 nt
	global_load_dwordx4 v[30:33], v[0:1], off offset:1024 nt
	;; [unrolled: 1-line block ×5, first 2 shown]
	s_waitcnt vmcnt(5)
	v_mul_f16_e32 v46, v20, v16
	v_mul_f16_sdwa v41, v20, v16 dst_sel:DWORD dst_unused:UNUSED_PAD src0_sel:WORD_1 src1_sel:WORD_1
	v_mul_f16_e32 v56, v21, v17
	v_mul_f16_sdwa v2, v21, v17 dst_sel:DWORD dst_unused:UNUSED_PAD src0_sel:WORD_1 src1_sel:WORD_1
	s_waitcnt vmcnt(1)
	v_mul_f16_e32 v12, v50, v36
	v_mul_f16_e32 v54, v22, v18
	v_mul_f16_sdwa v52, v22, v18 dst_sel:DWORD dst_unused:UNUSED_PAD src0_sel:WORD_1 src1_sel:WORD_1
	v_mul_f16_e32 v3, v23, v19
	v_mul_f16_sdwa v13, v23, v19 dst_sel:DWORD dst_unused:UNUSED_PAD src0_sel:WORD_1 src1_sel:WORD_1
	v_accvgpr_write_b32 a38, v12
	v_mul_f16_sdwa v12, v50, v36 dst_sel:DWORD dst_unused:UNUSED_PAD src0_sel:WORD_1 src1_sel:WORD_1
	v_mul_f16_e32 v50, v51, v37
	v_mul_f16_sdwa v58, v51, v37 dst_sel:DWORD dst_unused:UNUSED_PAD src0_sel:WORD_1 src1_sel:WORD_1
	global_load_dwordx4 v[36:39], v[0:1], off offset:3072 nt
	global_load_dwordx4 v[20:23], v[6:7], off nt
	v_mul_f16_e32 v55, v24, v30
	v_mul_f16_sdwa v59, v24, v30 dst_sel:DWORD dst_unused:UNUSED_PAD src0_sel:WORD_1 src1_sel:WORD_1
	v_mul_f16_e32 v15, v25, v31
	v_mul_f16_sdwa v17, v25, v31 dst_sel:DWORD dst_unused:UNUSED_PAD src0_sel:WORD_1 src1_sel:WORD_1
	;; [unrolled: 2-line block ×4, first 2 shown]
	v_accvgpr_write_b32 a32, v2
	v_mul_f16_e32 v40, v48, v34
	v_mul_f16_sdwa v42, v48, v34 dst_sel:DWORD dst_unused:UNUSED_PAD src0_sel:WORD_1 src1_sel:WORD_1
	v_mul_f16_e32 v43, v49, v35
	v_mul_f16_sdwa v47, v49, v35 dst_sel:DWORD dst_unused:UNUSED_PAD src0_sel:WORD_1 src1_sel:WORD_1
	v_accvgpr_write_b32 a39, v12
	v_accvgpr_write_b32 a20, v56
	v_mov_b32_e32 v18, v54
	v_mov_b32_e32 v33, v46
	v_accvgpr_write_b32 a46, v17
	v_accvgpr_write_b32 a34, v43
	v_accvgpr_write_b32 a33, v3
	v_accvgpr_write_b32 a35, v13
	v_accvgpr_write_b32 a40, v15
	v_accvgpr_write_b32 a55, v19
	v_accvgpr_write_b32 a63, v30
	v_accvgpr_write_b32 a29, v47
	s_waitcnt vmcnt(1)
	v_mul_f16_e32 v27, v8, v36
	v_mul_f16_sdwa v26, v8, v36 dst_sel:DWORD dst_unused:UNUSED_PAD src0_sel:WORD_1 src1_sel:WORD_1
	s_waitcnt vmcnt(0)
	v_mul_f16_e32 v8, v46, v20
	v_mul_f16_e32 v25, v10, v38
	v_mul_f16_sdwa v24, v10, v38 dst_sel:DWORD dst_unused:UNUSED_PAD src0_sel:WORD_1 src1_sel:WORD_1
	v_accvgpr_write_b32 a54, v8
	v_mov_b32_e32 v8, v41
	v_mul_f16_sdwa v51, v2, v21 dst_sel:WORD_1 dst_unused:UNUSED_PAD src0_sel:DWORD src1_sel:WORD_1
	v_mul_f16_e32 v2, v54, v22
	v_mov_b32_e32 v10, v52
	v_mul_f16_e32 v14, v9, v37
	v_mul_f16_sdwa v12, v9, v37 dst_sel:DWORD dst_unused:UNUSED_PAD src0_sel:WORD_1 src1_sel:WORD_1
	v_mul_f16_e32 v38, v11, v39
	v_mul_f16_sdwa v16, v11, v39 dst_sel:DWORD dst_unused:UNUSED_PAD src0_sel:WORD_1 src1_sel:WORD_1
	v_mul_f16_sdwa v9, v8, v20 dst_sel:WORD_1 dst_unused:UNUSED_PAD src0_sel:DWORD src1_sel:WORD_1
	v_mul_f16_e32 v49, v56, v21
	v_accvgpr_write_b32 a62, v2
	v_mul_f16_sdwa v2, v10, v22 dst_sel:WORD_1 dst_unused:UNUSED_PAD src0_sel:DWORD src1_sel:WORD_1
	v_mul_f16_e32 v48, v3, v23
	v_mul_f16_sdwa v39, v13, v23 dst_sel:WORD_1 dst_unused:UNUSED_PAD src0_sel:DWORD src1_sel:WORD_1
	global_load_dwordx4 v[20:23], v[6:7], off offset:1024 nt
	v_mov_b32_e32 v46, v42
	v_accvgpr_read_b32 v42, a38
	v_accvgpr_write_b32 a57, v9
	v_accvgpr_write_b32 a2, v2
	;; [unrolled: 1-line block ×4, first 2 shown]
	v_lshlrev_b32_e32 v10, 16, v10
	v_or3_b32 v10, v10, v18, 0
	v_accvgpr_write_b32 a38, v50
	v_lshlrev_b32_e32 v8, 16, v8
	v_or3_b32 v8, v8, v33, 0
	v_accvgpr_write_b32 a56, v16
	s_waitcnt vmcnt(0)
	v_mul_f16_e32 v35, v55, v20
	v_mul_f16_sdwa v41, v59, v20 dst_sel:WORD_1 dst_unused:UNUSED_PAD src0_sel:DWORD src1_sel:WORD_1
	v_mul_f16_e32 v32, v15, v21
	v_mul_f16_sdwa v54, v17, v21 dst_sel:WORD_1 dst_unused:UNUSED_PAD src0_sel:DWORD src1_sel:WORD_1
	;; [unrolled: 2-line block ×4, first 2 shown]
	global_load_dwordx4 v[20:23], v[6:7], off offset:2048 nt
	v_or_b32_e32 v33, v54, v32
	v_or_b32_e32 v32, v41, v35
	;; [unrolled: 1-line block ×4, first 2 shown]
	s_waitcnt vmcnt(0)
	v_mul_f16_e32 v17, v43, v21
	v_accvgpr_read_b32 v43, a39
	v_mul_f16_e32 v36, v40, v20
	v_mul_f16_sdwa v30, v46, v20 dst_sel:WORD_1 dst_unused:UNUSED_PAD src0_sel:DWORD src1_sel:WORD_1
	v_mul_f16_sdwa v13, v47, v21 dst_sel:WORD_1 dst_unused:UNUSED_PAD src0_sel:DWORD src1_sel:WORD_1
	v_mul_f16_e32 v19, v42, v22
	v_mul_f16_sdwa v15, v43, v22 dst_sel:WORD_1 dst_unused:UNUSED_PAD src0_sel:DWORD src1_sel:WORD_1
	v_mul_f16_e32 v9, v50, v23
	v_mul_f16_sdwa v3, v58, v23 dst_sel:WORD_1 dst_unused:UNUSED_PAD src0_sel:DWORD src1_sel:WORD_1
	global_load_dwordx4 v[20:23], v[6:7], off offset:3072 nt
	v_accvgpr_write_b32 a39, v58
	v_or_b32_e32 v37, v13, v17
	v_accvgpr_read_b32 v13, a40
	v_accvgpr_read_b32 v17, a34
	v_or_b32_e32 v36, v30, v36
	s_waitcnt vmcnt(0)
	v_mul_f16_e32 v2, v27, v20
	v_mul_f16_sdwa v52, v26, v20 dst_sel:WORD_1 dst_unused:UNUSED_PAD src0_sel:DWORD src1_sel:WORD_1
	v_mul_f16_e32 v58, v14, v21
	v_lshlrev_b32_e32 v14, 16, v59
	v_lshlrev_b32_e32 v20, 16, v60
	v_mul_f16_sdwa v21, v12, v21 dst_sel:WORD_1 dst_unused:UNUSED_PAD src0_sel:DWORD src1_sel:WORD_1
	v_mul_f16_e32 v11, v25, v22
	v_or3_b32 v12, v14, v55, 0
	v_or3_b32 v14, v20, v31, 0
	v_lshlrev_b32_e32 v20, 16, v43
	v_accvgpr_write_b32 a3, v11
	v_mov_b32_e32 v11, v38
	v_or3_b32 v18, v20, v42, 0
	v_lshlrev_b32_e32 v20, 16, v26
	v_mul_f16_sdwa v47, v24, v22 dst_sel:WORD_1 dst_unused:UNUSED_PAD src0_sel:DWORD src1_sel:WORD_1
	v_mul_f16_e32 v50, v11, v23
	v_mul_f16_sdwa v23, v16, v23 dst_sel:WORD_1 dst_unused:UNUSED_PAD src0_sel:DWORD src1_sel:WORD_1
	v_lshlrev_b32_e32 v22, 16, v24
	v_or3_b32 v20, v20, v27, 0
	v_or_b32_e32 v27, v39, v48
	v_or_b32_e32 v48, v52, v2
	v_accvgpr_read_b32 v2, a3
	v_or3_b32 v22, v22, v25, 0
	v_or_b32_e32 v25, v51, v49
	v_or_b32_e32 v51, v23, v50
	;; [unrolled: 1-line block ×3, first 2 shown]
	v_accvgpr_read_b32 v2, a32
	v_or_b32_e32 v39, v3, v9
	v_lshlrev_b32_e32 v2, 16, v2
	v_accvgpr_read_b32 v3, a20
	v_or_b32_e32 v2, v2, v3
	v_accvgpr_read_b32 v3, a35
	v_lshlrev_b32_e32 v3, 16, v3
	v_accvgpr_read_b32 v9, a33
	v_or_b32_e32 v3, v3, v9
	v_accvgpr_read_b32 v9, a46
	v_lshlrev_b32_e32 v9, 16, v9
	v_or_b32_e32 v13, v9, v13
	v_accvgpr_read_b32 v9, a63
	v_or_b32_e32 v38, v15, v19
	v_lshlrev_b32_e32 v9, 16, v9
	v_accvgpr_read_b32 v15, a55
	v_or_b32_e32 v15, v9, v15
	v_accvgpr_read_b32 v9, a29
	v_lshlrev_b32_e32 v9, 16, v9
	v_or_b32_e32 v17, v9, v17
	v_accvgpr_read_b32 v9, a39
	v_lshlrev_b32_e32 v9, 16, v9
	v_accvgpr_read_b32 v19, a38
	v_or_b32_e32 v19, v9, v19
	v_accvgpr_read_b32 v9, a47
	v_or_b32_e32 v49, v21, v58
	v_lshlrev_b32_e32 v9, 16, v9
	v_accvgpr_read_b32 v21, a28
	v_or_b32_e32 v21, v9, v21
	v_accvgpr_read_b32 v9, a56
	v_accvgpr_read_b32 v24, a54
	;; [unrolled: 1-line block ×3, first 2 shown]
	v_lshlrev_b32_e32 v9, 16, v9
	v_or_b32_e32 v24, v26, v24
	v_accvgpr_read_b32 v26, a62
	v_accvgpr_read_b32 v31, a2
	v_or_b32_e32 v23, v9, v11
	v_or3_b32 v9, 0, 0, v2
	v_or3_b32 v11, 0, 0, v3
	v_accvgpr_read_b32 v2, a18
	v_or_b32_e32 v26, v31, v26
	v_accvgpr_read_b32 v31, a11
	v_sub_u32_e32 v53, v53, v2
	v_lshlrev_b32_e32 v16, 16, v46
	v_accvgpr_read_b32 v30, a10
	v_cmp_gt_i32_e32 vcc, 1, v53
	v_or3_b32 v16, v16, v40, 0
	v_lshl_add_u64 v[28:29], v[28:29], 0, v[30:31]
	v_lshl_add_u64 v[0:1], v[0:1], 0, v[30:31]
	;; [unrolled: 1-line block ×3, first 2 shown]
	s_or_b64 s[28:29], vcc, s[28:29]
	v_or3_b32 v13, 0, 0, v13
	v_or3_b32 v15, 0, 0, v15
	;; [unrolled: 1-line block ×6, first 2 shown]
	global_store_dwordx4 v[44:45], v[24:27], off nt
	global_store_dwordx4 v[44:45], v[32:35], off offset:1024 nt
	global_store_dwordx4 v[44:45], v[36:39], off offset:2048 nt
	;; [unrolled: 1-line block ×3, first 2 shown]
	v_lshl_add_u64 v[44:45], v[44:45], 0, v[30:31]
	global_store_dwordx4 v[4:5], v[8:11], off nt
	global_store_dwordx4 v[4:5], v[12:15], off offset:1024 nt
	global_store_dwordx4 v[4:5], v[16:19], off offset:2048 nt
	;; [unrolled: 1-line block ×3, first 2 shown]
	v_lshl_add_u64 v[4:5], v[4:5], 0, v[30:31]
	v_accvgpr_read_b32 v3, a19
	s_andn2_b64 exec, exec, s[28:29]
	s_cbranch_execnz .LBB17_559
; %bb.560:                              ;   in Loop: Header=BB17_47 Depth=1
	s_or_b64 exec, exec, s[28:29]
	scratch_load_dwordx2 a[62:63], off, s33 offset:244 ; 8-byte Folded Reload
	scratch_load_dwordx2 v[50:51], off, s33 offset:308 ; 8-byte Folded Reload
	scratch_load_dwordx2 v[0:1], off, s33 offset:220 ; 8-byte Folded Reload
	scratch_load_dword v25, off, s33 offset:208 ; 4-byte Folded Reload
	scratch_load_dwordx2 v[26:27], off, s33 offset:200 ; 8-byte Folded Reload
	scratch_load_dword v29, off, s33 offset:212 ; 4-byte Folded Reload
	scratch_load_dword v42, off, s33 offset:296 ; 4-byte Folded Reload
	scratch_load_dwordx2 v[54:55], off, s33 offset:300 ; 8-byte Folded Reload
	scratch_load_dword v50, off, s33 offset:292 ; 4-byte Folded Reload
	v_accvgpr_read_b32 v41, a9
	v_accvgpr_mov_b32 a11, a5
	v_accvgpr_mov_b32 a33, a17
	v_accvgpr_read_b32 v35, a23
	v_accvgpr_read_b32 v37, a25
	;; [unrolled: 1-line block ×10, first 2 shown]
	v_accvgpr_mov_b32 a10, a4
	v_accvgpr_mov_b32 a32, a16
	v_accvgpr_read_b32 v34, a22
	v_accvgpr_read_b32 v36, a24
	;; [unrolled: 1-line block ×8, first 2 shown]
	v_mov_b32_e32 v24, 1
	v_accvgpr_read_b32 v44, a6
	s_waitcnt vmcnt(6)
	v_accvgpr_write_b32 a20, v0
	scratch_load_dword v55, off, s33 offset:288 ; 4-byte Folded Reload
	scratch_load_dword v0, off, s33 offset:284 ; 4-byte Folded Reload
	;; [unrolled: 1-line block ×3, first 2 shown]
.LBB17_561:                             ;   in Loop: Header=BB17_47 Depth=1
	s_or_b64 exec, exec, s[26:27]
	s_waitcnt vmcnt(1)
	v_lshlrev_b32_e32 v18, 12, v0
	v_cmp_ne_u32_e32 vcc, v55, v18
	s_mov_b64 s[26:27], 0
	v_mov_b32_e32 v12, 0
                                        ; implicit-def: $vgpr13
                                        ; implicit-def: $vgpr0
	s_and_saveexec_b64 s[58:59], vcc
	s_cbranch_execz .LBB17_571
; %bb.562:                              ;   in Loop: Header=BB17_47 Depth=1
	scratch_load_dword v2, off, s33 offset:216 ; 4-byte Folded Reload
	v_lshlrev_b32_e32 v0, 6, v53
	v_sub_u32_e32 v1, v55, v18
	s_waitcnt vmcnt(0)
	v_sub_u32_e32 v0, v2, v0
	v_ashrrev_i32_e32 v2, 31, v0
	v_lshrrev_b32_e32 v2, 26, v2
	v_add_u32_e32 v2, v0, v2
	v_ashrrev_i32_e32 v3, 6, v2
	v_and_b32_e32 v2, 0xffffffc0, v2
	v_sub_u32_e32 v20, v0, v2
	v_ashrrev_i32_e32 v2, 31, v1
	v_lshrrev_b32_e32 v2, 22, v2
	v_add_u32_e32 v2, v1, v2
	v_and_b32_e32 v21, 0xfffffc00, v2
	v_lshlrev_b32_e32 v0, 4, v20
	v_sub_u32_e32 v23, v1, v21
	v_lshl_add_u32 v0, v3, 10, v0
	v_ashrrev_i32_e32 v4, 10, v2
	v_cmp_lt_i32_e64 s[26:27], 15, v23
	v_sub_u32_e32 v24, v1, v0
	s_nop 0
	v_addc_co_u32_e64 v1, vcc, 0, v4, s[26:27]
	v_sub_u32_e32 v22, v1, v3
	v_cmp_lt_i32_e32 vcc, 15, v24
	s_and_saveexec_b64 s[60:61], vcc
	s_cbranch_execz .LBB17_568
; %bb.563:                              ;   in Loop: Header=BB17_47 Depth=1
	s_trap 2
	ds_read_b128 v[4:7], v0
	v_add_u32_e32 v2, v0, v18
	v_ashrrev_i32_e32 v3, 31, v2
	s_waitcnt lgkmcnt(1)
	v_lshl_add_u64 v[0:1], v[2:3], 0, v[44:45]
	s_mov_b64 s[62:63], 0
	s_waitcnt lgkmcnt(0)
	v_lshl_add_u64 v[4:5], v[4:5], 0, v[2:3]
	v_lshl_add_u64 v[6:7], v[6:7], 0, v[2:3]
	v_mov_b64_e32 v[8:9], v[4:5]
	v_mov_b64_e32 v[10:11], v[6:7]
.LBB17_564:                             ;   Parent Loop BB17_47 Depth=1
                                        ; =>  This Loop Header: Depth=2
                                        ;       Child Loop BB17_565 Depth 3
	global_load_dwordx4 v[12:15], v[8:9], off nt
	global_load_dwordx4 v[26:29], v[10:11], off nt
	;; [unrolled: 1-line block ×3, first 2 shown]
	s_mov_b64 s[64:65], -1
	s_mov_b64 s[66:67], 0
	s_waitcnt vmcnt(1)
	v_mul_f16_e32 v2, v12, v26
	v_mul_f16_sdwa v3, v12, v26 dst_sel:DWORD dst_unused:UNUSED_PAD src0_sel:WORD_1 src1_sel:WORD_1
	v_mul_f16_e32 v12, v13, v27
	v_mul_f16_sdwa v13, v13, v27 dst_sel:DWORD dst_unused:UNUSED_PAD src0_sel:WORD_1 src1_sel:WORD_1
	;; [unrolled: 2-line block ×4, first 2 shown]
	v_lshlrev_b32_e32 v19, 16, v13
	v_lshlrev_b32_e32 v25, 16, v3
	;; [unrolled: 1-line block ×4, first 2 shown]
	s_waitcnt vmcnt(0)
	v_mul_f16_e32 v28, v2, v30
	v_mul_f16_sdwa v3, v3, v30 dst_sel:WORD_1 dst_unused:UNUSED_PAD src0_sel:DWORD src1_sel:WORD_1
	v_mul_f16_e32 v29, v12, v31
	v_mul_f16_sdwa v13, v13, v31 dst_sel:WORD_1 dst_unused:UNUSED_PAD src0_sel:DWORD src1_sel:WORD_1
	;; [unrolled: 2-line block ×4, first 2 shown]
	v_or_b32_e32 v19, v19, v12
	v_or3_b32 v2, v25, v2, 0
	v_or_b32_e32 v25, v26, v17
	v_or3_b32 v12, v27, v16, 0
	v_or_b32_e32 v13, v13, v29
	v_or_b32_e32 v14, v3, v28
	;; [unrolled: 1-line block ×4, first 2 shown]
	v_or3_b32 v17, 0, 0, v19
	v_or3_b32 v19, 0, 0, v25
.LBB17_565:                             ;   Parent Loop BB17_47 Depth=1
                                        ;     Parent Loop BB17_564 Depth=2
                                        ; =>    This Inner Loop Header: Depth=3
	v_cndmask_b32_e64 v3, 0, 1, s[64:65]
	v_cndmask_b32_e64 v27, v17, v13, s[64:65]
	v_readfirstlane_b32 s28, v3
	s_cmp_lg_u32 s28, 1
	s_cselect_b64 vcc, -1, 0
	s_cmp_eq_u32 s66, 1
	s_cselect_b64 s[28:29], -1, 0
	v_cndmask_b32_e64 v26, v2, v14, s[64:65]
	v_cndmask_b32_e64 v29, v19, v15, s[64:65]
	;; [unrolled: 1-line block ×3, first 2 shown]
	v_cndmask_b32_e32 v31, v5, v7, vcc
	v_cndmask_b32_e32 v30, v4, v6, vcc
	v_cndmask_b32_e64 v33, v5, v7, s[28:29]
	s_cmp_eq_u32 s66, 0
	v_cndmask_b32_e64 v32, v4, v6, s[28:29]
	global_store_dwordx4 v[30:31], v[26:29], off nt
	s_cselect_b64 s[30:31], -1, 0
	s_mov_b64 s[64:65], 0
	v_lshl_add_u64 v[26:27], v[32:33], 0, s[42:43]
	s_mov_b64 s[66:67], 1
	s_and_b64 vcc, exec, vcc
	v_cndmask_b32_e64 v7, v7, v27, s[28:29]
	v_cndmask_b32_e64 v6, v6, v26, s[28:29]
	;; [unrolled: 1-line block ×4, first 2 shown]
	s_cbranch_vccz .LBB17_565
; %bb.566:                              ;   in Loop: Header=BB17_564 Depth=2
	v_accvgpr_read_b32 v12, a48
	v_accvgpr_read_b32 v2, a36
	v_sub_u32_e32 v24, v24, v56
	v_accvgpr_read_b32 v33, a31
	v_accvgpr_read_b32 v13, a49
	;; [unrolled: 1-line block ×3, first 2 shown]
	v_cmp_gt_i32_e32 vcc, 16, v24
	v_accvgpr_read_b32 v32, a30
	v_lshl_add_u64 v[8:9], v[8:9], 0, v[12:13]
	v_lshl_add_u64 v[10:11], v[10:11], 0, v[12:13]
	v_lshl_add_u64 v[4:5], v[4:5], 0, v[2:3]
	v_lshl_add_u64 v[6:7], v[6:7], 0, v[2:3]
	v_lshl_add_u64 v[0:1], v[0:1], 0, v[12:13]
	s_or_b64 s[62:63], vcc, s[62:63]
	v_sub_u32_e32 v22, v22, v32
	s_andn2_b64 exec, exec, s[62:63]
	s_cbranch_execnz .LBB17_564
; %bb.567:                              ;   in Loop: Header=BB17_47 Depth=1
	s_or_b64 exec, exec, s[62:63]
	scratch_load_dword v25, off, s33 offset:208 ; 4-byte Folded Reload
	scratch_load_dwordx2 v[26:27], off, s33 offset:200 ; 8-byte Folded Reload
	scratch_load_dword v29, off, s33 offset:212 ; 4-byte Folded Reload
.LBB17_568:                             ;   in Loop: Header=BB17_47 Depth=1
	s_or_b64 exec, exec, s[60:61]
	v_and_b32_e32 v1, 14, v55
	v_cndmask_b32_e64 v55, v23, v1, s[26:27]
	s_mov_b64 s[28:29], 0
	v_mov_b32_e32 v12, 0
	v_cmp_ne_u32_e32 vcc, 0, v55
                                        ; implicit-def: $vgpr13
                                        ; implicit-def: $vgpr0
	s_mov_b64 s[30:31], exec
	s_and_b64 vcc, s[30:31], vcc
	v_mov_b32_e32 v24, 1
	s_mov_b64 exec, vcc
	s_cbranch_execz .LBB17_570
; %bb.569:                              ;   in Loop: Header=BB17_47 Depth=1
	v_sub_u32_e32 v0, v23, v1
	v_cndmask_b32_e64 v0, 0, v0, s[26:27]
	v_cmp_lt_i32_e32 vcc, 0, v22
	v_add3_u32 v12, v21, v18, v0
	s_mov_b64 s[28:29], exec
	v_cndmask_b32_e32 v0, 0, v32, vcc
	v_sub_u32_e32 v0, v0, v22
	v_lshl_add_u32 v13, v0, 6, v20
	v_ashrrev_i32_e32 v0, 31, v13
	v_lshrrev_b32_e32 v0, 26, v0
	v_add_u32_e32 v0, v13, v0
	v_ashrrev_i32_e32 v0, 6, v0
.LBB17_570:                             ;   in Loop: Header=BB17_47 Depth=1
	s_or_b64 exec, exec, s[30:31]
	v_accvgpr_read_b32 v22, a42
	v_accvgpr_read_b32 v20, a50
	s_and_b64 s[26:27], s[28:29], exec
	v_accvgpr_read_b32 v23, a43
	v_accvgpr_read_b32 v21, a51
.LBB17_571:                             ;   in Loop: Header=BB17_47 Depth=1
	s_or_b64 exec, exec, s[58:59]
	scratch_load_dwordx2 v[46:47], off, s33 offset:236 ; 8-byte Folded Reload
	scratch_load_dwordx2 v[18:19], off, s33 offset:192 ; 8-byte Folded Reload
	s_and_saveexec_b64 s[30:31], s[26:27]
	s_cbranch_execz .LBB17_582
.LBB17_572:                             ;   in Loop: Header=BB17_47 Depth=1
	v_ashrrev_i32_e32 v1, 31, v55
	v_lshrrev_b32_e32 v1, 21, v1
	v_add_u32_e32 v1, v55, v1
	v_ashrrev_i32_e32 v3, 11, v1
	v_sub_u32_e32 v2, v3, v0
	v_ashrrev_i32_e32 v1, 31, v13
	v_cmp_lt_i32_e32 vcc, 0, v2
	v_lshrrev_b32_e32 v43, 26, v1
	s_and_saveexec_b64 s[26:27], vcc
	s_cbranch_execz .LBB17_576
; %bb.573:                              ;   in Loop: Header=BB17_47 Depth=1
	v_add_u32_e32 v1, v13, v43
	v_and_b32_e32 v1, 0x7fffffc0, v1
	s_trap 2
	ds_read_b128 v[4:7], v0
	v_sub_u32_e32 v1, v13, v1
	v_lshlrev_b32_e32 v1, 1, v1
	v_lshlrev_b32_e32 v0, 11, v0
	v_add3_u32 v8, v1, v12, v0
	v_ashrrev_i32_e32 v9, 31, v8
	v_accvgpr_write_b32 a26, v48
	v_accvgpr_write_b32 a14, v38
	s_waitcnt lgkmcnt(1)
	v_accvgpr_write_b32 a6, v44
	s_waitcnt lgkmcnt(0)
	v_lshl_add_u64 v[4:5], v[4:5], 0, v[8:9]
	v_lshl_add_u64 v[6:7], v[6:7], 0, v[8:9]
	v_accvgpr_read_b32 v14, a44
	v_accvgpr_write_b32 a2, v3
	v_accvgpr_write_b32 a34, v55
	;; [unrolled: 1-line block ×9, first 2 shown]
	v_lshl_add_u64 v[0:1], v[8:9], 0, v[44:45]
	s_mov_b64 s[28:29], 0
	v_mov_b64_e32 v[8:9], v[4:5]
	v_mov_b64_e32 v[10:11], v[6:7]
	;; [unrolled: 1-line block ×3, first 2 shown]
	v_accvgpr_read_b32 v15, a45
.LBB17_574:                             ;   Parent Loop BB17_47 Depth=1
                                        ; =>  This Inner Loop Header: Depth=2
	flat_load_ushort v3, v[6:7] nt
	flat_load_ushort v16, v[4:5] nt
	s_waitcnt vmcnt(0)
	flat_load_ushort v29, v[4:5] offset:128 nt
	flat_load_ushort v48, v[6:7] offset:128 nt
	;; [unrolled: 1-line block ×36, first 2 shown]
	v_sub_u32_e32 v2, v2, v60
	v_cmp_gt_i32_e32 vcc, 1, v2
	v_lshl_add_u64 v[4:5], v[4:5], 0, v[14:15]
	v_lshl_add_u64 v[6:7], v[6:7], 0, v[14:15]
	s_or_b64 s[28:29], vcc, s[28:29]
	flat_load_ushort v42, v[0:1] offset:128 nt
	s_waitcnt lgkmcnt(0)
	v_mul_f16_e32 v16, v16, v3
	flat_load_ushort v3, v[0:1] nt
	s_waitcnt vmcnt(0)
	v_mul_f16_e32 v29, v29, v48
	v_mul_f16_e32 v48, v53, v52
	flat_load_ushort v52, v[0:1] offset:1024 nt
	flat_load_ushort v53, v[0:1] offset:1152 nt
	v_mul_f16_e32 v58, v54, v55
	v_mul_f16_e32 v30, v30, v35
	flat_load_ushort v35, v[0:1] offset:1280 nt
	v_mul_f16_e32 v31, v31, v36
	flat_load_ushort v36, v[0:1] offset:1408 nt
	;; [unrolled: 2-line block ×6, first 2 shown]
	v_lshl_add_u64 v[0:1], v[0:1], 0, v[14:15]
	v_mul_f16_e32 v17, v17, v48
	v_mul_f16_e32 v18, v18, v58
	;; [unrolled: 1-line block ×13, first 2 shown]
	s_waitcnt lgkmcnt(0)
	v_mul_f16_e32 v3, v16, v3
	s_waitcnt vmcnt(0)
	v_mul_f16_e32 v52, v52, v39
	v_mul_f16_e32 v53, v53, v34
	;; [unrolled: 1-line block ×8, first 2 shown]
	flat_store_short v[8:9], v3 nt
	flat_store_short v[8:9], v51 offset:128 nt
	flat_store_short v[8:9], v17 offset:256 nt
	flat_store_short v[8:9], v18 offset:384 nt
	flat_store_short v[8:9], v19 offset:512 nt
	flat_store_short v[8:9], v20 offset:640 nt
	flat_store_short v[8:9], v21 offset:768 nt
	flat_store_short v[8:9], v22 offset:896 nt
	flat_store_short v[8:9], v52 offset:1024 nt
	flat_store_short v[8:9], v53 offset:1152 nt
	flat_store_short v[8:9], v35 offset:1280 nt
	flat_store_short v[8:9], v36 offset:1408 nt
	flat_store_short v[8:9], v37 offset:1536 nt
	flat_store_short v[8:9], v50 offset:1664 nt
	flat_store_short v[8:9], v49 offset:1792 nt
	flat_store_short v[8:9], v38 offset:1920 nt
	flat_store_short v[10:11], v16 nt
	flat_store_short v[10:11], v29 offset:128 nt
	flat_store_short v[10:11], v48 offset:256 nt
	;; [unrolled: 1-line block ×15, first 2 shown]
	v_lshl_add_u64 v[8:9], v[8:9], 0, v[14:15]
	v_lshl_add_u64 v[10:11], v[10:11], 0, v[14:15]
	s_andn2_b64 exec, exec, s[28:29]
	s_cbranch_execnz .LBB17_574
; %bb.575:                              ;   in Loop: Header=BB17_47 Depth=1
	s_or_b64 exec, exec, s[28:29]
	scratch_load_dwordx2 v[46:47], off, s33 offset:236 ; 8-byte Folded Reload
	scratch_load_dwordx2 v[0:1], off, s33 offset:220 ; 8-byte Folded Reload
	scratch_load_dword v25, off, s33 offset:208 ; 4-byte Folded Reload
	scratch_load_dwordx2 v[26:27], off, s33 offset:200 ; 8-byte Folded Reload
	scratch_load_dword v29, off, s33 offset:212 ; 4-byte Folded Reload
	scratch_load_dwordx2 v[18:19], off, s33 offset:192 ; 8-byte Folded Reload
	v_accvgpr_read_b32 v41, a9
	v_accvgpr_mov_b32 a33, a17
	v_accvgpr_read_b32 v35, a23
	v_accvgpr_read_b32 v37, a25
	;; [unrolled: 1-line block ×9, first 2 shown]
	v_accvgpr_mov_b32 a32, a16
	v_accvgpr_read_b32 v34, a22
	v_accvgpr_read_b32 v36, a24
	;; [unrolled: 1-line block ×5, first 2 shown]
	v_mov_b64_e32 v[32:33], v[60:61]
	v_accvgpr_read_b32 v23, a43
	v_accvgpr_read_b32 v21, a51
	v_accvgpr_read_b32 v59, a59
	v_mov_b32_e32 v24, 1
	v_accvgpr_read_b32 v42, a28
	v_accvgpr_read_b32 v54, a56
	;; [unrolled: 1-line block ×6, first 2 shown]
	s_waitcnt vmcnt(0)
	v_accvgpr_write_b32 a20, v0
.LBB17_576:                             ;   in Loop: Header=BB17_47 Depth=1
	s_or_b64 exec, exec, s[26:27]
	v_lshlrev_b32_e32 v0, 11, v3
	v_cmp_ne_u32_e32 vcc, v55, v0
	s_and_b64 exec, exec, vcc
	s_cbranch_execz .LBB17_582
; %bb.577:                              ;   in Loop: Header=BB17_47 Depth=1
	v_add_u32_e32 v1, v13, v43
	v_and_b32_e32 v1, 0xffffffc0, v1
	v_sub_u32_e32 v1, v13, v1
	v_lshlrev_b32_e32 v2, 6, v2
	v_sub_u32_e32 v1, v1, v2
	v_ashrrev_i32_e32 v2, 31, v1
	v_lshrrev_b32_e32 v2, 26, v2
	v_add_u32_e32 v2, v1, v2
	v_and_b32_e32 v3, 0x7fffffc0, v2
	v_sub_u32_e32 v1, v1, v3
	v_lshlrev_b32_e32 v2, 1, v2
	v_and_b32_e32 v2, 0xffffff80, v2
	v_lshlrev_b32_e32 v1, 1, v1
	v_add3_u32 v0, v2, v1, v0
	v_sub_u32_e32 v2, v55, v0
	v_cmp_lt_i32_e32 vcc, 1, v2
	s_and_b64 exec, exec, vcc
	s_cbranch_execz .LBB17_582
; %bb.578:                              ;   in Loop: Header=BB17_47 Depth=1
	s_trap 2
	ds_read_b128 v[4:7], v0
	v_add_u32_e32 v8, v0, v12
	v_ashrrev_i32_e32 v9, 31, v8
	s_waitcnt lgkmcnt(0)
	v_lshl_add_u64 v[0:1], v[8:9], 0, v[44:45]
	s_mov_b64 s[58:59], 0
	v_lshl_add_u64 v[4:5], v[4:5], 0, v[8:9]
	v_lshl_add_u64 v[6:7], v[6:7], 0, v[8:9]
	v_mov_b64_e32 v[8:9], v[4:5]
	v_mov_b64_e32 v[10:11], v[6:7]
.LBB17_579:                             ;   Parent Loop BB17_47 Depth=1
                                        ; =>  This Loop Header: Depth=2
                                        ;       Child Loop BB17_580 Depth 3
	flat_load_ushort v3, v[8:9] nt
	flat_load_ushort v12, v[10:11] nt
	;; [unrolled: 1-line block ×3, first 2 shown]
	s_mov_b64 s[62:63], -1
	s_mov_b64 s[60:61], 0
	s_waitcnt vmcnt(0) lgkmcnt(0)
	v_mul_f16_e32 v12, v3, v12
	v_mul_f16_e32 v13, v13, v12
.LBB17_580:                             ;   Parent Loop BB17_47 Depth=1
                                        ;     Parent Loop BB17_579 Depth=2
                                        ; =>    This Inner Loop Header: Depth=3
	v_cndmask_b32_e64 v14, 0, 1, s[62:63]
	v_cndmask_b32_e64 v3, v12, v13, s[62:63]
	v_readfirstlane_b32 s26, v14
	s_cmp_lg_u32 s26, 1
	s_cselect_b64 vcc, -1, 0
	s_cmp_eq_u32 s60, 1
	s_cselect_b64 s[26:27], -1, 0
	v_cndmask_b32_e32 v15, v5, v7, vcc
	v_cndmask_b32_e32 v14, v4, v6, vcc
	v_cndmask_b32_e64 v17, v5, v7, s[26:27]
	s_cmp_eq_u32 s60, 0
	v_cndmask_b32_e64 v16, v4, v6, s[26:27]
	flat_store_short v[14:15], v3 nt
	v_lshl_add_u64 v[14:15], v[16:17], 0, s[44:45]
	s_cselect_b64 s[28:29], -1, 0
	s_mov_b64 s[62:63], 0
	s_mov_b64 s[60:61], 1
	s_and_b64 vcc, exec, vcc
	v_cndmask_b32_e64 v7, v7, v15, s[26:27]
	v_cndmask_b32_e64 v6, v6, v14, s[26:27]
	;; [unrolled: 1-line block ×4, first 2 shown]
	s_cbranch_vccz .LBB17_580
; %bb.581:                              ;   in Loop: Header=BB17_579 Depth=2
	v_sub_u32_e32 v2, v2, v25
	v_cmp_gt_i32_e32 vcc, 2, v2
	v_lshl_add_u64 v[8:9], v[8:9], 0, v[20:21]
	v_lshl_add_u64 v[10:11], v[10:11], 0, v[20:21]
	;; [unrolled: 1-line block ×4, first 2 shown]
	s_or_b64 s[58:59], vcc, s[58:59]
	v_lshl_add_u64 v[0:1], v[0:1], 0, v[20:21]
	s_andn2_b64 exec, exec, s[58:59]
	s_cbranch_execnz .LBB17_579
.LBB17_582:                             ;   in Loop: Header=BB17_47 Depth=1
	s_or_b64 exec, exec, s[30:31]
	scratch_load_dwordx2 v[10:11], off, s33 offset:184 ; 8-byte Folded Reload
	v_accvgpr_read_b32 v16, a44
	v_accvgpr_read_b32 v15, a13
	;; [unrolled: 1-line block ×4, first 2 shown]
	s_branch .LBB17_611
.LBB17_583:                             ;   in Loop: Header=BB17_47 Depth=1
	s_mov_b64 s[28:29], -1
	s_and_saveexec_b64 s[26:27], s[20:21]
	s_cbranch_execz .LBB17_585
; %bb.584:                              ;   in Loop: Header=BB17_47 Depth=1
	ds_read_b32 v0, v0 offset:720
	s_waitcnt lgkmcnt(0)
	v_and_b32_e32 v0, 15, v0
	v_cmp_eq_u32_e32 vcc, 0, v0
	s_orn2_b64 s[28:29], vcc, exec
.LBB17_585:                             ;   in Loop: Header=BB17_47 Depth=1
	s_or_b64 exec, exec, s[26:27]
	s_and_saveexec_b64 s[26:27], s[16:17]
	s_cbranch_execz .LBB17_587
; %bb.586:                              ;   in Loop: Header=BB17_47 Depth=1
	ds_read_b32 v0, v0 offset:784
	s_waitcnt lgkmcnt(0)
	v_and_b32_e32 v0, 15, v0
	v_cmp_eq_u32_e32 vcc, 0, v0
	s_and_b64 vcc, s[28:29], vcc
	s_andn2_b64 s[28:29], s[28:29], exec
	s_and_b64 vcc, vcc, exec
	s_or_b64 s[28:29], s[28:29], vcc
.LBB17_587:                             ;   in Loop: Header=BB17_47 Depth=1
	s_or_b64 exec, exec, s[26:27]
	s_xor_b64 s[28:29], s[28:29], -1
	v_cndmask_b32_e64 v0, 0, 1, s[28:29]
	v_lshlrev_b32_e32 v43, 1, v50
	s_mov_b64 s[26:27], -1
	;;#ASMSTART
	;;#ASMEND
	s_waitcnt vmcnt(0)
	v_mov_b32_e32 v27, 0
	v_cmp_ne_u32_e32 vcc, 0, v0
	s_cbranch_vccz .LBB17_589
; %bb.588:                              ;   in Loop: Header=BB17_47 Depth=1
	v_accvgpr_read_b32 v3, a41
	v_mov_b32_e32 v0, v29
	s_and_saveexec_b64 s[58:59], s[26:27]
	s_cbranch_execnz .LBB17_602
	s_branch .LBB17_610
.LBB17_589:                             ;   in Loop: Header=BB17_47 Depth=1
	v_ashrrev_i32_e32 v0, 31, v43
	v_lshrrev_b32_e32 v0, 20, v0
	v_add_u32_e32 v0, v43, v0
	v_ashrrev_i32_e32 v0, 12, v0
	v_sub_u32_e32 v2, v0, v29
	v_cmp_lt_i32_e32 vcc, 0, v2
	s_and_saveexec_b64 s[26:27], vcc
	s_cbranch_execz .LBB17_593
; %bb.590:                              ;   in Loop: Header=BB17_47 Depth=1
	s_trap 2
	ds_read_b128 v[4:7], v0
	ds_read_b64 a[6:7], v0
	scratch_load_dwordx2 v[12:13], off, s33 offset:316 ; 8-byte Folded Reload
	v_accvgpr_write_b32 a26, v48
	v_accvgpr_write_b32 a14, v38
	v_accvgpr_mov_b32 a4, a10
	v_accvgpr_write_b32 a18, v32
	v_accvgpr_read_b32 v40, a52
	v_accvgpr_write_b32 a2, v0
	v_accvgpr_write_b32 a34, v43
	;; [unrolled: 1-line block ×8, first 2 shown]
	v_accvgpr_mov_b32 a5, a11
	s_mov_b64 s[28:29], 0
	s_waitcnt lgkmcnt(0)
	v_lshl_add_u64 v[4:5], v[4:5], 0, v[10:11]
	v_lshl_add_u64 v[6:7], v[6:7], 0, v[10:11]
	v_accvgpr_write_b32 a19, v33
	v_accvgpr_read_b32 v41, a53
.LBB17_591:                             ;   Parent Loop BB17_47 Depth=1
                                        ; =>  This Inner Loop Header: Depth=2
	global_load_dwordx4 v[8:11], v[6:7], off nt
	global_load_dwordx4 v[16:19], v[4:5], off nt
	global_load_dwordx4 v[20:23], v[4:5], off offset:1024 nt
	global_load_dwordx4 v[24:27], v[6:7], off offset:1024 nt
	;; [unrolled: 1-line block ×6, first 2 shown]
	v_lshl_add_u64 v[4:5], v[4:5], 0, v[40:41]
	v_lshl_add_u64 v[6:7], v[6:7], 0, v[40:41]
	s_waitcnt vmcnt(6)
	v_mul_f16_e32 v3, v16, v8
	v_mul_f16_sdwa v14, v16, v8 dst_sel:DWORD dst_unused:UNUSED_PAD src0_sel:WORD_1 src1_sel:WORD_1
	v_mul_f16_e32 v15, v17, v9
	v_mul_f16_sdwa v16, v17, v9 dst_sel:DWORD dst_unused:UNUSED_PAD src0_sel:WORD_1 src1_sel:WORD_1
	;; [unrolled: 2-line block ×3, first 2 shown]
	s_waitcnt vmcnt(0)
	v_mul_f16_sdwa v8, v36, v48 dst_sel:DWORD dst_unused:UNUSED_PAD src0_sel:WORD_1 src1_sel:WORD_1
	v_accvgpr_write_b32 a10, v8
	v_mul_f16_e32 v8, v37, v49
	v_mul_f16_e32 v53, v19, v11
	v_mul_f16_sdwa v54, v19, v11 dst_sel:DWORD dst_unused:UNUSED_PAD src0_sel:WORD_1 src1_sel:WORD_1
	v_accvgpr_write_b32 a11, v8
	global_load_dwordx4 v[8:11], v[12:13], off offset:-3072 nt
	global_load_dwordx4 v[44:47], v[12:13], off offset:-2048 nt
	v_mul_f16_e32 v55, v20, v24
	v_mul_f16_sdwa v43, v20, v24 dst_sel:DWORD dst_unused:UNUSED_PAD src0_sel:WORD_1 src1_sel:WORD_1
	v_mul_f16_e32 v42, v21, v25
	v_mul_f16_sdwa v60, v21, v25 dst_sel:DWORD dst_unused:UNUSED_PAD src0_sel:WORD_1 src1_sel:WORD_1
	v_mul_f16_e32 v61, v22, v26
	v_mul_f16_sdwa v58, v22, v26 dst_sel:DWORD dst_unused:UNUSED_PAD src0_sel:WORD_1 src1_sel:WORD_1
	v_mul_f16_e32 v0, v23, v27
	v_mul_f16_sdwa v1, v23, v27 dst_sel:DWORD dst_unused:UNUSED_PAD src0_sel:WORD_1 src1_sel:WORD_1
	v_mul_f16_e32 v23, v32, v28
	v_mul_f16_sdwa v24, v32, v28 dst_sel:DWORD dst_unused:UNUSED_PAD src0_sel:WORD_1 src1_sel:WORD_1
	v_mul_f16_e32 v25, v33, v29
	v_mul_f16_sdwa v26, v33, v29 dst_sel:DWORD dst_unused:UNUSED_PAD src0_sel:WORD_1 src1_sel:WORD_1
	v_mul_f16_e32 v27, v34, v30
	v_mul_f16_sdwa v28, v34, v30 dst_sel:DWORD dst_unused:UNUSED_PAD src0_sel:WORD_1 src1_sel:WORD_1
	v_mul_f16_e32 v29, v35, v31
	v_mul_f16_sdwa v30, v35, v31 dst_sel:DWORD dst_unused:UNUSED_PAD src0_sel:WORD_1 src1_sel:WORD_1
	v_mul_f16_e32 v59, v36, v48
	v_mul_f16_sdwa v18, v37, v49 dst_sel:DWORD dst_unused:UNUSED_PAD src0_sel:WORD_1 src1_sel:WORD_1
	v_mul_f16_e32 v19, v38, v50
	v_mul_f16_sdwa v20, v38, v50 dst_sel:DWORD dst_unused:UNUSED_PAD src0_sel:WORD_1 src1_sel:WORD_1
	v_mul_f16_e32 v21, v39, v51
	v_mul_f16_sdwa v22, v39, v51 dst_sel:DWORD dst_unused:UNUSED_PAD src0_sel:WORD_1 src1_sel:WORD_1
	s_waitcnt vmcnt(1)
	v_mul_f16_e32 v31, v3, v8
	v_mul_f16_sdwa v32, v14, v8 dst_sel:WORD_1 dst_unused:UNUSED_PAD src0_sel:DWORD src1_sel:WORD_1
	v_mul_f16_e32 v34, v15, v9
	v_mul_f16_sdwa v36, v16, v9 dst_sel:WORD_1 dst_unused:UNUSED_PAD src0_sel:DWORD src1_sel:WORD_1
	;; [unrolled: 2-line block ×4, first 2 shown]
	global_load_dwordx4 v[8:11], v[12:13], off offset:-1024 nt
	global_load_dwordx4 v[14:17], v[12:13], off nt
	s_waitcnt vmcnt(2)
	v_mul_f16_e32 v39, v55, v44
	v_mul_f16_sdwa v48, v43, v44 dst_sel:WORD_1 dst_unused:UNUSED_PAD src0_sel:DWORD src1_sel:WORD_1
	v_mul_f16_e32 v50, v42, v45
	v_mul_f16_sdwa v43, v60, v45 dst_sel:WORD_1 dst_unused:UNUSED_PAD src0_sel:DWORD src1_sel:WORD_1
	;; [unrolled: 2-line block ×4, first 2 shown]
	s_waitcnt vmcnt(1)
	v_mul_f16_e32 v0, v23, v8
	v_mul_f16_sdwa v1, v24, v8 dst_sel:WORD_1 dst_unused:UNUSED_PAD src0_sel:DWORD src1_sel:WORD_1
	v_mul_f16_e32 v3, v25, v9
	v_mul_f16_sdwa v23, v26, v9 dst_sel:WORD_1 dst_unused:UNUSED_PAD src0_sel:DWORD src1_sel:WORD_1
	v_accvgpr_read_b32 v9, a7
	v_accvgpr_read_b32 v8, a6
	v_mul_f16_e32 v24, v27, v10
	v_lshl_add_u64 v[26:27], v[8:9], 0, v[12:13]
	v_accvgpr_read_b32 v8, a18
	v_sub_u32_e32 v2, v2, v8
	v_accvgpr_read_b32 v8, a10
	v_accvgpr_read_b32 v9, a19
	v_cmp_gt_i32_e32 vcc, 1, v2
	s_waitcnt vmcnt(0)
	v_mul_f16_sdwa v52, v8, v14 dst_sel:WORD_1 dst_unused:UNUSED_PAD src0_sel:DWORD src1_sel:WORD_1
	v_accvgpr_read_b32 v8, a11
	v_mul_f16_sdwa v25, v28, v10 dst_sel:WORD_1 dst_unused:UNUSED_PAD src0_sel:DWORD src1_sel:WORD_1
	v_mul_f16_e32 v28, v29, v11
	v_mul_f16_sdwa v29, v30, v11 dst_sel:WORD_1 dst_unused:UNUSED_PAD src0_sel:DWORD src1_sel:WORD_1
	v_lshl_add_u64 v[12:13], v[12:13], 0, v[40:41]
	s_or_b64 s[28:29], vcc, s[28:29]
	v_mul_f16_e32 v30, v59, v14
	v_mul_f16_e32 v53, v8, v15
	v_mul_f16_sdwa v54, v18, v15 dst_sel:WORD_1 dst_unused:UNUSED_PAD src0_sel:DWORD src1_sel:WORD_1
	v_mul_f16_e32 v55, v19, v16
	v_mul_f16_sdwa v42, v20, v16 dst_sel:WORD_1 dst_unused:UNUSED_PAD src0_sel:DWORD src1_sel:WORD_1
	;; [unrolled: 2-line block ×3, first 2 shown]
	v_or_b32_e32 v9, v36, v34
	v_or_b32_e32 v8, v32, v31
	;; [unrolled: 1-line block ×16, first 2 shown]
	global_store_dwordx4 v[26:27], v[8:11], off offset:-3072 nt
	global_store_dwordx4 v[26:27], v[14:17], off offset:-2048 nt
	;; [unrolled: 1-line block ×3, first 2 shown]
	global_store_dwordx4 v[26:27], v[22:25], off nt
	s_andn2_b64 exec, exec, s[28:29]
	s_cbranch_execnz .LBB17_591
; %bb.592:                              ;   in Loop: Header=BB17_47 Depth=1
	s_or_b64 exec, exec, s[28:29]
	scratch_load_dwordx2 a[62:63], off, s33 offset:244 ; 8-byte Folded Reload
	scratch_load_dwordx2 v[46:47], off, s33 offset:236 ; 8-byte Folded Reload
	scratch_load_dwordx2 v[0:1], off, s33 offset:220 ; 8-byte Folded Reload
	scratch_load_dword v25, off, s33 offset:208 ; 4-byte Folded Reload
	scratch_load_dword v29, off, s33 offset:212 ; 4-byte Folded Reload
	scratch_load_dwordx2 v[18:19], off, s33 offset:192 ; 8-byte Folded Reload
	v_accvgpr_read_b32 v41, a9
	v_accvgpr_mov_b32 a11, a5
	v_accvgpr_mov_b32 a33, a17
	v_accvgpr_read_b32 v35, a23
	v_accvgpr_read_b32 v37, a25
	;; [unrolled: 1-line block ×11, first 2 shown]
	v_accvgpr_mov_b32 a10, a4
	v_accvgpr_mov_b32 a32, a16
	v_accvgpr_read_b32 v34, a22
	v_accvgpr_read_b32 v36, a24
	;; [unrolled: 1-line block ×10, first 2 shown]
	v_mov_b32_e32 v24, 1
	v_accvgpr_read_b32 v14, a12
	v_accvgpr_read_b32 v42, a28
	;; [unrolled: 1-line block ×5, first 2 shown]
	s_waitcnt vmcnt(3)
	v_accvgpr_write_b32 a20, v0
	v_accvgpr_read_b32 v0, a2
.LBB17_593:                             ;   in Loop: Header=BB17_47 Depth=1
	s_or_b64 exec, exec, s[26:27]
	v_lshlrev_b32_e32 v10, 12, v0
	v_cmp_ne_u32_e32 vcc, v43, v10
	s_mov_b64 s[26:27], 0
	v_mov_b32_e32 v27, 0
                                        ; implicit-def: $vgpr3
                                        ; implicit-def: $vgpr0
	s_and_saveexec_b64 s[28:29], vcc
	s_cbranch_execz .LBB17_601
; %bb.594:                              ;   in Loop: Header=BB17_47 Depth=1
	v_lshlrev_b32_e32 v0, 6, v2
	scratch_load_dword v2, off, s33 offset:216 ; 4-byte Folded Reload
	v_sub_u32_e32 v1, v43, v10
	v_ashrrev_i32_e32 v4, 31, v1
	v_lshrrev_b32_e32 v4, 22, v4
	v_add_u32_e32 v4, v1, v4
	v_and_b32_e32 v11, 0xfffffc00, v4
	v_sub_u32_e32 v13, v1, v11
	v_ashrrev_i32_e32 v5, 10, v4
	v_cmp_lt_i32_e32 vcc, 15, v13
	s_waitcnt vmcnt(0)
	v_sub_u32_e32 v0, v2, v0
	v_ashrrev_i32_e32 v2, 31, v0
	v_lshrrev_b32_e32 v2, 26, v2
	v_add_u32_e32 v2, v0, v2
	v_ashrrev_i32_e32 v3, 6, v2
	v_and_b32_e32 v2, 0xffffffc0, v2
	v_sub_u32_e32 v2, v0, v2
	v_lshlrev_b32_e32 v0, 4, v2
	v_lshl_add_u32 v0, v3, 10, v0
	v_sub_u32_e32 v14, v1, v0
	v_addc_co_u32_e64 v1, s[26:27], 0, v5, vcc
	v_sub_u32_e32 v12, v1, v3
	v_cmp_lt_i32_e64 s[26:27], 15, v14
	s_and_saveexec_b64 s[30:31], s[26:27]
	s_cbranch_execz .LBB17_598
; %bb.595:                              ;   in Loop: Header=BB17_47 Depth=1
	s_trap 2
	ds_read_b128 v[6:9], v0
	v_add_u32_e32 v0, v0, v10
	ds_read_b64 v[4:5], v0
	v_ashrrev_i32_e32 v1, 31, v0
	v_accvgpr_read_b32 v30, a48
	s_waitcnt lgkmcnt(0)
	v_lshl_add_u64 v[6:7], v[6:7], 0, v[0:1]
	v_lshl_add_u64 v[8:9], v[8:9], 0, v[0:1]
	s_mov_b64 s[58:59], 0
	v_accvgpr_read_b32 v31, a49
.LBB17_596:                             ;   Parent Loop BB17_47 Depth=1
                                        ; =>  This Inner Loop Header: Depth=2
	global_load_dwordx4 v[16:19], v[6:7], off nt
	global_load_dwordx4 v[20:23], v[8:9], off nt
	;; [unrolled: 1-line block ×3, first 2 shown]
	v_sub_u32_e32 v14, v14, v56
	v_cmp_gt_i32_e64 s[26:27], 16, v14
	v_lshl_add_u64 v[28:29], v[4:5], 0, v[0:1]
	v_lshl_add_u64 v[6:7], v[6:7], 0, v[30:31]
	v_lshl_add_u64 v[8:9], v[8:9], 0, v[30:31]
	v_lshl_add_u64 v[0:1], v[0:1], 0, v[30:31]
	v_sub_u32_e32 v12, v12, v32
	s_or_b64 s[58:59], s[26:27], s[58:59]
	s_waitcnt vmcnt(1)
	v_mul_f16_e32 v3, v16, v20
	v_mul_f16_sdwa v15, v16, v20 dst_sel:DWORD dst_unused:UNUSED_PAD src0_sel:WORD_1 src1_sel:WORD_1
	v_mul_f16_e32 v16, v17, v21
	v_mul_f16_sdwa v17, v17, v21 dst_sel:DWORD dst_unused:UNUSED_PAD src0_sel:WORD_1 src1_sel:WORD_1
	;; [unrolled: 2-line block ×4, first 2 shown]
	s_waitcnt vmcnt(0)
	v_mul_f16_e32 v3, v3, v24
	v_mul_f16_sdwa v15, v15, v24 dst_sel:WORD_1 dst_unused:UNUSED_PAD src0_sel:DWORD src1_sel:WORD_1
	v_mul_f16_e32 v16, v16, v25
	v_mul_f16_sdwa v17, v17, v25 dst_sel:WORD_1 dst_unused:UNUSED_PAD src0_sel:DWORD src1_sel:WORD_1
	;; [unrolled: 2-line block ×4, first 2 shown]
	v_or_b32_e32 v17, v17, v16
	v_or_b32_e32 v16, v15, v3
	;; [unrolled: 1-line block ×4, first 2 shown]
	global_store_dwordx4 v[28:29], v[16:19], off nt
	s_andn2_b64 exec, exec, s[58:59]
	s_cbranch_execnz .LBB17_596
; %bb.597:                              ;   in Loop: Header=BB17_47 Depth=1
	s_or_b64 exec, exec, s[58:59]
	scratch_load_dword v25, off, s33 offset:208 ; 4-byte Folded Reload
	scratch_load_dword v29, off, s33 offset:212 ; 4-byte Folded Reload
	scratch_load_dwordx2 v[18:19], off, s33 offset:192 ; 8-byte Folded Reload
	v_accvgpr_read_b32 v22, a42
	v_accvgpr_read_b32 v16, a44
	;; [unrolled: 1-line block ×6, first 2 shown]
	v_mov_b32_e32 v24, 1
.LBB17_598:                             ;   in Loop: Header=BB17_47 Depth=1
	s_or_b64 exec, exec, s[30:31]
	v_and_b32_e32 v1, 14, v43
	v_cndmask_b32_e32 v43, v13, v1, vcc
	s_mov_b64 s[30:31], 0
	v_mov_b32_e32 v27, 0
	v_cmp_ne_u32_e64 s[26:27], 0, v43
                                        ; implicit-def: $vgpr3
                                        ; implicit-def: $vgpr0
	s_mov_b64 s[58:59], exec
	v_accvgpr_read_b32 v15, a13
	s_and_b64 s[26:27], s[58:59], s[26:27]
	v_accvgpr_read_b32 v14, a12
	s_mov_b64 exec, s[26:27]
	s_cbranch_execz .LBB17_600
; %bb.599:                              ;   in Loop: Header=BB17_47 Depth=1
	v_sub_u32_e32 v0, v13, v1
	v_cndmask_b32_e32 v0, 0, v0, vcc
	v_cmp_lt_i32_e32 vcc, 0, v12
	v_add3_u32 v27, v11, v10, v0
	s_mov_b64 s[30:31], exec
	v_cndmask_b32_e32 v0, 0, v32, vcc
	v_sub_u32_e32 v0, v0, v12
	v_lshl_add_u32 v3, v0, 6, v2
	v_ashrrev_i32_e32 v0, 31, v3
	v_lshrrev_b32_e32 v0, 26, v0
	v_add_u32_e32 v0, v3, v0
	v_ashrrev_i32_e32 v0, 6, v0
.LBB17_600:                             ;   in Loop: Header=BB17_47 Depth=1
	s_or_b64 exec, exec, s[58:59]
	s_and_b64 s[26:27], s[30:31], exec
.LBB17_601:                             ;   in Loop: Header=BB17_47 Depth=1
	s_or_b64 exec, exec, s[28:29]
	s_and_saveexec_b64 s[58:59], s[26:27]
	s_cbranch_execz .LBB17_610
.LBB17_602:                             ;   in Loop: Header=BB17_47 Depth=1
	v_ashrrev_i32_e32 v1, 31, v43
	v_lshrrev_b32_e32 v1, 21, v1
	v_add_u32_e32 v1, v43, v1
	v_ashrrev_i32_e32 v1, 11, v1
	v_sub_u32_e32 v26, v1, v0
	v_cmp_lt_i32_e32 vcc, 0, v26
	s_and_saveexec_b64 s[60:61], vcc
	s_cbranch_execz .LBB17_606
; %bb.603:                              ;   in Loop: Header=BB17_47 Depth=1
	scratch_store_dword off, v1, s33 offset:284 ; 4-byte Folded Spill
	v_ashrrev_i32_e32 v1, 31, v3
	v_lshrrev_b32_e32 v1, 26, v1
	v_add_u32_e32 v1, v3, v1
	v_and_b32_e32 v1, 0x7fffffc0, v1
	v_sub_u32_e32 v1, v3, v1
	v_lshlrev_b32_e32 v1, 1, v1
	s_trap 2
	ds_read_b128 v[4:7], v0
	v_lshlrev_b32_e32 v0, 11, v0
	v_add3_u32 v0, v1, v27, v0
	ds_read_b64 a[56:57], v0
	v_accvgpr_write_b32 a4, v48
	v_accvgpr_write_b32 a14, v38
	v_ashrrev_i32_e32 v1, 31, v0
	v_accvgpr_write_b32 a27, v50
	v_accvgpr_write_b32 a26, v54
	;; [unrolled: 1-line block ×7, first 2 shown]
	s_waitcnt lgkmcnt(0)
	v_lshl_add_u64 v[8:9], v[4:5], 0, v[0:1]
	v_lshl_add_u64 v[10:11], v[6:7], 0, v[0:1]
	;; [unrolled: 1-line block ×3, first 2 shown]
	s_mov_b64 s[62:63], 0
	v_mov_b64_e32 v[54:55], v[32:33]
	v_mov_b64_e32 v[60:61], v[16:17]
.LBB17_604:                             ;   Parent Loop BB17_47 Depth=1
                                        ; =>  This Inner Loop Header: Depth=2
	v_accvgpr_read_b32 v0, a56
	v_accvgpr_read_b32 v1, a57
	v_lshl_add_u64 v[14:15], v[0:1], 0, v[12:13]
	v_add_co_u32_e32 v0, vcc, 0xfffff880, v12
	s_mov_b64 s[26:27], vcc
	v_add_co_u32_e32 v4, vcc, 0xfffff900, v12
	s_mov_b64 s[28:29], vcc
	v_addc_co_u32_e64 v1, vcc, -1, v13, s[26:27]
	flat_load_ushort v2, v[8:9] nt
	flat_load_ushort v45, v[8:9] offset:128 nt
	flat_load_ushort v20, v[8:9] offset:256 nt
	s_waitcnt vmcnt(0)
	flat_load_ushort v19, v[8:9] offset:384 nt
	flat_load_ushort v34, v[8:9] offset:512 nt
	;; [unrolled: 1-line block ×10, first 2 shown]
	flat_load_ushort v3, v[10:11] nt
	flat_load_ushort v16, v[10:11] offset:128 nt
	flat_load_ushort v17, v[10:11] offset:256 nt
	;; [unrolled: 1-line block ×8, first 2 shown]
	flat_load_ushort v27, v[0:1] nt
	v_add_co_u32_e32 v6, vcc, 0xfffff980, v12
	s_mov_b64 s[26:27], vcc
	v_addc_co_u32_e64 v5, vcc, -1, v13, s[28:29]
	v_add_co_u32_e32 v0, vcc, 0xfffffa00, v12
	s_mov_b64 s[28:29], vcc
	v_addc_co_u32_e64 v7, vcc, -1, v13, s[26:27]
	;; [unrolled: 3-line block ×4, first 2 shown]
	flat_load_ushort v4, v[4:5] nt
	v_sub_u32_e32 v26, v26, v54
	flat_load_ushort v5, v[6:7] nt
	flat_load_ushort v41, v[22:23] nt
	v_cmp_gt_i32_e64 s[30:31], 1, v26
	flat_load_ushort v7, v[0:1] nt
	v_add_co_u32_e32 v0, vcc, 0xfffffb80, v12
	s_mov_b64 s[26:27], vcc
	v_addc_co_u32_e64 v25, vcc, -1, v13, s[28:29]
	v_add_co_u32_e32 v28, vcc, s74, v12
	s_mov_b64 s[28:29], vcc
	v_addc_co_u32_e64 v1, vcc, -1, v13, s[26:27]
	flat_load_ushort v22, v[24:25] nt
	v_add_co_u32_e32 v24, vcc, 0xfffffc80, v12
	s_mov_b64 s[26:27], vcc
	v_addc_co_u32_e64 v29, vcc, -1, v13, s[28:29]
	flat_load_ushort a18, v[0:1] nt
	v_add_co_u32_e32 v0, vcc, 0xfffffd00, v12
	s_mov_b64 s[28:29], vcc
	v_addc_co_u32_e64 v25, vcc, -1, v13, s[26:27]
	flat_load_ushort a19, v[28:29] nt
	v_add_co_u32_e32 v28, vcc, 0xfffffd80, v12
	s_mov_b64 s[26:27], vcc
	v_addc_co_u32_e64 v1, vcc, -1, v13, s[28:29]
	flat_load_ushort a28, v[24:25] nt
	v_add_co_u32_e32 v24, vcc, 0xfffffe00, v12
	s_mov_b64 s[28:29], vcc
	v_addc_co_u32_e64 v29, vcc, -1, v13, s[26:27]
	flat_load_ushort v35, v[0:1] nt
	v_add_co_u32_e32 v0, vcc, 0xfffffe80, v12
	s_mov_b64 s[26:27], vcc
	v_addc_co_u32_e64 v25, vcc, -1, v13, s[28:29]
	flat_load_ushort v37, v[24:25] nt
	v_add_co_u32_e32 v24, vcc, 0xffffff00, v12
	v_addc_co_u32_e64 v1, s[26:27], -1, v13, s[26:27]
	s_nop 0
	v_addc_co_u32_e32 v25, vcc, -1, v13, vcc
	flat_load_ushort v38, v[0:1] nt
	v_add_co_u32_e32 v0, vcc, s75, v12
	flat_load_ushort v36, v[28:29] nt
	s_nop 0
	v_addc_co_u32_e32 v1, vcc, -1, v13, vcc
	flat_load_ushort v39, v[24:25] nt
	flat_load_ushort v48, v[0:1] nt
	flat_load_ushort v44, v[10:11] offset:1152 nt
	s_waitcnt vmcnt(0) lgkmcnt(0)
	v_mul_f16_e32 v0, v2, v3
	v_mul_f16_e32 v33, v27, v0
	flat_load_ushort v25, v[8:9] offset:1664 nt
	flat_load_ushort v23, v[10:11] offset:1280 nt
	;; [unrolled: 1-line block ×5, first 2 shown]
	flat_load_ushort v29, v[12:13] nt
	flat_load_ushort v24, v[10:11] offset:1536 nt
	flat_load_ushort v31, v[10:11] offset:1664 nt
	;; [unrolled: 1-line block ×4, first 2 shown]
	v_add_co_u32_e32 v0, vcc, s87, v14
	v_lshl_add_u64 v[8:9], v[8:9], 0, v[60:61]
	s_nop 0
	v_addc_co_u32_e32 v1, vcc, -1, v15, vcc
	flat_store_short v[0:1], v33 nt
	v_mul_f16_e32 v0, v45, v16
	v_add_co_u32_e64 v16, s[26:27], s92, v14
	v_lshl_add_u64 v[10:11], v[10:11], 0, v[60:61]
	s_or_b64 s[62:63], s[30:31], s[62:63]
	v_lshl_add_u64 v[12:13], v[12:13], 0, v[60:61]
	v_mul_f16_e32 v3, v4, v0
	v_add_co_u32_e32 v0, vcc, s88, v14
	v_add_co_u32_e64 v4, s[28:29], s74, v14
	s_nop 0
	v_addc_co_u32_e32 v1, vcc, -1, v15, vcc
	flat_store_short v[0:1], v3 nt
	v_mul_f16_e32 v0, v20, v17
	v_mul_f16_e32 v3, v5, v0
	v_add_co_u32_e32 v0, vcc, s89, v14
	v_addc_co_u32_e64 v17, s[26:27], -1, v15, s[26:27]
	s_nop 0
	v_addc_co_u32_e32 v1, vcc, -1, v15, vcc
	flat_store_short v[0:1], v3 nt
	v_mul_f16_e32 v0, v19, v18
	v_mul_f16_e32 v3, v7, v0
	v_add_co_u32_e32 v0, vcc, s90, v14
	s_waitcnt vmcnt(0) lgkmcnt(0)
	v_mul_f16_e32 v6, v27, v6
	v_addc_co_u32_e32 v1, vcc, -1, v15, vcc
	flat_store_short v[0:1], v3 nt
	v_add_co_u32_e32 v0, vcc, s91, v14
	v_mul_f16_e32 v1, v34, v21
	v_mul_f16_e32 v3, v41, v1
	v_addc_co_u32_e32 v1, vcc, -1, v15, vcc
	flat_store_short v[0:1], v3 nt
	v_accvgpr_read_b32 v1, a47
	v_add_co_u32_e32 v0, vcc, s93, v14
	v_mul_f16_e32 v3, v1, v32
	s_nop 0
	v_addc_co_u32_e32 v1, vcc, -1, v15, vcc
	v_addc_co_u32_e64 v5, vcc, -1, v15, s[28:29]
	v_mul_f16_e32 v3, v22, v3
	flat_store_short v[16:17], v3 nt
	v_add_co_u32_e32 v16, vcc, s94, v14
	v_accvgpr_read_b32 v3, a55
	s_mov_b64 s[26:27], vcc
	v_add_co_u32_e32 v18, vcc, s95, v14
	v_mul_f16_e32 v7, v3, v51
	v_mul_f16_e32 v27, v28, v2
	v_accvgpr_read_b32 v28, a18
	s_mov_b64 s[28:29], vcc
	v_addc_co_u32_e64 v17, vcc, -1, v15, s[26:27]
	v_accvgpr_read_b32 v3, a2
	v_mul_f16_e32 v7, v28, v7
	v_mul_f16_e32 v32, v3, v50
	v_add_co_u32_e32 v20, vcc, s96, v14
	flat_store_short v[0:1], v7 nt
	v_accvgpr_read_b32 v0, a19
	s_mov_b64 s[26:27], vcc
	v_addc_co_u32_e64 v19, vcc, -1, v15, s[28:29]
	v_accvgpr_read_b32 v3, a34
	v_mul_f16_e32 v0, v0, v32
	v_mul_f16_e32 v33, v3, v49
	v_accvgpr_read_b32 v3, a29
	v_add_co_u32_e32 v22, vcc, 0xfffffe00, v14
	flat_store_short v[4:5], v0 nt
	v_accvgpr_read_b32 v0, a28
	v_mul_f16_e32 v34, v3, v44
	s_mov_b64 s[28:29], vcc
	v_addc_co_u32_e64 v21, vcc, -1, v15, s[26:27]
	v_mul_f16_e32 v0, v0, v33
	v_mul_f16_e32 v49, v40, v23
	;; [unrolled: 1-line block ×3, first 2 shown]
	v_add_co_u32_e32 v30, vcc, 0xfffffe80, v14
	flat_store_short v[16:17], v0 nt
	v_mul_f16_e32 v0, v35, v34
	s_mov_b64 s[26:27], vcc
	v_addc_co_u32_e64 v23, vcc, -1, v15, s[28:29]
	flat_store_short v[18:19], v0 nt
	v_mul_f16_e32 v0, v36, v49
	v_mul_f16_e32 v51, v52, v24
	v_add_co_u32_e32 v24, vcc, 0xffffff00, v14
	flat_store_short v[20:21], v0 nt
	v_mul_f16_e32 v0, v37, v50
	v_mul_f16_e32 v52, v25, v31
	s_mov_b64 s[28:29], vcc
	v_addc_co_u32_e64 v31, vcc, -1, v15, s[26:27]
	flat_store_short v[22:23], v0 nt
	v_mul_f16_e32 v0, v38, v51
	v_add_co_u32_e32 v2, vcc, 0xffffff80, v14
	v_addc_co_u32_e64 v25, s[26:27], -1, v15, s[28:29]
	flat_store_short v[30:31], v0 nt
	v_mul_f16_e32 v0, v39, v52
	v_addc_co_u32_e32 v3, vcc, -1, v15, vcc
	flat_store_short v[24:25], v0 nt
	v_mul_f16_e32 v0, v48, v6
	v_mul_f16_e32 v27, v29, v27
	flat_store_short v[2:3], v0 nt
	flat_store_short v[14:15], v27 nt
	s_andn2_b64 exec, exec, s[62:63]
	s_cbranch_execnz .LBB17_604
; %bb.605:                              ;   in Loop: Header=BB17_47 Depth=1
	s_or_b64 exec, exec, s[62:63]
	scratch_load_dword v25, off, s33 offset:208 ; 4-byte Folded Reload
	scratch_load_dword v29, off, s33 offset:212 ; 4-byte Folded Reload
	scratch_load_dwordx2 v[18:19], off, s33 offset:192 ; 8-byte Folded Reload
	scratch_load_dword v1, off, s33 offset:284 ; 4-byte Folded Reload
	v_accvgpr_read_b32 v41, a9
	v_accvgpr_mov_b32 a33, a17
	v_accvgpr_read_b32 v35, a23
	v_accvgpr_read_b32 v37, a25
	v_accvgpr_read_b32 v39, a15
	v_accvgpr_read_b32 v49, a5
	v_accvgpr_read_b32 v22, a42
	v_accvgpr_read_b32 v20, a50
	v_accvgpr_read_b32 v15, a13
	v_accvgpr_read_b32 v40, a8
	v_accvgpr_mov_b32 a32, a16
	v_accvgpr_read_b32 v34, a22
	v_accvgpr_read_b32 v36, a24
	;; [unrolled: 1-line block ×5, first 2 shown]
	v_mov_b64_e32 v[32:33], v[54:55]
	v_accvgpr_read_b32 v23, a43
	v_mov_b64_e32 v[16:17], v[60:61]
	v_accvgpr_read_b32 v21, a51
	v_mov_b32_e32 v24, 1
	v_accvgpr_read_b32 v14, a12
	v_accvgpr_read_b32 v54, a26
	;; [unrolled: 1-line block ×5, first 2 shown]
.LBB17_606:                             ;   in Loop: Header=BB17_47 Depth=1
	s_or_b64 exec, exec, s[60:61]
	s_waitcnt vmcnt(0)
	v_lshlrev_b32_e32 v0, 11, v1
	v_cmp_ne_u32_e32 vcc, v43, v0
	s_and_b64 exec, exec, vcc
	s_cbranch_execz .LBB17_610
; %bb.607:                              ;   in Loop: Header=BB17_47 Depth=1
	v_ashrrev_i32_e32 v1, 31, v3
	v_lshrrev_b32_e32 v1, 26, v1
	v_add_u32_e32 v1, v3, v1
	v_and_b32_e32 v1, 0xffffffc0, v1
	v_sub_u32_e32 v1, v3, v1
	v_lshlrev_b32_e32 v2, 6, v26
	v_sub_u32_e32 v1, v1, v2
	v_ashrrev_i32_e32 v2, 31, v1
	v_lshrrev_b32_e32 v2, 26, v2
	v_add_u32_e32 v2, v1, v2
	v_and_b32_e32 v3, 0x7fffffc0, v2
	v_sub_u32_e32 v1, v1, v3
	v_lshlrev_b32_e32 v2, 1, v2
	v_and_b32_e32 v2, 0xffffff80, v2
	v_lshlrev_b32_e32 v1, 1, v1
	v_add3_u32 v0, v2, v1, v0
	v_sub_u32_e32 v2, v43, v0
	v_cmp_lt_i32_e32 vcc, 1, v2
	s_and_b64 exec, exec, vcc
	s_cbranch_execz .LBB17_610
; %bb.608:                              ;   in Loop: Header=BB17_47 Depth=1
	s_trap 2
	ds_read_b128 v[6:9], v0
	v_add_u32_e32 v0, v0, v27
	ds_read_b64 v[4:5], v0
	v_ashrrev_i32_e32 v1, 31, v0
	s_mov_b64 s[26:27], 0
	s_waitcnt lgkmcnt(0)
	v_lshl_add_u64 v[6:7], v[6:7], 0, v[0:1]
	v_lshl_add_u64 v[8:9], v[8:9], 0, v[0:1]
.LBB17_609:                             ;   Parent Loop BB17_47 Depth=1
                                        ; =>  This Inner Loop Header: Depth=2
	flat_load_ushort v3, v[6:7] nt
	flat_load_ushort v12, v[8:9] nt
	;; [unrolled: 1-line block ×3, first 2 shown]
	v_sub_u32_e32 v2, v2, v25
	v_cmp_gt_i32_e32 vcc, 2, v2
	v_lshl_add_u64 v[10:11], v[4:5], 0, v[0:1]
	v_lshl_add_u64 v[6:7], v[6:7], 0, v[20:21]
	;; [unrolled: 1-line block ×4, first 2 shown]
	s_or_b64 s[26:27], vcc, s[26:27]
	s_waitcnt vmcnt(0) lgkmcnt(0)
	v_mul_f16_e32 v3, v3, v12
	v_mul_f16_e32 v3, v13, v3
	flat_store_short v[10:11], v3 nt
	s_andn2_b64 exec, exec, s[26:27]
	s_cbranch_execnz .LBB17_609
.LBB17_610:                             ;   in Loop: Header=BB17_47 Depth=1
	s_or_b64 exec, exec, s[58:59]
	scratch_load_dwordx2 v[26:27], off, s33 offset:200 ; 8-byte Folded Reload
.LBB17_611:                             ;   in Loop: Header=BB17_47 Depth=1
	v_cmp_lt_i32_e64 s[26:27], 0, v50
	s_and_saveexec_b64 s[28:29], s[6:7]
	s_cbranch_execz .LBB17_552
.LBB17_612:                             ;   in Loop: Header=BB17_47 Depth=1
	s_and_saveexec_b64 vcc, s[40:41]
	s_xor_b64 s[30:31], exec, vcc
	s_cbranch_execz .LBB17_627
; %bb.613:                              ;   in Loop: Header=BB17_47 Depth=1
	s_and_saveexec_b64 s[58:59], s[14:15]
	s_cbranch_execz .LBB17_626
; %bb.614:                              ;   in Loop: Header=BB17_47 Depth=1
	s_mov_b64 s[62:63], exec
	v_mbcnt_lo_u32_b32 v0, s62, 0
	v_mbcnt_hi_u32_b32 v0, s63, v0
	v_cmp_eq_u32_e32 vcc, 0, v0
	s_waitcnt lgkmcnt(0)
	s_and_saveexec_b64 s[60:61], vcc
	s_cbranch_execz .LBB17_616
; %bb.615:                              ;   in Loop: Header=BB17_47 Depth=1
	s_bcnt1_i32_b64 vcc_lo, s[62:63]
	v_mov_b32_e32 v50, vcc_lo
	ds_add_u64 v0, v[50:51]
	s_trap 2
.LBB17_616:                             ;   in Loop: Header=BB17_47 Depth=1
	s_or_b64 exec, exec, s[60:61]
	s_trap 2
	ds_read_b64 v[0:1], v0
	v_lshl_add_u64 v[48:49], v[48:49], 0, v[32:33]
	s_waitcnt lgkmcnt(0)
	v_cmp_lt_u64_e32 vcc, v[0:1], v[48:49]
	s_and_saveexec_b64 s[60:61], vcc
	s_cbranch_execz .LBB17_625
; %bb.617:                              ;   in Loop: Header=BB17_47 Depth=1
	s_mov_b32 s97, 0
	s_mov_b64 s[62:63], 0
                                        ; implicit-def: $sgpr64_sgpr65
                                        ; implicit-def: $sgpr66_sgpr67
	s_branch .LBB17_619
.LBB17_618:                             ;   in Loop: Header=BB17_619 Depth=2
	s_or_b64 exec, exec, s[70:71]
	s_and_b64 vcc, exec, vcc
	s_or_b64 s[62:63], vcc, s[62:63]
	s_andn2_b64 vcc, s[64:65], exec
	s_and_b64 s[64:65], s[66:67], exec
	s_or_b64 s[64:65], vcc, s[64:65]
	s_andn2_b64 exec, exec, s[62:63]
	s_cbranch_execz .LBB17_623
.LBB17_619:                             ;   Parent Loop BB17_47 Depth=1
                                        ; =>  This Inner Loop Header: Depth=2
	s_add_i32 s97, s97, 1
	s_cmpk_lg_i32 s97, 0x2710
	s_cselect_b64 s[68:69], -1, 0
	s_and_b64 vcc, exec, s[68:69]
                                        ; implicit-def: $sgpr70_sgpr71
	s_cbranch_vccnz .LBB17_621
; %bb.620:                              ;   in Loop: Header=BB17_619 Depth=2
	s_trap 2
	ds_read_b64 v[0:1], v0
	s_andn2_b64 s[68:69], s[68:69], exec
	s_mov_b32 s97, 0
	s_mov_b64 s[70:71], -1
	s_waitcnt vmcnt(0) lgkmcnt(0)
	flat_load_dword v0, v[0:1] sc0 sc1
	s_waitcnt vmcnt(0) lgkmcnt(0)
	buffer_inv sc0 sc1
	v_cmp_eq_u32_e32 vcc, 0, v0
	s_and_b64 vcc, vcc, exec
	s_or_b64 s[68:69], s[68:69], vcc
.LBB17_621:                             ;   in Loop: Header=BB17_619 Depth=2
	s_andn2_b64 s[66:67], s[66:67], exec
	s_and_b64 s[70:71], s[70:71], exec
	s_mov_b64 vcc, -1
	s_or_b64 s[66:67], s[66:67], s[70:71]
	s_and_saveexec_b64 s[70:71], s[68:69]
	s_cbranch_execz .LBB17_618
; %bb.622:                              ;   in Loop: Header=BB17_619 Depth=2
	s_sleep 1
	s_trap 2
	ds_read_b64 v[0:1], v0
	s_andn2_b64 s[66:67], s[66:67], exec
	s_waitcnt lgkmcnt(0)
	v_cmp_ge_u64_e32 vcc, v[0:1], v[48:49]
	s_orn2_b64 vcc, vcc, exec
	s_branch .LBB17_618
.LBB17_623:                             ;   in Loop: Header=BB17_47 Depth=1
	s_or_b64 exec, exec, s[62:63]
	s_and_saveexec_b64 vcc, s[64:65]
	s_xor_b64 vcc, exec, vcc
	s_cbranch_execz .LBB17_625
; %bb.624:                              ;   in Loop: Header=BB17_47 Depth=1
	ds_write_b32 v0, v24
	s_trap 2
.LBB17_625:                             ;   in Loop: Header=BB17_47 Depth=1
	s_or_b64 exec, exec, s[60:61]
	;;#ASMSTART
	s_wakeup
	;;#ASMEND
.LBB17_626:                             ;   in Loop: Header=BB17_47 Depth=1
	s_or_b64 exec, exec, s[58:59]
.LBB17_627:                             ;   in Loop: Header=BB17_47 Depth=1
	s_andn2_saveexec_b64 vcc, s[30:31]
	s_cbranch_execz .LBB17_629
; %bb.628:                              ;   in Loop: Header=BB17_47 Depth=1
	s_waitcnt lgkmcnt(0)
	s_barrier
.LBB17_629:                             ;   in Loop: Header=BB17_47 Depth=1
	s_or_b64 exec, exec, vcc
	s_or_b64 exec, exec, s[28:29]
                                        ; implicit-def: $vgpr0
	s_and_saveexec_b64 s[28:29], s[22:23]
	s_xor_b64 s[28:29], exec, s[28:29]
	s_cbranch_execnz .LBB17_553
.LBB17_630:                             ;   in Loop: Header=BB17_47 Depth=1
	s_andn2_saveexec_b64 s[26:27], s[28:29]
	s_cbranch_execz .LBB17_649
.LBB17_631:                             ;   in Loop: Header=BB17_47 Depth=1
	s_and_saveexec_b64 s[28:29], s[40:41]
	s_xor_b64 s[28:29], exec, s[28:29]
	s_cbranch_execz .LBB17_646
; %bb.632:                              ;   in Loop: Header=BB17_47 Depth=1
	s_and_saveexec_b64 s[30:31], s[14:15]
	s_cbranch_execz .LBB17_645
; %bb.633:                              ;   in Loop: Header=BB17_47 Depth=1
	s_mov_b64 s[60:61], exec
	v_mbcnt_lo_u32_b32 v0, s60, 0
	v_mbcnt_hi_u32_b32 v0, s61, v0
	v_cmp_eq_u32_e32 vcc, 0, v0
	;;#ASMSTART
	s_waitcnt lgkmcnt(0) vmcnt(0)
	;;#ASMEND
	s_and_saveexec_b64 s[58:59], vcc
	s_cbranch_execz .LBB17_635
; %bb.634:                              ;   in Loop: Header=BB17_47 Depth=1
	s_bcnt1_i32_b64 vcc_lo, s[60:61]
	v_mov_b32_e32 v50, vcc_lo
	ds_add_u64 v0, v[50:51]
	s_trap 2
.LBB17_635:                             ;   in Loop: Header=BB17_47 Depth=1
	s_or_b64 exec, exec, s[58:59]
	s_trap 2
	ds_read_b64 v[0:1], v0
	v_lshl_add_u64 v[48:49], v[48:49], 0, v[32:33]
	s_waitcnt lgkmcnt(0)
	v_cmp_lt_u64_e32 vcc, v[0:1], v[48:49]
	s_and_saveexec_b64 s[58:59], vcc
	s_cbranch_execz .LBB17_644
; %bb.636:                              ;   in Loop: Header=BB17_47 Depth=1
	s_mov_b32 s70, 0
	s_mov_b64 s[60:61], 0
                                        ; implicit-def: $sgpr62_sgpr63
                                        ; implicit-def: $sgpr64_sgpr65
	s_branch .LBB17_638
.LBB17_637:                             ;   in Loop: Header=BB17_638 Depth=2
	s_or_b64 exec, exec, s[68:69]
	s_and_b64 vcc, exec, vcc
	s_or_b64 s[60:61], vcc, s[60:61]
	s_andn2_b64 vcc, s[62:63], exec
	s_and_b64 s[62:63], s[64:65], exec
	s_or_b64 s[62:63], vcc, s[62:63]
	s_andn2_b64 exec, exec, s[60:61]
	s_cbranch_execz .LBB17_642
.LBB17_638:                             ;   Parent Loop BB17_47 Depth=1
                                        ; =>  This Inner Loop Header: Depth=2
	s_add_i32 s70, s70, 1
	s_cmpk_lg_i32 s70, 0x2710
	s_cselect_b64 s[66:67], -1, 0
	s_and_b64 vcc, exec, s[66:67]
                                        ; implicit-def: $sgpr68_sgpr69
	s_cbranch_vccnz .LBB17_640
; %bb.639:                              ;   in Loop: Header=BB17_638 Depth=2
	s_trap 2
	ds_read_b64 v[0:1], v0
	s_andn2_b64 s[66:67], s[66:67], exec
	s_mov_b32 s70, 0
	s_mov_b64 s[68:69], -1
	s_waitcnt vmcnt(0) lgkmcnt(0)
	flat_load_dword v0, v[0:1] sc0 sc1
	s_waitcnt vmcnt(0) lgkmcnt(0)
	buffer_inv sc0 sc1
	v_cmp_eq_u32_e32 vcc, 0, v0
	s_and_b64 vcc, vcc, exec
	s_or_b64 s[66:67], s[66:67], vcc
.LBB17_640:                             ;   in Loop: Header=BB17_638 Depth=2
	s_andn2_b64 s[64:65], s[64:65], exec
	s_and_b64 s[68:69], s[68:69], exec
	s_mov_b64 vcc, -1
	s_or_b64 s[64:65], s[64:65], s[68:69]
	s_and_saveexec_b64 s[68:69], s[66:67]
	s_cbranch_execz .LBB17_637
; %bb.641:                              ;   in Loop: Header=BB17_638 Depth=2
	s_sleep 1
	s_trap 2
	ds_read_b64 v[0:1], v0
	s_andn2_b64 s[64:65], s[64:65], exec
	s_waitcnt lgkmcnt(0)
	v_cmp_ge_u64_e32 vcc, v[0:1], v[48:49]
	s_orn2_b64 vcc, vcc, exec
	s_branch .LBB17_637
.LBB17_642:                             ;   in Loop: Header=BB17_47 Depth=1
	s_or_b64 exec, exec, s[60:61]
	s_and_saveexec_b64 vcc, s[62:63]
	s_xor_b64 vcc, exec, vcc
	s_cbranch_execz .LBB17_644
; %bb.643:                              ;   in Loop: Header=BB17_47 Depth=1
	ds_write_b32 v0, v24
	s_trap 2
.LBB17_644:                             ;   in Loop: Header=BB17_47 Depth=1
	s_or_b64 exec, exec, s[58:59]
	;;#ASMSTART
	s_wakeup
	;;#ASMEND
.LBB17_645:                             ;   in Loop: Header=BB17_47 Depth=1
	s_or_b64 exec, exec, s[30:31]
.LBB17_646:                             ;   in Loop: Header=BB17_47 Depth=1
	s_andn2_saveexec_b64 s[28:29], s[28:29]
	s_cbranch_execz .LBB17_648
; %bb.647:                              ;   in Loop: Header=BB17_47 Depth=1
	;;#ASMSTART
	s_waitcnt lgkmcnt(0) vmcnt(0)
	;;#ASMEND
	s_barrier
.LBB17_648:                             ;   in Loop: Header=BB17_47 Depth=1
	s_or_b64 exec, exec, s[28:29]
	v_and_b32_e32 v0, 16, v57
.LBB17_649:                             ;   in Loop: Header=BB17_47 Depth=1
	s_or_b64 exec, exec, s[26:27]
	v_cmp_ne_u32_e32 vcc, 0, v0
	s_xor_b64 s[26:27], s[10:11], -1
	s_and_b64 s[28:29], vcc, s[26:27]
	s_and_saveexec_b64 s[26:27], s[28:29]
	s_cbranch_execz .LBB17_651
; %bb.650:                              ;   in Loop: Header=BB17_47 Depth=1
	flat_store_dword v[36:37], v24 sc0 sc1
.LBB17_651:                             ;   in Loop: Header=BB17_47 Depth=1
	s_or_b64 exec, exec, s[26:27]
	v_and_b32_e32 v0, 48, v57
	v_cmp_ne_u32_e32 vcc, 0, v0
	s_and_saveexec_b64 s[26:27], vcc
	s_cbranch_execz .LBB17_653
; %bb.652:                              ;   in Loop: Header=BB17_47 Depth=1
	v_accvgpr_read_b32 v0, a10
	v_accvgpr_read_b32 v1, a11
	v_lshl_add_u64 v[0:1], v[0:1], 0, 4
	v_accvgpr_write_b32 a11, v1
	v_accvgpr_write_b32 a10, v0
	s_waitcnt vmcnt(0)
	flat_store_dwordx2 v[46:47], v[0:1] sc0 sc1
.LBB17_653:                             ;   in Loop: Header=BB17_47 Depth=1
	s_or_b64 exec, exec, s[26:27]
	v_mov_b32_e32 v4, v54
.LBB17_654:                             ;   in Loop: Header=BB17_47 Depth=1
	s_or_b64 exec, exec, s[56:57]
	s_mov_b64 s[28:29], exec
	s_waitcnt vmcnt(0)
	v_accvgpr_read_b32 v10, a52
	s_and_b64 s[26:27], s[28:29], s[54:55]
	v_accvgpr_read_b32 v11, a53
	s_mov_b64 exec, s[26:27]
	s_cbranch_execz .LBB17_726
; %bb.655:                              ;   in Loop: Header=BB17_47 Depth=1
	v_and_b32_e32 v0, 12, v57
	v_cmp_ne_u32_e32 vcc, 0, v0
	s_mov_b64 s[30:31], -1
	s_and_saveexec_b64 s[26:27], vcc
	s_cbranch_execz .LBB17_667
; %bb.656:                              ;   in Loop: Header=BB17_47 Depth=1
	v_accvgpr_read_b32 v0, a10
	v_and_b32_e32 v50, 8, v57
	v_accvgpr_read_b32 v1, a11
	v_lshl_add_u64 v[2:3], v[38:39], 0, v[50:51]
	v_lshl_add_u64 v[0:1], v[0:1], 0, 4
	v_cmp_lt_u64_e32 vcc, v[2:3], v[0:1]
	v_mov_b32_e32 v5, 1
	s_and_saveexec_b64 s[30:31], vcc
	s_cbranch_execz .LBB17_666
; %bb.657:                              ;   in Loop: Header=BB17_47 Depth=1
	s_mov_b64 s[54:55], 0
	v_mov_b32_e32 v5, 0
                                        ; implicit-def: $sgpr56_sgpr57
	s_branch .LBB17_661
.LBB17_658:                             ;   in Loop: Header=BB17_661 Depth=2
	s_or_b64 exec, exec, s[64:65]
	v_mov_b32_e32 v6, 0
	s_orn2_b64 s[62:63], s[62:63], exec
.LBB17_659:                             ;   in Loop: Header=BB17_661 Depth=2
	s_or_b64 exec, exec, s[60:61]
	s_andn2_b64 vcc, s[56:57], exec
	s_and_b64 s[56:57], s[62:63], exec
	s_or_b64 s[56:57], vcc, s[56:57]
	v_mov_b32_e32 v5, v6
.LBB17_660:                             ;   in Loop: Header=BB17_661 Depth=2
	s_or_b64 exec, exec, s[58:59]
	s_waitcnt vmcnt(0) lgkmcnt(0)
	v_lshl_add_u64 v[2:3], v[38:39], 0, v[50:51]
	v_cmp_ge_u64_e32 vcc, v[2:3], v[0:1]
	s_xor_b64 s[58:59], s[56:57], -1
	s_or_b64 vcc, s[58:59], vcc
	s_and_b64 vcc, exec, vcc
	s_or_b64 s[54:55], vcc, s[54:55]
	s_andn2_b64 exec, exec, s[54:55]
	s_cbranch_execz .LBB17_665
.LBB17_661:                             ;   Parent Loop BB17_47 Depth=1
                                        ; =>  This Inner Loop Header: Depth=2
	s_sleep 1
	flat_load_dwordx2 v[38:39], v[46:47] sc0 sc1
	v_and_b32_e32 v2, 64, v57
	v_cmp_eq_u32_e32 vcc, 0, v2
	s_andn2_b64 s[56:57], s[56:57], exec
	s_and_saveexec_b64 s[58:59], vcc
	s_cbranch_execz .LBB17_660
; %bb.662:                              ;   in Loop: Header=BB17_661 Depth=2
	v_add_u32_e32 v6, 1, v5
	v_cmp_lt_i32_e32 vcc, s84, v5
	s_mov_b64 s[62:63], -1
	s_and_saveexec_b64 s[60:61], vcc
	s_cbranch_execz .LBB17_659
; %bb.663:                              ;   in Loop: Header=BB17_661 Depth=2
	s_trap 2
	ds_read_b64 v[2:3], v0
	s_waitcnt vmcnt(0) lgkmcnt(0)
	flat_load_dword v5, v[2:3] sc0 sc1
	s_waitcnt vmcnt(0) lgkmcnt(0)
	buffer_inv sc0 sc1
	v_cmp_ne_u32_e32 vcc, 0, v5
	s_and_saveexec_b64 s[64:65], vcc
	s_cbranch_execz .LBB17_658
; %bb.664:                              ;   in Loop: Header=BB17_661 Depth=2
	v_or_b32_e32 v57, 64, v57
	s_xor_b64 s[62:63], exec, -1
	ds_write_b32 v0, v5
	s_trap 2
	s_branch .LBB17_658
.LBB17_665:                             ;   in Loop: Header=BB17_47 Depth=1
	s_or_b64 exec, exec, s[54:55]
	v_and_b32_e32 v5, 12, v57
.LBB17_666:                             ;   in Loop: Header=BB17_47 Depth=1
	s_or_b64 exec, exec, s[30:31]
	v_cmp_eq_u32_e32 vcc, 0, v5
	s_orn2_b64 s[30:31], vcc, exec
	;;#ASMSTART
	s_wakeup
	;;#ASMEND
.LBB17_667:                             ;   in Loop: Header=BB17_47 Depth=1
	s_or_b64 exec, exec, s[26:27]
	v_sub_u32_e32 v0, v42, v4
	s_xor_b64 s[26:27], s[30:31], -1
	v_min_i32_e32 v0, v54, v0
	s_and_saveexec_b64 s[30:31], s[26:27]
	s_cbranch_execz .LBB17_683
; %bb.668:                              ;   in Loop: Header=BB17_47 Depth=1
	v_and_b32_e32 v1, 0x108, v57
	v_accvgpr_read_b32 v2, a10
	v_cmp_ne_u32_e32 vcc, s86, v1
	v_and_b32_e32 v2, 7, v2
	v_accvgpr_read_b32 v3, a11
	s_and_saveexec_b64 s[26:27], vcc
	s_xor_b64 s[26:27], exec, s[26:27]
	s_andn2_saveexec_b64 s[26:27], s[26:27]
	s_cbranch_execz .LBB17_670
; %bb.669:                              ;   in Loop: Header=BB17_47 Depth=1
	v_accvgpr_read_b32 v4, a32
	v_accvgpr_read_b32 v5, a33
	v_ashrrev_i32_e32 v1, 31, v0
	v_mad_u64_u32 v[4:5], vcc, v2, 24, v[4:5]
	v_lshlrev_b64 v[6:7], 1, v[0:1]
	flat_store_dwordx2 v[4:5], v[6:7] offset:8
.LBB17_670:                             ;   in Loop: Header=BB17_47 Depth=1
	s_or_b64 exec, exec, s[26:27]
	v_and_b32_e32 v1, 0x100, v57
	v_cmp_ne_u32_e32 vcc, 0, v1
	s_mov_b64 s[26:27], -1
                                        ; implicit-def: $vgpr4_vgpr5
	s_and_saveexec_b64 s[54:55], vcc
	s_cbranch_execz .LBB17_674
; %bb.671:                              ;   in Loop: Header=BB17_47 Depth=1
	v_accvgpr_read_b32 v4, a32
	v_accvgpr_read_b32 v5, a33
	v_mad_u64_u32 v[6:7], s[26:27], v2, 24, v[4:5]
	v_mov_b32_e32 v4, v7
	v_mad_u64_u32 v[4:5], s[26:27], v51, 24, v[4:5]
	v_mov_b32_e32 v7, v4
	flat_load_dword v1, v[6:7]
                                        ; implicit-def: $vgpr4_vgpr5
	s_waitcnt vmcnt(0) lgkmcnt(0)
	v_cmp_ne_u32_e32 vcc, 1, v1
	v_cmp_eq_u32_e64 s[26:27], 1, v1
	s_and_saveexec_b64 s[56:57], s[26:27]
	s_cbranch_execz .LBB17_673
; %bb.672:                              ;   in Loop: Header=BB17_47 Depth=1
	flat_load_dword v4, v[6:7] offset:4 sc0 sc1
	s_waitcnt vmcnt(0) lgkmcnt(0)
	v_ashrrev_i32_e32 v5, 31, v4
	v_lshrrev_b64 v[4:5], 1, v[4:5]
.LBB17_673:                             ;   in Loop: Header=BB17_47 Depth=1
	s_or_b64 exec, exec, s[56:57]
	s_orn2_b64 s[26:27], vcc, exec
.LBB17_674:                             ;   in Loop: Header=BB17_47 Depth=1
	s_or_b64 exec, exec, s[54:55]
	s_and_saveexec_b64 vcc, s[26:27]
; %bb.675:                              ;   in Loop: Header=BB17_47 Depth=1
	v_accvgpr_read_b32 v4, a20
	v_accvgpr_read_b32 v3, a21
	v_mul_lo_u32 v1, v51, v4
	v_mul_lo_u32 v3, v2, v3
	v_mad_u64_u32 v[4:5], s[26:27], v2, v4, 0
	v_add3_u32 v5, v5, v3, v1
; %bb.676:                              ;   in Loop: Header=BB17_47 Depth=1
	s_or_b64 exec, exec, vcc
	v_and_b32_e32 v1, 0x2000, v57
	v_lshl_add_u64 v[2:3], v[4:5], 1, v[34:35]
	v_cmp_ne_u32_e32 vcc, 0, v1
	s_trap 2
	ds_write_b64 v0, v[2:3]
	s_and_saveexec_b64 s[26:27], vcc
	s_cbranch_execz .LBB17_678
; %bb.677:                              ;   in Loop: Header=BB17_47 Depth=1
	ds_read_b64 v[2:3], v0 offset:584
	s_waitcnt lgkmcnt(0)
	v_lshl_add_u64 v[2:3], v[2:3], 0, 1
	ds_write_b64 v0, v[2:3] offset:584
.LBB17_678:                             ;   in Loop: Header=BB17_47 Depth=1
	s_or_b64 exec, exec, s[26:27]
	v_accvgpr_read_b32 v2, a10
	v_accvgpr_read_b32 v3, a11
	v_lshl_add_u64 v[2:3], v[2:3], 0, 4
	v_accvgpr_write_b32 a11, v3
	v_accvgpr_write_b32 a10, v2
	s_or_b64 exec, exec, s[30:31]
	s_and_saveexec_b64 s[26:27], s[6:7]
	s_cbranch_execnz .LBB17_684
.LBB17_679:                             ;   in Loop: Header=BB17_47 Depth=1
	s_or_b64 exec, exec, s[26:27]
                                        ; implicit-def: $vgpr1
	s_and_saveexec_b64 s[26:27], s[22:23]
	s_xor_b64 s[26:27], exec, s[26:27]
	s_cbranch_execz .LBB17_702
.LBB17_680:                             ;   in Loop: Header=BB17_47 Depth=1
	s_trap 2
	ds_read_b32 v2, v0
	v_cmp_lt_i32_e32 vcc, 0, v0
	v_and_b32_e32 v0, 16, v57
	v_and_b32_e32 v1, 16, v57
	s_waitcnt lgkmcnt(0)
	v_readfirstlane_b32 s30, v2
	s_cmp_eq_u32 s30, 0
	s_cselect_b64 s[30:31], -1, 0
	s_and_b64 s[30:31], vcc, s[30:31]
	v_cmp_ne_u32_e32 vcc, 0, v0
	s_and_b64 s[30:31], vcc, s[30:31]
	s_and_saveexec_b64 vcc, s[30:31]
	s_cbranch_execz .LBB17_682
; %bb.681:                              ;   in Loop: Header=BB17_47 Depth=1
	v_mov_b32_e32 v1, 1
	buffer_wbl2 sc1
	s_waitcnt vmcnt(0)
	buffer_inv sc1
.LBB17_682:                             ;   in Loop: Header=BB17_47 Depth=1
	s_or_b64 exec, exec, vcc
	s_andn2_saveexec_b64 s[26:27], s[26:27]
	s_cbranch_execz .LBB17_721
	s_branch .LBB17_703
.LBB17_683:                             ;   in Loop: Header=BB17_47 Depth=1
	s_or_b64 exec, exec, s[30:31]
	s_and_saveexec_b64 s[26:27], s[6:7]
	s_cbranch_execz .LBB17_679
.LBB17_684:                             ;   in Loop: Header=BB17_47 Depth=1
	s_and_saveexec_b64 vcc, s[40:41]
	s_xor_b64 s[30:31], exec, vcc
	s_cbranch_execz .LBB17_699
; %bb.685:                              ;   in Loop: Header=BB17_47 Depth=1
	s_and_saveexec_b64 s[54:55], s[14:15]
	s_cbranch_execz .LBB17_698
; %bb.686:                              ;   in Loop: Header=BB17_47 Depth=1
	s_mov_b64 s[58:59], exec
	v_mbcnt_lo_u32_b32 v1, s58, 0
	v_mbcnt_hi_u32_b32 v1, s59, v1
	v_cmp_eq_u32_e32 vcc, 0, v1
	s_waitcnt lgkmcnt(0)
	s_and_saveexec_b64 s[56:57], vcc
	s_cbranch_execz .LBB17_688
; %bb.687:                              ;   in Loop: Header=BB17_47 Depth=1
	s_bcnt1_i32_b64 vcc_lo, s[58:59]
	v_mov_b32_e32 v50, vcc_lo
	ds_add_u64 v0, v[50:51]
	s_trap 2
.LBB17_688:                             ;   in Loop: Header=BB17_47 Depth=1
	s_or_b64 exec, exec, s[56:57]
	s_trap 2
	ds_read_b64 v[2:3], v0
	v_lshl_add_u64 v[48:49], v[48:49], 0, v[32:33]
	s_waitcnt lgkmcnt(0)
	v_cmp_lt_u64_e32 vcc, v[2:3], v[48:49]
	s_and_saveexec_b64 s[56:57], vcc
	s_cbranch_execz .LBB17_697
; %bb.689:                              ;   in Loop: Header=BB17_47 Depth=1
	s_mov_b32 s68, 0
	s_mov_b64 s[58:59], 0
                                        ; implicit-def: $sgpr60_sgpr61
                                        ; implicit-def: $sgpr62_sgpr63
	s_branch .LBB17_691
.LBB17_690:                             ;   in Loop: Header=BB17_691 Depth=2
	s_or_b64 exec, exec, s[66:67]
	s_and_b64 vcc, exec, vcc
	s_or_b64 s[58:59], vcc, s[58:59]
	s_andn2_b64 vcc, s[60:61], exec
	s_and_b64 s[60:61], s[62:63], exec
	s_or_b64 s[60:61], vcc, s[60:61]
	s_andn2_b64 exec, exec, s[58:59]
	s_cbranch_execz .LBB17_695
.LBB17_691:                             ;   Parent Loop BB17_47 Depth=1
                                        ; =>  This Inner Loop Header: Depth=2
	s_add_i32 s68, s68, 1
	s_cmpk_lg_i32 s68, 0x2710
	s_cselect_b64 s[64:65], -1, 0
	s_and_b64 vcc, exec, s[64:65]
                                        ; implicit-def: $sgpr66_sgpr67
	s_cbranch_vccnz .LBB17_693
; %bb.692:                              ;   in Loop: Header=BB17_691 Depth=2
	s_trap 2
	ds_read_b64 v[2:3], v0
	s_andn2_b64 s[64:65], s[64:65], exec
	s_mov_b32 s68, 0
	s_mov_b64 s[66:67], -1
	s_waitcnt vmcnt(0) lgkmcnt(0)
	flat_load_dword v1, v[2:3] sc0 sc1
	s_waitcnt vmcnt(0) lgkmcnt(0)
	buffer_inv sc0 sc1
	v_cmp_eq_u32_e32 vcc, 0, v1
	s_and_b64 vcc, vcc, exec
	s_or_b64 s[64:65], s[64:65], vcc
.LBB17_693:                             ;   in Loop: Header=BB17_691 Depth=2
	s_andn2_b64 s[62:63], s[62:63], exec
	s_and_b64 s[66:67], s[66:67], exec
	s_mov_b64 vcc, -1
	s_or_b64 s[62:63], s[62:63], s[66:67]
	s_and_saveexec_b64 s[66:67], s[64:65]
	s_cbranch_execz .LBB17_690
; %bb.694:                              ;   in Loop: Header=BB17_691 Depth=2
	s_sleep 1
	s_trap 2
	ds_read_b64 v[2:3], v0
	s_andn2_b64 s[62:63], s[62:63], exec
	s_waitcnt lgkmcnt(0)
	v_cmp_ge_u64_e32 vcc, v[2:3], v[48:49]
	s_orn2_b64 vcc, vcc, exec
	s_branch .LBB17_690
.LBB17_695:                             ;   in Loop: Header=BB17_47 Depth=1
	s_or_b64 exec, exec, s[58:59]
	s_and_saveexec_b64 vcc, s[60:61]
	s_xor_b64 vcc, exec, vcc
	s_cbranch_execz .LBB17_697
; %bb.696:                              ;   in Loop: Header=BB17_47 Depth=1
	ds_write_b32 v0, v24
	s_trap 2
.LBB17_697:                             ;   in Loop: Header=BB17_47 Depth=1
	s_or_b64 exec, exec, s[56:57]
	;;#ASMSTART
	s_wakeup
	;;#ASMEND
.LBB17_698:                             ;   in Loop: Header=BB17_47 Depth=1
	s_or_b64 exec, exec, s[54:55]
.LBB17_699:                             ;   in Loop: Header=BB17_47 Depth=1
	s_andn2_saveexec_b64 vcc, s[30:31]
	s_cbranch_execz .LBB17_701
; %bb.700:                              ;   in Loop: Header=BB17_47 Depth=1
	s_waitcnt lgkmcnt(0)
	s_barrier
.LBB17_701:                             ;   in Loop: Header=BB17_47 Depth=1
	s_or_b64 exec, exec, vcc
	s_or_b64 exec, exec, s[26:27]
                                        ; implicit-def: $vgpr1
	s_and_saveexec_b64 s[26:27], s[22:23]
	s_xor_b64 s[26:27], exec, s[26:27]
	s_cbranch_execnz .LBB17_680
.LBB17_702:                             ;   in Loop: Header=BB17_47 Depth=1
	s_andn2_saveexec_b64 s[26:27], s[26:27]
	s_cbranch_execz .LBB17_721
.LBB17_703:                             ;   in Loop: Header=BB17_47 Depth=1
	s_and_saveexec_b64 vcc, s[40:41]
	s_xor_b64 s[30:31], exec, vcc
	s_cbranch_execz .LBB17_718
; %bb.704:                              ;   in Loop: Header=BB17_47 Depth=1
	s_and_saveexec_b64 s[54:55], s[14:15]
	s_cbranch_execz .LBB17_717
; %bb.705:                              ;   in Loop: Header=BB17_47 Depth=1
	s_mov_b64 s[58:59], exec
	v_mbcnt_lo_u32_b32 v0, s58, 0
	v_mbcnt_hi_u32_b32 v0, s59, v0
	v_cmp_eq_u32_e32 vcc, 0, v0
	;;#ASMSTART
	s_waitcnt lgkmcnt(0) vmcnt(0)
	;;#ASMEND
	s_and_saveexec_b64 s[56:57], vcc
	s_cbranch_execz .LBB17_707
; %bb.706:                              ;   in Loop: Header=BB17_47 Depth=1
	s_bcnt1_i32_b64 vcc_lo, s[58:59]
	v_mov_b32_e32 v50, vcc_lo
	ds_add_u64 v0, v[50:51]
	s_trap 2
.LBB17_707:                             ;   in Loop: Header=BB17_47 Depth=1
	s_or_b64 exec, exec, s[56:57]
	s_trap 2
	ds_read_b64 v[0:1], v0
	v_lshl_add_u64 v[48:49], v[48:49], 0, v[32:33]
	s_waitcnt lgkmcnt(0)
	v_cmp_lt_u64_e32 vcc, v[0:1], v[48:49]
	s_and_saveexec_b64 s[56:57], vcc
	s_cbranch_execz .LBB17_716
; %bb.708:                              ;   in Loop: Header=BB17_47 Depth=1
	s_mov_b32 s68, 0
	s_mov_b64 s[58:59], 0
                                        ; implicit-def: $sgpr60_sgpr61
                                        ; implicit-def: $sgpr62_sgpr63
	s_branch .LBB17_710
.LBB17_709:                             ;   in Loop: Header=BB17_710 Depth=2
	s_or_b64 exec, exec, s[66:67]
	s_and_b64 vcc, exec, vcc
	s_or_b64 s[58:59], vcc, s[58:59]
	s_andn2_b64 vcc, s[60:61], exec
	s_and_b64 s[60:61], s[62:63], exec
	s_or_b64 s[60:61], vcc, s[60:61]
	s_andn2_b64 exec, exec, s[58:59]
	s_cbranch_execz .LBB17_714
.LBB17_710:                             ;   Parent Loop BB17_47 Depth=1
                                        ; =>  This Inner Loop Header: Depth=2
	s_add_i32 s68, s68, 1
	s_cmpk_lg_i32 s68, 0x2710
	s_cselect_b64 s[64:65], -1, 0
	s_and_b64 vcc, exec, s[64:65]
                                        ; implicit-def: $sgpr66_sgpr67
	s_cbranch_vccnz .LBB17_712
; %bb.711:                              ;   in Loop: Header=BB17_710 Depth=2
	s_trap 2
	ds_read_b64 v[0:1], v0
	s_andn2_b64 s[64:65], s[64:65], exec
	s_mov_b32 s68, 0
	s_mov_b64 s[66:67], -1
	s_waitcnt vmcnt(0) lgkmcnt(0)
	flat_load_dword v0, v[0:1] sc0 sc1
	s_waitcnt vmcnt(0) lgkmcnt(0)
	buffer_inv sc0 sc1
	v_cmp_eq_u32_e32 vcc, 0, v0
	s_and_b64 vcc, vcc, exec
	s_or_b64 s[64:65], s[64:65], vcc
.LBB17_712:                             ;   in Loop: Header=BB17_710 Depth=2
	s_andn2_b64 s[62:63], s[62:63], exec
	s_and_b64 s[66:67], s[66:67], exec
	s_mov_b64 vcc, -1
	s_or_b64 s[62:63], s[62:63], s[66:67]
	s_and_saveexec_b64 s[66:67], s[64:65]
	s_cbranch_execz .LBB17_709
; %bb.713:                              ;   in Loop: Header=BB17_710 Depth=2
	s_sleep 1
	s_trap 2
	ds_read_b64 v[0:1], v0
	s_andn2_b64 s[62:63], s[62:63], exec
	s_waitcnt lgkmcnt(0)
	v_cmp_ge_u64_e32 vcc, v[0:1], v[48:49]
	s_orn2_b64 vcc, vcc, exec
	s_branch .LBB17_709
.LBB17_714:                             ;   in Loop: Header=BB17_47 Depth=1
	s_or_b64 exec, exec, s[58:59]
	s_and_saveexec_b64 vcc, s[60:61]
	s_xor_b64 vcc, exec, vcc
	s_cbranch_execz .LBB17_716
; %bb.715:                              ;   in Loop: Header=BB17_47 Depth=1
	ds_write_b32 v0, v24
	s_trap 2
.LBB17_716:                             ;   in Loop: Header=BB17_47 Depth=1
	s_or_b64 exec, exec, s[56:57]
	;;#ASMSTART
	s_wakeup
	;;#ASMEND
.LBB17_717:                             ;   in Loop: Header=BB17_47 Depth=1
	s_or_b64 exec, exec, s[54:55]
.LBB17_718:                             ;   in Loop: Header=BB17_47 Depth=1
	s_andn2_saveexec_b64 vcc, s[30:31]
	s_cbranch_execz .LBB17_720
; %bb.719:                              ;   in Loop: Header=BB17_47 Depth=1
	;;#ASMSTART
	s_waitcnt lgkmcnt(0) vmcnt(0)
	;;#ASMEND
	s_barrier
.LBB17_720:                             ;   in Loop: Header=BB17_47 Depth=1
	s_or_b64 exec, exec, vcc
	v_and_b32_e32 v1, 16, v57
.LBB17_721:                             ;   in Loop: Header=BB17_47 Depth=1
	s_or_b64 exec, exec, s[26:27]
	v_cmp_ne_u32_e32 vcc, 0, v1
	s_xor_b64 s[26:27], s[10:11], -1
	s_and_b64 vcc, vcc, s[26:27]
	s_and_saveexec_b64 s[26:27], vcc
	s_cbranch_execz .LBB17_723
; %bb.722:                              ;   in Loop: Header=BB17_47 Depth=1
	flat_store_dword v[36:37], v24 sc0 sc1
.LBB17_723:                             ;   in Loop: Header=BB17_47 Depth=1
	s_or_b64 exec, exec, s[26:27]
	v_and_b32_e32 v0, 48, v57
	v_cmp_ne_u32_e32 vcc, 0, v0
	s_and_saveexec_b64 s[26:27], vcc
	s_cbranch_execz .LBB17_725
; %bb.724:                              ;   in Loop: Header=BB17_47 Depth=1
	v_accvgpr_read_b32 v0, a10
	v_accvgpr_read_b32 v1, a11
	v_lshl_add_u64 v[0:1], v[0:1], 0, 4
	v_accvgpr_write_b32 a11, v1
	v_accvgpr_write_b32 a10, v0
	flat_store_dwordx2 v[46:47], v[0:1] sc0 sc1
.LBB17_725:                             ;   in Loop: Header=BB17_47 Depth=1
	s_or_b64 exec, exec, s[26:27]
.LBB17_726:                             ;   in Loop: Header=BB17_47 Depth=1
	s_or_b64 exec, exec, s[28:29]
	s_and_b64 vcc, exec, s[24:25]
	s_cbranch_vccnz .LBB17_978
; %bb.727:                              ;   in Loop: Header=BB17_47 Depth=1
	s_mov_b32 s70, 1
.LBB17_728:                             ;   Parent Loop BB17_47 Depth=1
                                        ; =>  This Loop Header: Depth=2
                                        ;       Child Loop BB17_741 Depth 3
                                        ;       Child Loop BB17_774 Depth 3
	;; [unrolled: 1-line block ×9, first 2 shown]
                                        ;         Child Loop BB17_875 Depth 4
                                        ;       Child Loop BB17_884 Depth 3
                                        ;       Child Loop BB17_889 Depth 3
                                        ;         Child Loop BB17_890 Depth 4
                                        ;       Child Loop BB17_929 Depth 3
                                        ;       Child Loop BB17_960 Depth 3
	;; [unrolled: 1-line block ×5, first 2 shown]
	s_sub_i32 s24, s77, s70
	s_cmp_le_i32 s72, s24
	s_cselect_b32 s25, s72, 0
	s_sub_i32 s24, s24, s25
	v_accvgpr_read_b32 v4, a60
	s_ashr_i32 s25, s24, 31
	v_accvgpr_read_b32 v5, a61
	v_mul_lo_u32 v2, v4, s25
	v_mul_lo_u32 v3, v5, s24
	v_mad_u64_u32 v[0:1], s[24:25], v4, s24, 0
	v_add3_u32 v1, v1, v2, v3
	v_sub_co_u32_e32 v2, vcc, v14, v0
	s_nop 1
	v_subb_co_u32_e32 v3, vcc, v15, v1, vcc
	v_cmp_lt_i64_e32 vcc, v[4:5], v[2:3]
	s_nop 1
	v_cndmask_b32_e32 v2, v2, v4, vcc
	s_waitcnt lgkmcnt(0)
	v_max_i32_e32 v44, 0, v2
	v_add_u32_e32 v3, 15, v44
	v_ashrrev_i32_e32 v4, 31, v3
	v_lshrrev_b32_e32 v4, 28, v4
	v_add_u32_e32 v3, v3, v4
	v_cmp_gt_i32_e32 vcc, 1, v2
	v_and_b32_e32 v3, -16, v3
	s_or_b64 s[30:31], s[2:3], vcc
	v_max_i32_e32 v42, s80, v3
	s_xor_b64 s[24:25], s[30:31], -1
	v_mov_b32_e32 v4, 0
	s_and_saveexec_b64 s[54:55], s[24:25]
	s_cbranch_execz .LBB17_734
; %bb.729:                              ;   in Loop: Header=BB17_728 Depth=2
	s_and_saveexec_b64 s[24:25], s[0:1]
	s_cbranch_execz .LBB17_731
; %bb.730:                              ;   in Loop: Header=BB17_728 Depth=2
	s_trap 2
	ds_read_b128 v[4:7], v0
	v_accvgpr_read_b32 v3, a1
	v_accvgpr_read_b32 v2, a0
	v_lshl_add_u64 v[0:1], v[0:1], 0, v[2:3]
	v_lshlrev_b64 v[0:1], 1, v[0:1]
	s_waitcnt lgkmcnt(0)
	v_lshl_add_u64 v[2:3], v[4:5], 0, v[0:1]
	v_lshl_add_u64 v[0:1], v[6:7], 0, v[0:1]
	v_cmp_ne_u64_e32 vcc, 0, v[6:7]
	ds_write_b64 v0, v[2:3]
	s_nop 0
	v_cndmask_b32_e32 v1, 0, v1, vcc
	v_cndmask_b32_e32 v0, 0, v0, vcc
	ds_write_b64 v0, v[0:1]
.LBB17_731:                             ;   in Loop: Header=BB17_728 Depth=2
	s_or_b64 exec, exec, s[24:25]
	v_and_b32_e32 v0, 12, v57
	v_cmp_ne_u32_e32 vcc, 0, v0
	s_mov_b64 s[26:27], -1
	s_and_saveexec_b64 s[24:25], vcc
	s_cbranch_execz .LBB17_754
; %bb.732:                              ;   in Loop: Header=BB17_728 Depth=2
	v_accvgpr_read_b32 v0, a10
	v_and_b32_e32 v50, 8, v57
	v_accvgpr_read_b32 v1, a11
	v_lshl_add_u64 v[2:3], v[38:39], 0, v[50:51]
	v_lshl_add_u64 v[0:1], v[0:1], 0, 4
	v_cmp_lt_u64_e32 vcc, v[2:3], v[0:1]
	v_mov_b32_e32 v4, 1
	s_and_saveexec_b64 s[26:27], vcc
	s_cbranch_execz .LBB17_753
; %bb.733:                              ;   in Loop: Header=BB17_728 Depth=2
	s_mov_b64 s[28:29], 0
	v_mov_b32_e32 v4, 0
                                        ; implicit-def: $sgpr56_sgpr57
	s_branch .LBB17_741
.LBB17_734:                             ;   in Loop: Header=BB17_728 Depth=2
	s_or_b64 exec, exec, s[54:55]
	s_and_saveexec_b64 s[26:27], s[30:31]
	s_cbranch_execz .LBB17_976
.LBB17_735:                             ;   in Loop: Header=BB17_728 Depth=2
	v_and_b32_e32 v0, 12, v57
	v_cmp_ne_u32_e32 vcc, 0, v0
	s_mov_b64 s[28:29], -1
	s_and_saveexec_b64 s[24:25], vcc
	s_cbranch_execz .LBB17_780
; %bb.736:                              ;   in Loop: Header=BB17_728 Depth=2
	v_accvgpr_read_b32 v0, a10
	v_and_b32_e32 v50, 8, v57
	v_accvgpr_read_b32 v1, a11
	v_lshl_add_u64 v[2:3], v[38:39], 0, v[50:51]
	v_lshl_add_u64 v[0:1], v[0:1], 0, 4
	v_cmp_lt_u64_e32 vcc, v[2:3], v[0:1]
	v_mov_b32_e32 v5, 1
	s_and_saveexec_b64 s[28:29], vcc
	s_cbranch_execz .LBB17_779
; %bb.737:                              ;   in Loop: Header=BB17_728 Depth=2
	s_mov_b64 s[30:31], 0
	v_mov_b32_e32 v5, 0
                                        ; implicit-def: $sgpr54_sgpr55
	s_branch .LBB17_748
.LBB17_738:                             ;   in Loop: Header=BB17_741 Depth=3
	s_or_b64 exec, exec, s[64:65]
	v_mov_b32_e32 v5, 0
	s_orn2_b64 s[62:63], s[62:63], exec
.LBB17_739:                             ;   in Loop: Header=BB17_741 Depth=3
	s_or_b64 exec, exec, s[60:61]
	s_andn2_b64 vcc, s[56:57], exec
	s_and_b64 s[56:57], s[62:63], exec
	s_or_b64 s[56:57], vcc, s[56:57]
	v_mov_b32_e32 v4, v5
.LBB17_740:                             ;   in Loop: Header=BB17_741 Depth=3
	s_or_b64 exec, exec, s[58:59]
	s_waitcnt vmcnt(0) lgkmcnt(0)
	v_lshl_add_u64 v[2:3], v[38:39], 0, v[50:51]
	v_cmp_ge_u64_e32 vcc, v[2:3], v[0:1]
	s_xor_b64 s[58:59], s[56:57], -1
	s_or_b64 vcc, s[58:59], vcc
	s_and_b64 vcc, exec, vcc
	s_or_b64 s[28:29], vcc, s[28:29]
	s_andn2_b64 exec, exec, s[28:29]
	s_cbranch_execz .LBB17_752
.LBB17_741:                             ;   Parent Loop BB17_47 Depth=1
                                        ;     Parent Loop BB17_728 Depth=2
                                        ; =>    This Inner Loop Header: Depth=3
	s_sleep 1
	flat_load_dwordx2 v[38:39], v[46:47] sc0 sc1
	v_and_b32_e32 v2, 64, v57
	v_cmp_eq_u32_e32 vcc, 0, v2
	s_andn2_b64 s[56:57], s[56:57], exec
	s_and_saveexec_b64 s[58:59], vcc
	s_cbranch_execz .LBB17_740
; %bb.742:                              ;   in Loop: Header=BB17_741 Depth=3
	v_add_u32_e32 v5, 1, v4
	v_cmp_lt_i32_e32 vcc, s84, v4
	s_mov_b64 s[62:63], -1
	s_and_saveexec_b64 s[60:61], vcc
	s_cbranch_execz .LBB17_739
; %bb.743:                              ;   in Loop: Header=BB17_741 Depth=3
	s_trap 2
	ds_read_b64 v[2:3], v0
	s_waitcnt vmcnt(0) lgkmcnt(0)
	flat_load_dword v4, v[2:3] sc0 sc1
	s_waitcnt vmcnt(0) lgkmcnt(0)
	buffer_inv sc0 sc1
	v_cmp_ne_u32_e32 vcc, 0, v4
	s_and_saveexec_b64 s[64:65], vcc
	s_cbranch_execz .LBB17_738
; %bb.744:                              ;   in Loop: Header=BB17_741 Depth=3
	v_or_b32_e32 v57, 64, v57
	s_xor_b64 s[62:63], exec, -1
	ds_write_b32 v0, v4
	s_trap 2
	s_branch .LBB17_738
.LBB17_745:                             ;   in Loop: Header=BB17_748 Depth=3
	s_or_b64 exec, exec, s[62:63]
	v_mov_b32_e32 v6, 0
	s_orn2_b64 s[60:61], s[60:61], exec
.LBB17_746:                             ;   in Loop: Header=BB17_748 Depth=3
	s_or_b64 exec, exec, s[58:59]
	s_andn2_b64 vcc, s[54:55], exec
	s_and_b64 s[54:55], s[60:61], exec
	s_or_b64 s[54:55], vcc, s[54:55]
	v_mov_b32_e32 v5, v6
.LBB17_747:                             ;   in Loop: Header=BB17_748 Depth=3
	s_or_b64 exec, exec, s[56:57]
	s_waitcnt vmcnt(0) lgkmcnt(0)
	v_lshl_add_u64 v[2:3], v[38:39], 0, v[50:51]
	v_cmp_ge_u64_e32 vcc, v[2:3], v[0:1]
	s_xor_b64 s[56:57], s[54:55], -1
	s_or_b64 vcc, s[56:57], vcc
	s_and_b64 vcc, exec, vcc
	s_or_b64 s[30:31], vcc, s[30:31]
	s_andn2_b64 exec, exec, s[30:31]
	s_cbranch_execz .LBB17_778
.LBB17_748:                             ;   Parent Loop BB17_47 Depth=1
                                        ;     Parent Loop BB17_728 Depth=2
                                        ; =>    This Inner Loop Header: Depth=3
	s_sleep 1
	flat_load_dwordx2 v[38:39], v[46:47] sc0 sc1
	v_and_b32_e32 v2, 64, v57
	v_cmp_eq_u32_e32 vcc, 0, v2
	s_andn2_b64 s[54:55], s[54:55], exec
	s_and_saveexec_b64 s[56:57], vcc
	s_cbranch_execz .LBB17_747
; %bb.749:                              ;   in Loop: Header=BB17_748 Depth=3
	s_waitcnt lgkmcnt(0)
	v_add_u32_e32 v6, 1, v5
	v_cmp_lt_i32_e32 vcc, s84, v5
	s_mov_b64 s[60:61], -1
	s_and_saveexec_b64 s[58:59], vcc
	s_cbranch_execz .LBB17_746
; %bb.750:                              ;   in Loop: Header=BB17_748 Depth=3
	s_trap 2
	ds_read_b64 v[2:3], v0
	s_waitcnt vmcnt(0) lgkmcnt(0)
	flat_load_dword v5, v[2:3] sc0 sc1
	s_waitcnt vmcnt(0) lgkmcnt(0)
	buffer_inv sc0 sc1
	v_cmp_ne_u32_e32 vcc, 0, v5
	s_and_saveexec_b64 s[62:63], vcc
	s_cbranch_execz .LBB17_745
; %bb.751:                              ;   in Loop: Header=BB17_748 Depth=3
	v_or_b32_e32 v57, 64, v57
	s_xor_b64 s[60:61], exec, -1
	ds_write_b32 v0, v5
	s_trap 2
	s_branch .LBB17_745
.LBB17_752:                             ;   in Loop: Header=BB17_728 Depth=2
	s_or_b64 exec, exec, s[28:29]
	v_and_b32_e32 v4, 12, v57
.LBB17_753:                             ;   in Loop: Header=BB17_728 Depth=2
	s_or_b64 exec, exec, s[26:27]
	v_cmp_eq_u32_e32 vcc, 0, v4
	s_orn2_b64 s[26:27], vcc, exec
	;;#ASMSTART
	s_wakeup
	;;#ASMEND
.LBB17_754:                             ;   in Loop: Header=BB17_728 Depth=2
	s_or_b64 exec, exec, s[24:25]
	s_xor_b64 s[24:25], s[26:27], -1
	v_min_i32_e32 v42, v42, v44
	s_and_saveexec_b64 s[26:27], s[24:25]
	s_cbranch_execz .LBB17_766
; %bb.755:                              ;   in Loop: Header=BB17_728 Depth=2
	v_and_b32_e32 v0, 0x108, v57
	v_cmp_ne_u32_e32 vcc, s86, v0
	v_accvgpr_read_b32 v0, a10
	v_and_b32_e32 v0, 7, v0
	v_accvgpr_read_b32 v1, a11
	s_and_saveexec_b64 s[24:25], vcc
	s_xor_b64 s[24:25], exec, s[24:25]
	s_andn2_saveexec_b64 s[24:25], s[24:25]
	s_cbranch_execz .LBB17_757
; %bb.756:                              ;   in Loop: Header=BB17_728 Depth=2
	v_accvgpr_read_b32 v2, a32
	v_accvgpr_read_b32 v3, a33
	v_ashrrev_i32_e32 v43, 31, v42
	v_mad_u64_u32 v[2:3], s[28:29], v0, 24, v[2:3]
	v_lshlrev_b64 v[4:5], 1, v[42:43]
	flat_store_dwordx2 v[2:3], v[4:5] offset:8
.LBB17_757:                             ;   in Loop: Header=BB17_728 Depth=2
	s_or_b64 exec, exec, s[24:25]
	v_and_b32_e32 v1, 0x100, v57
	v_cmp_ne_u32_e32 vcc, 0, v1
	s_mov_b64 s[24:25], -1
                                        ; implicit-def: $vgpr4_vgpr5
	s_and_saveexec_b64 s[28:29], vcc
	s_cbranch_execz .LBB17_761
; %bb.758:                              ;   in Loop: Header=BB17_728 Depth=2
	v_accvgpr_read_b32 v2, a32
	v_accvgpr_read_b32 v3, a33
	v_mad_u64_u32 v[6:7], s[24:25], v0, 24, v[2:3]
	v_mov_b32_e32 v2, v7
	v_mad_u64_u32 v[2:3], s[24:25], v51, 24, v[2:3]
	v_mov_b32_e32 v7, v2
	flat_load_dword v1, v[6:7]
                                        ; implicit-def: $vgpr4_vgpr5
	s_waitcnt vmcnt(0) lgkmcnt(0)
	v_cmp_ne_u32_e32 vcc, 1, v1
	v_cmp_eq_u32_e64 s[24:25], 1, v1
	s_and_saveexec_b64 s[56:57], s[24:25]
	s_cbranch_execz .LBB17_760
; %bb.759:                              ;   in Loop: Header=BB17_728 Depth=2
	flat_load_dword v2, v[6:7] offset:4 sc0 sc1
	s_waitcnt vmcnt(0) lgkmcnt(0)
	v_ashrrev_i32_e32 v3, 31, v2
	v_lshrrev_b64 v[4:5], 1, v[2:3]
.LBB17_760:                             ;   in Loop: Header=BB17_728 Depth=2
	s_or_b64 exec, exec, s[56:57]
	s_orn2_b64 s[24:25], vcc, exec
.LBB17_761:                             ;   in Loop: Header=BB17_728 Depth=2
	s_or_b64 exec, exec, s[28:29]
	s_and_saveexec_b64 s[28:29], s[24:25]
; %bb.762:                              ;   in Loop: Header=BB17_728 Depth=2
	v_accvgpr_read_b32 v4, a20
	v_accvgpr_read_b32 v3, a21
	v_mul_lo_u32 v1, v51, v4
	v_mul_lo_u32 v2, v0, v3
	v_mad_u64_u32 v[4:5], s[24:25], v0, v4, 0
	v_add3_u32 v5, v5, v2, v1
; %bb.763:                              ;   in Loop: Header=BB17_728 Depth=2
	s_or_b64 exec, exec, s[28:29]
	v_lshl_add_u64 v[0:1], v[4:5], 1, v[34:35]
	s_trap 2
	ds_write_b64 v0, v[0:1]
	v_and_b32_e32 v0, 0x2000, v57
	v_cmp_ne_u32_e32 vcc, 0, v0
	s_and_saveexec_b64 s[24:25], vcc
	s_cbranch_execz .LBB17_765
; %bb.764:                              ;   in Loop: Header=BB17_728 Depth=2
	ds_read_b64 v[0:1], v0 offset:584
	s_waitcnt lgkmcnt(0)
	v_lshl_add_u64 v[0:1], v[0:1], 0, 1
	ds_write_b64 v0, v[0:1] offset:584
.LBB17_765:                             ;   in Loop: Header=BB17_728 Depth=2
	s_or_b64 exec, exec, s[24:25]
	v_accvgpr_read_b32 v0, a10
	v_accvgpr_read_b32 v1, a11
	v_lshl_add_u64 v[0:1], v[0:1], 0, 4
	v_accvgpr_write_b32 a11, v1
	v_accvgpr_write_b32 a10, v0
.LBB17_766:                             ;   in Loop: Header=BB17_728 Depth=2
	s_or_b64 exec, exec, s[26:27]
	s_and_saveexec_b64 s[24:25], s[6:7]
	s_cbranch_execz .LBB17_815
; %bb.767:                              ;   in Loop: Header=BB17_728 Depth=2
	s_and_saveexec_b64 s[26:27], s[40:41]
	s_xor_b64 s[26:27], exec, s[26:27]
	s_cbranch_execz .LBB17_812
; %bb.768:                              ;   in Loop: Header=BB17_728 Depth=2
	s_and_saveexec_b64 s[28:29], s[14:15]
	s_cbranch_execz .LBB17_811
; %bb.769:                              ;   in Loop: Header=BB17_728 Depth=2
	s_mov_b64 s[58:59], exec
	v_mbcnt_lo_u32_b32 v0, s58, 0
	v_mbcnt_hi_u32_b32 v0, s59, v0
	v_cmp_eq_u32_e32 vcc, 0, v0
	s_waitcnt lgkmcnt(0)
	s_and_saveexec_b64 s[56:57], vcc
	s_cbranch_execz .LBB17_771
; %bb.770:                              ;   in Loop: Header=BB17_728 Depth=2
	s_bcnt1_i32_b64 vcc_lo, s[58:59]
	v_mov_b32_e32 v50, vcc_lo
	ds_add_u64 v0, v[50:51]
	s_trap 2
.LBB17_771:                             ;   in Loop: Header=BB17_728 Depth=2
	s_or_b64 exec, exec, s[56:57]
	s_trap 2
	ds_read_b64 v[0:1], v0
	v_lshl_add_u64 v[48:49], v[48:49], 0, v[32:33]
	s_waitcnt lgkmcnt(0)
	v_cmp_lt_u64_e32 vcc, v[0:1], v[48:49]
	s_and_saveexec_b64 s[56:57], vcc
	s_cbranch_execz .LBB17_810
; %bb.772:                              ;   in Loop: Header=BB17_728 Depth=2
	s_mov_b32 s68, 0
	s_mov_b64 s[58:59], 0
                                        ; implicit-def: $sgpr60_sgpr61
                                        ; implicit-def: $sgpr62_sgpr63
	s_branch .LBB17_774
.LBB17_773:                             ;   in Loop: Header=BB17_774 Depth=3
	s_or_b64 exec, exec, s[66:67]
	s_and_b64 vcc, exec, vcc
	s_or_b64 s[58:59], vcc, s[58:59]
	s_andn2_b64 vcc, s[60:61], exec
	s_and_b64 s[60:61], s[62:63], exec
	s_or_b64 s[60:61], vcc, s[60:61]
	s_andn2_b64 exec, exec, s[58:59]
	s_cbranch_execz .LBB17_808
.LBB17_774:                             ;   Parent Loop BB17_47 Depth=1
                                        ;     Parent Loop BB17_728 Depth=2
                                        ; =>    This Inner Loop Header: Depth=3
	s_add_i32 s68, s68, 1
	s_cmpk_lg_i32 s68, 0x2710
	s_cselect_b64 s[64:65], -1, 0
	s_and_b64 vcc, exec, s[64:65]
                                        ; implicit-def: $sgpr66_sgpr67
	s_cbranch_vccnz .LBB17_776
; %bb.775:                              ;   in Loop: Header=BB17_774 Depth=3
	s_trap 2
	ds_read_b64 v[0:1], v0
	s_andn2_b64 s[64:65], s[64:65], exec
	s_mov_b32 s68, 0
	s_mov_b64 s[66:67], -1
	s_waitcnt vmcnt(0) lgkmcnt(0)
	flat_load_dword v0, v[0:1] sc0 sc1
	s_waitcnt vmcnt(0) lgkmcnt(0)
	buffer_inv sc0 sc1
	v_cmp_eq_u32_e32 vcc, 0, v0
	s_and_b64 vcc, vcc, exec
	s_or_b64 s[64:65], s[64:65], vcc
.LBB17_776:                             ;   in Loop: Header=BB17_774 Depth=3
	s_andn2_b64 s[62:63], s[62:63], exec
	s_and_b64 s[66:67], s[66:67], exec
	s_mov_b64 vcc, -1
	s_or_b64 s[62:63], s[62:63], s[66:67]
	s_and_saveexec_b64 s[66:67], s[64:65]
	s_cbranch_execz .LBB17_773
; %bb.777:                              ;   in Loop: Header=BB17_774 Depth=3
	s_sleep 1
	s_trap 2
	ds_read_b64 v[0:1], v0
	s_andn2_b64 s[62:63], s[62:63], exec
	s_waitcnt lgkmcnt(0)
	v_cmp_ge_u64_e32 vcc, v[0:1], v[48:49]
	s_orn2_b64 vcc, vcc, exec
	s_branch .LBB17_773
.LBB17_778:                             ;   in Loop: Header=BB17_728 Depth=2
	s_or_b64 exec, exec, s[30:31]
	v_and_b32_e32 v5, 12, v57
.LBB17_779:                             ;   in Loop: Header=BB17_728 Depth=2
	s_or_b64 exec, exec, s[28:29]
	v_cmp_eq_u32_e32 vcc, 0, v5
	s_orn2_b64 s[28:29], vcc, exec
	;;#ASMSTART
	s_wakeup
	;;#ASMEND
.LBB17_780:                             ;   in Loop: Header=BB17_728 Depth=2
	s_or_b64 exec, exec, s[24:25]
	v_sub_u32_e32 v0, v44, v4
	s_xor_b64 s[24:25], s[28:29], -1
	v_min_i32_e32 v0, v42, v0
	s_and_saveexec_b64 s[28:29], s[24:25]
	s_cbranch_execz .LBB17_796
; %bb.781:                              ;   in Loop: Header=BB17_728 Depth=2
	v_and_b32_e32 v1, 0x108, v57
	v_accvgpr_read_b32 v2, a10
	v_cmp_ne_u32_e32 vcc, s86, v1
	v_and_b32_e32 v2, 7, v2
	v_accvgpr_read_b32 v3, a11
	s_and_saveexec_b64 s[24:25], vcc
	s_xor_b64 s[24:25], exec, s[24:25]
	s_andn2_saveexec_b64 s[24:25], s[24:25]
	s_cbranch_execz .LBB17_783
; %bb.782:                              ;   in Loop: Header=BB17_728 Depth=2
	v_accvgpr_read_b32 v4, a32
	v_accvgpr_read_b32 v5, a33
	v_ashrrev_i32_e32 v1, 31, v0
	v_mad_u64_u32 v[4:5], vcc, v2, 24, v[4:5]
	s_waitcnt lgkmcnt(0)
	v_lshlrev_b64 v[6:7], 1, v[0:1]
	flat_store_dwordx2 v[4:5], v[6:7] offset:8
.LBB17_783:                             ;   in Loop: Header=BB17_728 Depth=2
	s_or_b64 exec, exec, s[24:25]
	v_and_b32_e32 v1, 0x100, v57
	v_cmp_ne_u32_e32 vcc, 0, v1
	s_mov_b64 s[24:25], -1
                                        ; implicit-def: $vgpr4_vgpr5
	s_and_saveexec_b64 s[30:31], vcc
	s_cbranch_execz .LBB17_787
; %bb.784:                              ;   in Loop: Header=BB17_728 Depth=2
	v_accvgpr_read_b32 v4, a32
	v_accvgpr_read_b32 v5, a33
	s_waitcnt lgkmcnt(0)
	v_mad_u64_u32 v[6:7], s[24:25], v2, 24, v[4:5]
	v_mov_b32_e32 v4, v7
	v_mad_u64_u32 v[4:5], s[24:25], v51, 24, v[4:5]
	v_mov_b32_e32 v7, v4
	flat_load_dword v1, v[6:7]
                                        ; implicit-def: $vgpr4_vgpr5
	s_waitcnt vmcnt(0) lgkmcnt(0)
	v_cmp_ne_u32_e32 vcc, 1, v1
	v_cmp_eq_u32_e64 s[24:25], 1, v1
	s_and_saveexec_b64 s[54:55], s[24:25]
	s_cbranch_execz .LBB17_786
; %bb.785:                              ;   in Loop: Header=BB17_728 Depth=2
	flat_load_dword v4, v[6:7] offset:4 sc0 sc1
	s_waitcnt vmcnt(0) lgkmcnt(0)
	v_ashrrev_i32_e32 v5, 31, v4
	v_lshrrev_b64 v[4:5], 1, v[4:5]
.LBB17_786:                             ;   in Loop: Header=BB17_728 Depth=2
	s_or_b64 exec, exec, s[54:55]
	s_orn2_b64 s[24:25], vcc, exec
.LBB17_787:                             ;   in Loop: Header=BB17_728 Depth=2
	s_or_b64 exec, exec, s[30:31]
	s_and_saveexec_b64 vcc, s[24:25]
; %bb.788:                              ;   in Loop: Header=BB17_728 Depth=2
	v_accvgpr_read_b32 v4, a20
	v_accvgpr_read_b32 v3, a21
	v_mul_lo_u32 v1, v51, v4
	v_mul_lo_u32 v3, v2, v3
	v_mad_u64_u32 v[4:5], s[24:25], v2, v4, 0
	v_add3_u32 v5, v5, v3, v1
; %bb.789:                              ;   in Loop: Header=BB17_728 Depth=2
	s_or_b64 exec, exec, vcc
	v_and_b32_e32 v1, 0x2000, v57
	v_lshl_add_u64 v[2:3], v[4:5], 1, v[34:35]
	v_cmp_ne_u32_e32 vcc, 0, v1
	s_trap 2
	ds_write_b64 v0, v[2:3]
	s_and_saveexec_b64 s[24:25], vcc
	s_cbranch_execz .LBB17_791
; %bb.790:                              ;   in Loop: Header=BB17_728 Depth=2
	ds_read_b64 v[2:3], v0 offset:584
	s_waitcnt lgkmcnt(0)
	v_lshl_add_u64 v[2:3], v[2:3], 0, 1
	ds_write_b64 v0, v[2:3] offset:584
.LBB17_791:                             ;   in Loop: Header=BB17_728 Depth=2
	s_or_b64 exec, exec, s[24:25]
	v_accvgpr_read_b32 v2, a10
	v_accvgpr_read_b32 v3, a11
	v_lshl_add_u64 v[2:3], v[2:3], 0, 4
	v_accvgpr_write_b32 a11, v3
	v_accvgpr_write_b32 a10, v2
	s_or_b64 exec, exec, s[28:29]
	s_and_saveexec_b64 s[24:25], s[6:7]
	s_cbranch_execnz .LBB17_797
.LBB17_792:                             ;   in Loop: Header=BB17_728 Depth=2
	s_or_b64 exec, exec, s[24:25]
                                        ; implicit-def: $vgpr1
	s_and_saveexec_b64 s[24:25], s[22:23]
	s_xor_b64 s[24:25], exec, s[24:25]
	s_cbranch_execz .LBB17_834
.LBB17_793:                             ;   in Loop: Header=BB17_728 Depth=2
	s_trap 2
	ds_read_b32 v2, v0
	v_cmp_lt_i32_e32 vcc, 0, v0
	v_and_b32_e32 v0, 16, v57
	v_and_b32_e32 v1, 16, v57
	s_waitcnt lgkmcnt(0)
	v_readfirstlane_b32 s28, v2
	s_cmp_eq_u32 s28, 0
	s_cselect_b64 s[28:29], -1, 0
	s_and_b64 s[28:29], vcc, s[28:29]
	v_cmp_ne_u32_e32 vcc, 0, v0
	s_and_b64 vcc, vcc, s[28:29]
	s_and_saveexec_b64 s[28:29], vcc
	s_cbranch_execz .LBB17_795
; %bb.794:                              ;   in Loop: Header=BB17_728 Depth=2
	v_mov_b32_e32 v1, 1
	buffer_wbl2 sc1
	s_waitcnt vmcnt(0)
	buffer_inv sc1
.LBB17_795:                             ;   in Loop: Header=BB17_728 Depth=2
	s_or_b64 exec, exec, s[28:29]
	s_andn2_saveexec_b64 s[24:25], s[24:25]
	s_cbranch_execz .LBB17_940
	s_branch .LBB17_835
.LBB17_796:                             ;   in Loop: Header=BB17_728 Depth=2
	s_or_b64 exec, exec, s[28:29]
	s_and_saveexec_b64 s[24:25], s[6:7]
	s_cbranch_execz .LBB17_792
.LBB17_797:                             ;   in Loop: Header=BB17_728 Depth=2
	s_and_saveexec_b64 s[28:29], s[40:41]
	s_xor_b64 s[28:29], exec, s[28:29]
	s_cbranch_execz .LBB17_831
; %bb.798:                              ;   in Loop: Header=BB17_728 Depth=2
	s_and_saveexec_b64 s[30:31], s[14:15]
	s_cbranch_execz .LBB17_830
; %bb.799:                              ;   in Loop: Header=BB17_728 Depth=2
	s_mov_b64 s[56:57], exec
	v_mbcnt_lo_u32_b32 v1, s56, 0
	v_mbcnt_hi_u32_b32 v1, s57, v1
	v_cmp_eq_u32_e32 vcc, 0, v1
	s_waitcnt lgkmcnt(0)
	s_and_saveexec_b64 s[54:55], vcc
	s_cbranch_execz .LBB17_801
; %bb.800:                              ;   in Loop: Header=BB17_728 Depth=2
	s_bcnt1_i32_b64 vcc_lo, s[56:57]
	v_mov_b32_e32 v50, vcc_lo
	ds_add_u64 v0, v[50:51]
	s_trap 2
.LBB17_801:                             ;   in Loop: Header=BB17_728 Depth=2
	s_or_b64 exec, exec, s[54:55]
	s_trap 2
	ds_read_b64 v[2:3], v0
	v_lshl_add_u64 v[48:49], v[48:49], 0, v[32:33]
	s_waitcnt lgkmcnt(0)
	v_cmp_lt_u64_e32 vcc, v[2:3], v[48:49]
	s_and_saveexec_b64 s[54:55], vcc
	s_cbranch_execz .LBB17_829
; %bb.802:                              ;   in Loop: Header=BB17_728 Depth=2
	s_mov_b32 s66, 0
	s_mov_b64 s[56:57], 0
                                        ; implicit-def: $sgpr58_sgpr59
                                        ; implicit-def: $sgpr60_sgpr61
	s_branch .LBB17_804
.LBB17_803:                             ;   in Loop: Header=BB17_804 Depth=3
	s_or_b64 exec, exec, s[64:65]
	s_and_b64 vcc, exec, vcc
	s_or_b64 s[56:57], vcc, s[56:57]
	s_andn2_b64 vcc, s[58:59], exec
	s_and_b64 s[58:59], s[60:61], exec
	s_or_b64 s[58:59], vcc, s[58:59]
	s_andn2_b64 exec, exec, s[56:57]
	s_cbranch_execz .LBB17_827
.LBB17_804:                             ;   Parent Loop BB17_47 Depth=1
                                        ;     Parent Loop BB17_728 Depth=2
                                        ; =>    This Inner Loop Header: Depth=3
	s_add_i32 s66, s66, 1
	s_cmpk_lg_i32 s66, 0x2710
	s_cselect_b64 s[62:63], -1, 0
	s_and_b64 vcc, exec, s[62:63]
                                        ; implicit-def: $sgpr64_sgpr65
	s_cbranch_vccnz .LBB17_806
; %bb.805:                              ;   in Loop: Header=BB17_804 Depth=3
	s_trap 2
	ds_read_b64 v[2:3], v0
	s_andn2_b64 s[62:63], s[62:63], exec
	s_mov_b32 s66, 0
	s_mov_b64 s[64:65], -1
	s_waitcnt vmcnt(0) lgkmcnt(0)
	flat_load_dword v1, v[2:3] sc0 sc1
	s_waitcnt vmcnt(0) lgkmcnt(0)
	buffer_inv sc0 sc1
	v_cmp_eq_u32_e32 vcc, 0, v1
	s_and_b64 vcc, vcc, exec
	s_or_b64 s[62:63], s[62:63], vcc
.LBB17_806:                             ;   in Loop: Header=BB17_804 Depth=3
	s_andn2_b64 s[60:61], s[60:61], exec
	s_and_b64 s[64:65], s[64:65], exec
	s_mov_b64 vcc, -1
	s_or_b64 s[60:61], s[60:61], s[64:65]
	s_and_saveexec_b64 s[64:65], s[62:63]
	s_cbranch_execz .LBB17_803
; %bb.807:                              ;   in Loop: Header=BB17_804 Depth=3
	s_sleep 1
	s_trap 2
	ds_read_b64 v[2:3], v0
	s_andn2_b64 s[60:61], s[60:61], exec
	s_waitcnt lgkmcnt(0)
	v_cmp_ge_u64_e32 vcc, v[2:3], v[48:49]
	s_orn2_b64 vcc, vcc, exec
	s_branch .LBB17_803
.LBB17_808:                             ;   in Loop: Header=BB17_728 Depth=2
	s_or_b64 exec, exec, s[58:59]
	s_and_saveexec_b64 vcc, s[60:61]
	s_xor_b64 vcc, exec, vcc
	s_cbranch_execz .LBB17_810
; %bb.809:                              ;   in Loop: Header=BB17_728 Depth=2
	ds_write_b32 v0, v24
	s_trap 2
.LBB17_810:                             ;   in Loop: Header=BB17_728 Depth=2
	s_or_b64 exec, exec, s[56:57]
	;;#ASMSTART
	s_wakeup
	;;#ASMEND
.LBB17_811:                             ;   in Loop: Header=BB17_728 Depth=2
	s_or_b64 exec, exec, s[28:29]
.LBB17_812:                             ;   in Loop: Header=BB17_728 Depth=2
	s_andn2_saveexec_b64 s[26:27], s[26:27]
	s_cbranch_execz .LBB17_814
; %bb.813:                              ;   in Loop: Header=BB17_728 Depth=2
	s_waitcnt lgkmcnt(0)
	s_barrier
.LBB17_814:                             ;   in Loop: Header=BB17_728 Depth=2
	s_or_b64 exec, exec, s[26:27]
.LBB17_815:                             ;   in Loop: Header=BB17_728 Depth=2
	s_or_b64 exec, exec, s[24:25]
	s_trap 2
	ds_read_b32 v0, v0
	v_and_b32_e32 v1, 0x4000, v57
	v_cmp_ne_u32_e32 vcc, 0, v1
	s_xor_b64 s[24:25], s[4:5], -1
	s_and_b64 s[26:27], s[24:25], vcc
	s_and_saveexec_b64 s[24:25], s[26:27]
	s_cbranch_execz .LBB17_853
; %bb.816:                              ;   in Loop: Header=BB17_728 Depth=2
	s_and_saveexec_b64 s[26:27], s[40:41]
	s_xor_b64 s[26:27], exec, s[26:27]
	s_cbranch_execz .LBB17_850
; %bb.817:                              ;   in Loop: Header=BB17_728 Depth=2
	s_and_saveexec_b64 s[28:29], s[14:15]
	s_cbranch_execz .LBB17_849
; %bb.818:                              ;   in Loop: Header=BB17_728 Depth=2
	s_mov_b64 s[58:59], exec
	v_mbcnt_lo_u32_b32 v1, s58, 0
	v_mbcnt_hi_u32_b32 v1, s59, v1
	v_cmp_eq_u32_e32 vcc, 0, v1
	s_waitcnt lgkmcnt(0)
	s_and_saveexec_b64 s[56:57], vcc
	s_cbranch_execz .LBB17_820
; %bb.819:                              ;   in Loop: Header=BB17_728 Depth=2
	s_bcnt1_i32_b64 vcc_lo, s[58:59]
	v_mov_b32_e32 v50, vcc_lo
	ds_add_u64 v0, v[50:51]
	s_trap 2
.LBB17_820:                             ;   in Loop: Header=BB17_728 Depth=2
	s_or_b64 exec, exec, s[56:57]
	s_trap 2
	ds_read_b64 v[2:3], v0
	v_lshl_add_u64 v[48:49], v[48:49], 0, v[32:33]
	s_waitcnt lgkmcnt(0)
	v_cmp_lt_u64_e32 vcc, v[2:3], v[48:49]
	s_and_saveexec_b64 s[56:57], vcc
	s_cbranch_execz .LBB17_848
; %bb.821:                              ;   in Loop: Header=BB17_728 Depth=2
	s_mov_b32 s68, 0
	s_mov_b64 s[58:59], 0
                                        ; implicit-def: $sgpr60_sgpr61
                                        ; implicit-def: $sgpr62_sgpr63
	s_branch .LBB17_823
.LBB17_822:                             ;   in Loop: Header=BB17_823 Depth=3
	s_or_b64 exec, exec, s[66:67]
	s_and_b64 vcc, exec, vcc
	s_or_b64 s[58:59], vcc, s[58:59]
	s_andn2_b64 vcc, s[60:61], exec
	s_and_b64 s[60:61], s[62:63], exec
	s_or_b64 s[60:61], vcc, s[60:61]
	s_andn2_b64 exec, exec, s[58:59]
	s_cbranch_execz .LBB17_846
.LBB17_823:                             ;   Parent Loop BB17_47 Depth=1
                                        ;     Parent Loop BB17_728 Depth=2
                                        ; =>    This Inner Loop Header: Depth=3
	s_add_i32 s68, s68, 1
	s_cmpk_lg_i32 s68, 0x2710
	s_cselect_b64 s[64:65], -1, 0
	s_and_b64 vcc, exec, s[64:65]
                                        ; implicit-def: $sgpr66_sgpr67
	s_cbranch_vccnz .LBB17_825
; %bb.824:                              ;   in Loop: Header=BB17_823 Depth=3
	s_trap 2
	ds_read_b64 v[2:3], v0
	s_andn2_b64 s[64:65], s[64:65], exec
	s_mov_b32 s68, 0
	s_mov_b64 s[66:67], -1
	s_waitcnt vmcnt(0) lgkmcnt(0)
	flat_load_dword v1, v[2:3] sc0 sc1
	s_waitcnt vmcnt(0) lgkmcnt(0)
	buffer_inv sc0 sc1
	v_cmp_eq_u32_e32 vcc, 0, v1
	s_and_b64 vcc, vcc, exec
	s_or_b64 s[64:65], s[64:65], vcc
.LBB17_825:                             ;   in Loop: Header=BB17_823 Depth=3
	s_andn2_b64 s[62:63], s[62:63], exec
	s_and_b64 s[66:67], s[66:67], exec
	s_mov_b64 vcc, -1
	s_or_b64 s[62:63], s[62:63], s[66:67]
	s_and_saveexec_b64 s[66:67], s[64:65]
	s_cbranch_execz .LBB17_822
; %bb.826:                              ;   in Loop: Header=BB17_823 Depth=3
	s_sleep 1
	s_trap 2
	ds_read_b64 v[2:3], v0
	s_andn2_b64 s[62:63], s[62:63], exec
	s_waitcnt lgkmcnt(0)
	v_cmp_ge_u64_e32 vcc, v[2:3], v[48:49]
	s_orn2_b64 vcc, vcc, exec
	s_branch .LBB17_822
.LBB17_827:                             ;   in Loop: Header=BB17_728 Depth=2
	s_or_b64 exec, exec, s[56:57]
	s_and_saveexec_b64 vcc, s[58:59]
	s_xor_b64 vcc, exec, vcc
	s_cbranch_execz .LBB17_829
; %bb.828:                              ;   in Loop: Header=BB17_728 Depth=2
	ds_write_b32 v0, v24
	s_trap 2
.LBB17_829:                             ;   in Loop: Header=BB17_728 Depth=2
	s_or_b64 exec, exec, s[54:55]
	;;#ASMSTART
	s_wakeup
	;;#ASMEND
.LBB17_830:                             ;   in Loop: Header=BB17_728 Depth=2
	s_or_b64 exec, exec, s[30:31]
.LBB17_831:                             ;   in Loop: Header=BB17_728 Depth=2
	s_andn2_saveexec_b64 s[28:29], s[28:29]
	s_cbranch_execz .LBB17_833
; %bb.832:                              ;   in Loop: Header=BB17_728 Depth=2
	s_waitcnt lgkmcnt(0)
	s_barrier
.LBB17_833:                             ;   in Loop: Header=BB17_728 Depth=2
	s_or_b64 exec, exec, s[28:29]
	s_or_b64 exec, exec, s[24:25]
                                        ; implicit-def: $vgpr1
	s_and_saveexec_b64 s[24:25], s[22:23]
	s_xor_b64 s[24:25], exec, s[24:25]
	s_cbranch_execnz .LBB17_793
.LBB17_834:                             ;   in Loop: Header=BB17_728 Depth=2
	s_andn2_saveexec_b64 s[24:25], s[24:25]
	s_cbranch_execz .LBB17_940
.LBB17_835:                             ;   in Loop: Header=BB17_728 Depth=2
	s_and_saveexec_b64 s[28:29], s[40:41]
	s_xor_b64 s[28:29], exec, s[28:29]
	s_cbranch_execz .LBB17_937
; %bb.836:                              ;   in Loop: Header=BB17_728 Depth=2
	s_and_saveexec_b64 s[30:31], s[14:15]
	s_cbranch_execz .LBB17_936
; %bb.837:                              ;   in Loop: Header=BB17_728 Depth=2
	s_mov_b64 s[56:57], exec
	v_mbcnt_lo_u32_b32 v0, s56, 0
	v_mbcnt_hi_u32_b32 v0, s57, v0
	v_cmp_eq_u32_e32 vcc, 0, v0
	;;#ASMSTART
	s_waitcnt lgkmcnt(0) vmcnt(0)
	;;#ASMEND
	s_and_saveexec_b64 s[54:55], vcc
	s_cbranch_execz .LBB17_839
; %bb.838:                              ;   in Loop: Header=BB17_728 Depth=2
	s_bcnt1_i32_b64 vcc_lo, s[56:57]
	v_mov_b32_e32 v50, vcc_lo
	ds_add_u64 v0, v[50:51]
	s_trap 2
.LBB17_839:                             ;   in Loop: Header=BB17_728 Depth=2
	s_or_b64 exec, exec, s[54:55]
	s_trap 2
	ds_read_b64 v[0:1], v0
	v_lshl_add_u64 v[48:49], v[48:49], 0, v[32:33]
	s_waitcnt lgkmcnt(0)
	v_cmp_lt_u64_e32 vcc, v[0:1], v[48:49]
	s_and_saveexec_b64 s[54:55], vcc
	s_cbranch_execz .LBB17_935
; %bb.840:                              ;   in Loop: Header=BB17_728 Depth=2
	s_mov_b32 s66, 0
	s_mov_b64 s[56:57], 0
                                        ; implicit-def: $sgpr58_sgpr59
                                        ; implicit-def: $sgpr60_sgpr61
	s_branch .LBB17_842
.LBB17_841:                             ;   in Loop: Header=BB17_842 Depth=3
	s_or_b64 exec, exec, s[64:65]
	s_and_b64 vcc, exec, vcc
	s_or_b64 s[56:57], vcc, s[56:57]
	s_andn2_b64 vcc, s[58:59], exec
	s_and_b64 s[58:59], s[60:61], exec
	s_or_b64 s[58:59], vcc, s[58:59]
	s_andn2_b64 exec, exec, s[56:57]
	s_cbranch_execz .LBB17_933
.LBB17_842:                             ;   Parent Loop BB17_47 Depth=1
                                        ;     Parent Loop BB17_728 Depth=2
                                        ; =>    This Inner Loop Header: Depth=3
	s_add_i32 s66, s66, 1
	s_cmpk_lg_i32 s66, 0x2710
	s_cselect_b64 s[62:63], -1, 0
	s_and_b64 vcc, exec, s[62:63]
                                        ; implicit-def: $sgpr64_sgpr65
	s_cbranch_vccnz .LBB17_844
; %bb.843:                              ;   in Loop: Header=BB17_842 Depth=3
	s_trap 2
	ds_read_b64 v[0:1], v0
	s_andn2_b64 s[62:63], s[62:63], exec
	s_mov_b32 s66, 0
	s_mov_b64 s[64:65], -1
	s_waitcnt vmcnt(0) lgkmcnt(0)
	flat_load_dword v0, v[0:1] sc0 sc1
	s_waitcnt vmcnt(0) lgkmcnt(0)
	buffer_inv sc0 sc1
	v_cmp_eq_u32_e32 vcc, 0, v0
	s_and_b64 vcc, vcc, exec
	s_or_b64 s[62:63], s[62:63], vcc
.LBB17_844:                             ;   in Loop: Header=BB17_842 Depth=3
	s_andn2_b64 s[60:61], s[60:61], exec
	s_and_b64 s[64:65], s[64:65], exec
	s_mov_b64 vcc, -1
	s_or_b64 s[60:61], s[60:61], s[64:65]
	s_and_saveexec_b64 s[64:65], s[62:63]
	s_cbranch_execz .LBB17_841
; %bb.845:                              ;   in Loop: Header=BB17_842 Depth=3
	s_sleep 1
	s_trap 2
	ds_read_b64 v[0:1], v0
	s_andn2_b64 s[60:61], s[60:61], exec
	s_waitcnt lgkmcnt(0)
	v_cmp_ge_u64_e32 vcc, v[0:1], v[48:49]
	s_orn2_b64 vcc, vcc, exec
	s_branch .LBB17_841
.LBB17_846:                             ;   in Loop: Header=BB17_728 Depth=2
	s_or_b64 exec, exec, s[58:59]
	s_and_saveexec_b64 vcc, s[60:61]
	s_xor_b64 vcc, exec, vcc
	s_cbranch_execz .LBB17_848
; %bb.847:                              ;   in Loop: Header=BB17_728 Depth=2
	ds_write_b32 v0, v24
	s_trap 2
.LBB17_848:                             ;   in Loop: Header=BB17_728 Depth=2
	s_or_b64 exec, exec, s[56:57]
	;;#ASMSTART
	s_wakeup
	;;#ASMEND
.LBB17_849:                             ;   in Loop: Header=BB17_728 Depth=2
	s_or_b64 exec, exec, s[28:29]
.LBB17_850:                             ;   in Loop: Header=BB17_728 Depth=2
	s_andn2_saveexec_b64 s[26:27], s[26:27]
	s_cbranch_execz .LBB17_852
; %bb.851:                              ;   in Loop: Header=BB17_728 Depth=2
	s_waitcnt lgkmcnt(0)
	s_barrier
.LBB17_852:                             ;   in Loop: Header=BB17_728 Depth=2
	s_or_b64 exec, exec, s[26:27]
.LBB17_853:                             ;   in Loop: Header=BB17_728 Depth=2
	s_or_b64 exec, exec, s[24:25]
	s_trap 2
	s_waitcnt lgkmcnt(0)
	ds_read_b64 v[2:3], v0
	s_waitcnt lgkmcnt(0)
	v_readfirstlane_b32 s24, v2
	v_readfirstlane_b32 s25, v3
	s_cmp_eq_u64 s[24:25], 0
	s_cselect_b64 s[24:25], -1, 0
	s_or_b64 s[26:27], s[24:25], s[24:25]
	s_mov_b64 s[24:25], 0
	s_and_b64 vcc, exec, s[26:27]
	s_cbranch_vccnz .LBB17_861
; %bb.854:                              ;   in Loop: Header=BB17_728 Depth=2
	s_trap 2
	ds_read_b64 v[2:3], v0
	v_cmp_eq_u32_e64 s[24:25], 0, v0
	s_waitcnt lgkmcnt(0)
	v_cmp_ne_u64_e32 vcc, 0, v[2:3]
	v_cndmask_b32_e64 v43, 0, v42, s[24:25]
	s_cbranch_vccz .LBB17_866
; %bb.855:                              ;   in Loop: Header=BB17_728 Depth=2
	s_trap 2
	ds_read_b64 v[6:7], v0
	s_mov_b64 s[26:27], -1
	s_and_saveexec_b64 s[24:25], s[18:19]
	s_cbranch_execz .LBB17_857
; %bb.856:                              ;   in Loop: Header=BB17_728 Depth=2
	ds_read_b32 v0, v0 offset:720
	s_waitcnt lgkmcnt(0)
	v_and_b32_e32 v0, 15, v0
	v_cmp_eq_u32_e32 vcc, 0, v0
	s_orn2_b64 s[26:27], vcc, exec
.LBB17_857:                             ;   in Loop: Header=BB17_728 Depth=2
	s_or_b64 exec, exec, s[24:25]
	s_and_saveexec_b64 s[24:25], s[20:21]
	s_cbranch_execz .LBB17_859
; %bb.858:                              ;   in Loop: Header=BB17_728 Depth=2
	ds_read_b32 v0, v0 offset:784
	s_waitcnt lgkmcnt(0)
	v_and_b32_e32 v0, 15, v0
	v_cmp_eq_u32_e32 vcc, 0, v0
	s_and_b64 s[28:29], s[26:27], vcc
	s_andn2_b64 s[26:27], s[26:27], exec
	s_and_b64 s[28:29], s[28:29], exec
	s_or_b64 s[26:27], s[26:27], s[28:29]
.LBB17_859:                             ;   in Loop: Header=BB17_728 Depth=2
	s_or_b64 exec, exec, s[24:25]
	s_xor_b64 s[26:27], s[26:27], -1
	v_cndmask_b32_e64 v0, 0, 1, s[26:27]
	v_lshlrev_b32_e32 v45, 1, v43
	s_mov_b64 s[24:25], -1
	;;#ASMSTART
	;;#ASMEND
	v_mov_b32_e32 v2, 0
	v_cmp_ne_u32_e32 vcc, 0, v0
	s_cbranch_vccz .LBB17_867
; %bb.860:                              ;   in Loop: Header=BB17_728 Depth=2
	v_accvgpr_read_b32 v14, a41
	s_waitcnt vmcnt(0)
	v_mov_b32_e32 v4, v29
	s_and_saveexec_b64 s[28:29], s[24:25]
	s_cbranch_execnz .LBB17_882
	s_branch .LBB17_892
.LBB17_861:                             ;   in Loop: Header=BB17_728 Depth=2
	s_and_saveexec_b64 s[26:27], s[6:7]
	s_cbranch_execnz .LBB17_922
.LBB17_862:                             ;   in Loop: Header=BB17_728 Depth=2
	s_or_b64 exec, exec, s[26:27]
                                        ; implicit-def: $vgpr0
	s_and_saveexec_b64 s[26:27], s[22:23]
	s_xor_b64 s[26:27], exec, s[26:27]
	s_cbranch_execz .LBB17_952
.LBB17_863:                             ;   in Loop: Header=BB17_728 Depth=2
	v_and_b32_e32 v1, 16, v57
	v_cmp_ne_u32_e32 vcc, 0, v1
	v_and_b32_e32 v0, 16, v57
	s_and_b64 s[28:29], vcc, s[24:25]
	s_and_saveexec_b64 s[24:25], s[28:29]
	s_cbranch_execz .LBB17_865
; %bb.864:                              ;   in Loop: Header=BB17_728 Depth=2
	v_mov_b32_e32 v0, 1
	buffer_wbl2 sc1
	s_waitcnt vmcnt(0) lgkmcnt(0)
	buffer_inv sc1
.LBB17_865:                             ;   in Loop: Header=BB17_728 Depth=2
	s_or_b64 exec, exec, s[24:25]
	s_andn2_saveexec_b64 s[24:25], s[26:27]
	s_cbranch_execz .LBB17_971
	s_branch .LBB17_953
.LBB17_866:                             ;   in Loop: Header=BB17_728 Depth=2
	s_cbranch_execnz .LBB17_893
	s_branch .LBB17_921
.LBB17_867:                             ;   in Loop: Header=BB17_728 Depth=2
	v_ashrrev_i32_e32 v0, 31, v45
	v_lshrrev_b32_e32 v0, 20, v0
	v_add_u32_e32 v0, v45, v0
	v_ashrrev_i32_e32 v2, 12, v0
	s_waitcnt vmcnt(0)
	v_sub_u32_e32 v30, v2, v29
	v_cmp_lt_i32_e32 vcc, 0, v30
	s_and_saveexec_b64 s[24:25], vcc
	s_cbranch_execz .LBB17_871
; %bb.868:                              ;   in Loop: Header=BB17_728 Depth=2
	v_accvgpr_write_b32 a27, v43
	v_accvgpr_write_b32 a26, v42
	s_trap 2
	v_mov_b64_e32 v[42:43], v[10:11]
	ds_read_b128 v[8:11], v0
	ds_read_b64 v[0:1], v0
	scratch_load_dwordx2 v[4:5], off, s33 offset:184 ; 8-byte Folded Reload
	v_accvgpr_write_b32 a14, v48
	v_accvgpr_write_b32 a4, v38
	v_accvgpr_write_b32 a3, v51
	v_accvgpr_write_b32 a15, v49
	v_accvgpr_write_b32 a5, v39
	s_mov_b64 s[26:27], 0
	s_waitcnt lgkmcnt(0)
	v_mov_b64_e32 v[50:51], v[6:7]
	s_waitcnt vmcnt(0)
	v_lshl_add_u64 v[4:5], v[8:9], 0, v[4:5]
	scratch_load_dwordx2 v[8:9], off, s33 offset:184 ; 8-byte Folded Reload
	s_waitcnt vmcnt(0)
	v_lshl_add_u64 v[28:29], v[10:11], 0, v[8:9]
	scratch_load_dwordx2 v[8:9], off, s33 offset:184 ; 8-byte Folded Reload
.LBB17_869:                             ;   Parent Loop BB17_47 Depth=1
                                        ;     Parent Loop BB17_728 Depth=2
                                        ; =>    This Inner Loop Header: Depth=3
	s_waitcnt vmcnt(0)
	v_lshl_add_u64 v[52:53], v[8:9], 0, v[50:51]
	v_lshl_add_u64 v[20:21], v[8:9], 0, v[0:1]
	global_load_dwordx4 v[8:11], v[20:21], off nt
	global_load_dwordx4 v[12:15], v[20:21], off offset:1024 nt
	global_load_dwordx4 v[36:39], v[52:53], off offset:1024 nt
	;; [unrolled: 1-line block ×4, first 2 shown]
	s_nop 0
	global_load_dwordx4 v[20:23], v[20:21], off offset:3072 nt
	s_nop 0
	global_load_dwordx4 v[24:27], v[52:53], off offset:3072 nt
	s_nop 0
	global_load_dwordx4 v[52:55], v[52:53], off nt
	v_lshl_add_u64 v[50:51], v[50:51], 0, v[42:43]
	v_lshl_add_u64 v[0:1], v[0:1], 0, v[42:43]
	s_waitcnt vmcnt(0)
	v_mul_f16_e32 v3, v8, v52
	v_mul_f16_sdwa v31, v8, v52 dst_sel:WORD_1 dst_unused:UNUSED_PAD src0_sel:WORD_1 src1_sel:WORD_1
	v_mul_f16_e32 v48, v9, v53
	v_or_b32_e32 v52, v31, v3
	v_mul_f16_e32 v3, v10, v54
	v_mul_f16_sdwa v31, v10, v54 dst_sel:WORD_1 dst_unused:UNUSED_PAD src0_sel:WORD_1 src1_sel:WORD_1
	v_mul_f16_sdwa v49, v9, v53 dst_sel:WORD_1 dst_unused:UNUSED_PAD src0_sel:WORD_1 src1_sel:WORD_1
	v_or_b32_e32 v54, v31, v3
	v_mul_f16_e32 v3, v12, v36
	v_mul_f16_sdwa v31, v12, v36 dst_sel:WORD_1 dst_unused:UNUSED_PAD src0_sel:WORD_1 src1_sel:WORD_1
	v_mul_f16_e32 v36, v13, v37
	v_mul_f16_sdwa v37, v13, v37 dst_sel:WORD_1 dst_unused:UNUSED_PAD src0_sel:WORD_1 src1_sel:WORD_1
	v_or_b32_e32 v53, v49, v48
	v_or_b32_e32 v37, v37, v36
	;; [unrolled: 1-line block ×3, first 2 shown]
	v_mul_f16_e32 v3, v14, v38
	v_mul_f16_sdwa v31, v14, v38 dst_sel:WORD_1 dst_unused:UNUSED_PAD src0_sel:WORD_1 src1_sel:WORD_1
	v_mul_f16_e32 v38, v15, v39
	v_mul_f16_sdwa v39, v15, v39 dst_sel:WORD_1 dst_unused:UNUSED_PAD src0_sel:WORD_1 src1_sel:WORD_1
	v_mul_f16_e32 v48, v11, v55
	v_or_b32_e32 v39, v39, v38
	v_or_b32_e32 v38, v31, v3
	v_mul_f16_e32 v3, v16, v32
	v_mul_f16_sdwa v31, v16, v32 dst_sel:WORD_1 dst_unused:UNUSED_PAD src0_sel:WORD_1 src1_sel:WORD_1
	v_mul_f16_e32 v32, v17, v33
	v_mul_f16_sdwa v33, v17, v33 dst_sel:WORD_1 dst_unused:UNUSED_PAD src0_sel:WORD_1 src1_sel:WORD_1
	v_mul_f16_sdwa v49, v11, v55 dst_sel:WORD_1 dst_unused:UNUSED_PAD src0_sel:WORD_1 src1_sel:WORD_1
	v_or_b32_e32 v33, v33, v32
	v_or_b32_e32 v32, v31, v3
	v_mul_f16_e32 v3, v18, v34
	v_mul_f16_sdwa v31, v18, v34 dst_sel:WORD_1 dst_unused:UNUSED_PAD src0_sel:WORD_1 src1_sel:WORD_1
	v_mul_f16_e32 v34, v19, v35
	v_mul_f16_sdwa v35, v19, v35 dst_sel:WORD_1 dst_unused:UNUSED_PAD src0_sel:WORD_1 src1_sel:WORD_1
	v_or_b32_e32 v55, v49, v48
	v_or_b32_e32 v35, v35, v34
	;; [unrolled: 1-line block ×3, first 2 shown]
	v_mul_f16_e32 v3, v20, v24
	v_mul_f16_sdwa v24, v20, v24 dst_sel:WORD_1 dst_unused:UNUSED_PAD src0_sel:WORD_1 src1_sel:WORD_1
	v_mul_f16_e32 v31, v21, v25
	v_mul_f16_sdwa v25, v21, v25 dst_sel:WORD_1 dst_unused:UNUSED_PAD src0_sel:WORD_1 src1_sel:WORD_1
	v_or_b32_e32 v24, v24, v3
	v_or_b32_e32 v25, v25, v31
	v_mul_f16_e32 v3, v22, v26
	v_mul_f16_sdwa v26, v22, v26 dst_sel:WORD_1 dst_unused:UNUSED_PAD src0_sel:WORD_1 src1_sel:WORD_1
	v_mul_f16_e32 v31, v23, v27
	v_mul_f16_sdwa v27, v23, v27 dst_sel:WORD_1 dst_unused:UNUSED_PAD src0_sel:WORD_1 src1_sel:WORD_1
	v_or_b32_e32 v26, v26, v3
	v_or_b32_e32 v27, v27, v31
	global_store_dwordx4 v[4:5], v[52:55], off nt
	global_store_dwordx4 v[4:5], v[36:39], off offset:1024 nt
	global_store_dwordx4 v[4:5], v[32:35], off offset:2048 nt
	;; [unrolled: 1-line block ×3, first 2 shown]
	global_store_dwordx4 v[28:29], v[8:11], off nt
	scratch_load_dwordx2 v[8:9], off, s33 offset:184 ; 8-byte Folded Reload
	v_accvgpr_read_b32 v33, a31
	v_accvgpr_read_b32 v32, a30
	v_sub_u32_e32 v30, v30, v32
	v_cmp_gt_i32_e32 vcc, 1, v30
	global_store_dwordx4 v[28:29], v[12:15], off offset:1024 nt
	global_store_dwordx4 v[28:29], v[16:19], off offset:2048 nt
	;; [unrolled: 1-line block ×3, first 2 shown]
	v_lshl_add_u64 v[4:5], v[4:5], 0, v[42:43]
	v_lshl_add_u64 v[28:29], v[28:29], 0, v[42:43]
	s_or_b64 s[26:27], vcc, s[26:27]
	s_andn2_b64 exec, exec, s[26:27]
	s_cbranch_execnz .LBB17_869
; %bb.870:                              ;   in Loop: Header=BB17_728 Depth=2
	s_or_b64 exec, exec, s[26:27]
	scratch_load_dword v25, off, s33 offset:208 ; 4-byte Folded Reload
	scratch_load_dwordx2 v[26:27], off, s33 offset:200 ; 8-byte Folded Reload
	scratch_load_dword v29, off, s33 offset:212 ; 4-byte Folded Reload
	v_accvgpr_mov_b32 a33, a17
	v_accvgpr_read_b32 v35, a23
	v_accvgpr_read_b32 v37, a25
	v_accvgpr_read_b32 v39, a5
	v_accvgpr_read_b32 v49, a15
	v_accvgpr_read_b32 v22, a42
	v_accvgpr_read_b32 v20, a50
	v_accvgpr_mov_b32 a32, a16
	v_accvgpr_read_b32 v34, a22
	v_accvgpr_read_b32 v36, a24
	;; [unrolled: 1-line block ×7, first 2 shown]
	v_mov_b32_e32 v24, 1
	v_accvgpr_read_b32 v42, a26
	v_accvgpr_read_b32 v43, a27
.LBB17_871:                             ;   in Loop: Header=BB17_728 Depth=2
	s_or_b64 exec, exec, s[24:25]
	v_lshlrev_b32_e32 v18, 12, v2
	v_cmp_ne_u32_e32 vcc, v45, v18
	s_mov_b64 s[24:25], 0
	v_mov_b32_e32 v2, 0
                                        ; implicit-def: $vgpr14
                                        ; implicit-def: $vgpr4
	s_and_saveexec_b64 s[56:57], vcc
	s_cbranch_execz .LBB17_881
; %bb.872:                              ;   in Loop: Header=BB17_728 Depth=2
	scratch_load_dword v2, off, s33 offset:216 ; 4-byte Folded Reload
	v_lshlrev_b32_e32 v0, 6, v30
	v_sub_u32_e32 v1, v45, v18
	s_waitcnt vmcnt(0)
	v_sub_u32_e32 v0, v2, v0
	v_ashrrev_i32_e32 v2, 31, v0
	v_lshrrev_b32_e32 v2, 26, v2
	v_add_u32_e32 v2, v0, v2
	v_ashrrev_i32_e32 v3, 6, v2
	v_and_b32_e32 v2, 0xffffffc0, v2
	v_sub_u32_e32 v20, v0, v2
	v_ashrrev_i32_e32 v2, 31, v1
	v_lshrrev_b32_e32 v2, 22, v2
	v_add_u32_e32 v2, v1, v2
	v_and_b32_e32 v21, 0xfffffc00, v2
	v_lshlrev_b32_e32 v0, 4, v20
	v_sub_u32_e32 v23, v1, v21
	v_lshl_add_u32 v0, v3, 10, v0
	v_ashrrev_i32_e32 v4, 10, v2
	v_cmp_lt_i32_e64 s[24:25], 15, v23
	v_sub_u32_e32 v24, v1, v0
	s_nop 0
	v_addc_co_u32_e64 v1, vcc, 0, v4, s[24:25]
	v_sub_u32_e32 v22, v1, v3
	v_cmp_lt_i32_e32 vcc, 15, v24
	s_and_saveexec_b64 s[58:59], vcc
	s_cbranch_execz .LBB17_878
; %bb.873:                              ;   in Loop: Header=BB17_728 Depth=2
	s_trap 2
	ds_read_b64 v[2:3], v0
	ds_read_b128 v[8:11], v0
	v_add_u32_e32 v14, v0, v18
	v_ashrrev_i32_e32 v15, 31, v14
	s_waitcnt lgkmcnt(2)
	v_lshl_add_u64 v[4:5], v[14:15], 0, v[6:7]
	s_waitcnt lgkmcnt(1)
	v_lshl_add_u64 v[0:1], v[2:3], 0, v[14:15]
	s_waitcnt lgkmcnt(0)
	v_lshl_add_u64 v[12:13], v[8:9], 0, v[14:15]
	v_lshl_add_u64 v[14:15], v[10:11], 0, v[14:15]
	s_mov_b64 s[60:61], 0
.LBB17_874:                             ;   Parent Loop BB17_47 Depth=1
                                        ;     Parent Loop BB17_728 Depth=2
                                        ; =>    This Loop Header: Depth=3
                                        ;         Child Loop BB17_875 Depth 4
	global_load_dwordx4 v[8:11], v[0:1], off nt
	global_load_dwordx4 v[26:29], v[4:5], off nt
	s_mov_b64 s[64:65], -1
	s_mov_b64 s[62:63], 0
	s_waitcnt vmcnt(0)
	v_mul_f16_e32 v2, v8, v26
	v_mul_f16_sdwa v3, v8, v26 dst_sel:WORD_1 dst_unused:UNUSED_PAD src0_sel:WORD_1 src1_sel:WORD_1
	v_mul_f16_e32 v16, v9, v27
	v_mul_f16_sdwa v17, v9, v27 dst_sel:WORD_1 dst_unused:UNUSED_PAD src0_sel:WORD_1 src1_sel:WORD_1
	;; [unrolled: 2-line block ×4, first 2 shown]
	v_or_b32_e32 v17, v17, v16
	v_or_b32_e32 v2, v3, v2
	;; [unrolled: 1-line block ×4, first 2 shown]
.LBB17_875:                             ;   Parent Loop BB17_47 Depth=1
                                        ;     Parent Loop BB17_728 Depth=2
                                        ;       Parent Loop BB17_874 Depth=3
                                        ; =>      This Inner Loop Header: Depth=4
	v_cndmask_b32_e64 v3, 0, 1, s[64:65]
	v_cndmask_b32_e64 v27, v9, v17, s[64:65]
	v_readfirstlane_b32 s26, v3
	s_cmp_lg_u32 s26, 1
	s_cselect_b64 vcc, -1, 0
	s_cmp_eq_u32 s62, 1
	s_cselect_b64 s[26:27], -1, 0
	v_cndmask_b32_e64 v26, v8, v2, s[64:65]
	v_cndmask_b32_e64 v29, v11, v19, s[64:65]
	;; [unrolled: 1-line block ×3, first 2 shown]
	v_cndmask_b32_e32 v31, v13, v15, vcc
	v_cndmask_b32_e32 v30, v12, v14, vcc
	v_cndmask_b32_e64 v33, v13, v15, s[26:27]
	s_cmp_eq_u32 s62, 0
	v_cndmask_b32_e64 v32, v12, v14, s[26:27]
	global_store_dwordx4 v[30:31], v[26:29], off nt
	s_cselect_b64 s[28:29], -1, 0
	s_mov_b64 s[64:65], 0
	v_lshl_add_u64 v[26:27], v[32:33], 0, s[42:43]
	s_mov_b64 s[62:63], 1
	s_and_b64 vcc, exec, vcc
	v_cndmask_b32_e64 v15, v15, v27, s[26:27]
	v_cndmask_b32_e64 v14, v14, v26, s[26:27]
	;; [unrolled: 1-line block ×4, first 2 shown]
	s_cbranch_vccz .LBB17_875
; %bb.876:                              ;   in Loop: Header=BB17_874 Depth=3
	v_accvgpr_read_b32 v2, a36
	v_accvgpr_read_b32 v3, a37
	v_lshl_add_u64 v[12:13], v[12:13], 0, v[2:3]
	v_lshl_add_u64 v[14:15], v[14:15], 0, v[2:3]
	v_accvgpr_read_b32 v2, a48
	v_sub_u32_e32 v24, v24, v56
	v_accvgpr_read_b32 v33, a31
	v_accvgpr_read_b32 v3, a49
	v_cmp_gt_i32_e32 vcc, 16, v24
	v_accvgpr_read_b32 v32, a30
	v_lshl_add_u64 v[0:1], v[0:1], 0, v[2:3]
	v_lshl_add_u64 v[4:5], v[4:5], 0, v[2:3]
	s_or_b64 s[60:61], vcc, s[60:61]
	v_sub_u32_e32 v22, v22, v32
	s_andn2_b64 exec, exec, s[60:61]
	s_cbranch_execnz .LBB17_874
; %bb.877:                              ;   in Loop: Header=BB17_728 Depth=2
	s_or_b64 exec, exec, s[60:61]
	scratch_load_dword v25, off, s33 offset:208 ; 4-byte Folded Reload
	scratch_load_dwordx2 v[26:27], off, s33 offset:200 ; 8-byte Folded Reload
	scratch_load_dword v29, off, s33 offset:212 ; 4-byte Folded Reload
.LBB17_878:                             ;   in Loop: Header=BB17_728 Depth=2
	s_or_b64 exec, exec, s[58:59]
	v_and_b32_e32 v0, 14, v45
	v_cndmask_b32_e64 v45, v23, v0, s[24:25]
	s_mov_b64 s[26:27], 0
	v_mov_b32_e32 v2, 0
	v_cmp_ne_u32_e32 vcc, 0, v45
                                        ; implicit-def: $vgpr14
                                        ; implicit-def: $vgpr4
	s_mov_b64 s[28:29], exec
	s_and_b64 vcc, s[28:29], vcc
	v_mov_b32_e32 v24, 1
	s_mov_b64 exec, vcc
	s_cbranch_execz .LBB17_880
; %bb.879:                              ;   in Loop: Header=BB17_728 Depth=2
	v_sub_u32_e32 v0, v23, v0
	v_cndmask_b32_e64 v0, 0, v0, s[24:25]
	v_cmp_lt_i32_e32 vcc, 0, v22
	v_add3_u32 v2, v21, v18, v0
	s_mov_b64 s[26:27], exec
	v_cndmask_b32_e32 v0, 0, v32, vcc
	v_sub_u32_e32 v0, v0, v22
	v_lshl_add_u32 v14, v0, 6, v20
	v_ashrrev_i32_e32 v0, 31, v14
	v_lshrrev_b32_e32 v0, 26, v0
	v_add_u32_e32 v0, v14, v0
	v_ashrrev_i32_e32 v4, 6, v0
.LBB17_880:                             ;   in Loop: Header=BB17_728 Depth=2
	s_or_b64 exec, exec, s[28:29]
	v_accvgpr_read_b32 v22, a42
	v_accvgpr_read_b32 v20, a50
	s_and_b64 s[24:25], s[26:27], exec
	v_accvgpr_read_b32 v23, a43
	v_accvgpr_read_b32 v21, a51
.LBB17_881:                             ;   in Loop: Header=BB17_728 Depth=2
	s_or_b64 exec, exec, s[56:57]
	scratch_load_dwordx2 v[18:19], off, s33 offset:192 ; 8-byte Folded Reload
	s_and_saveexec_b64 s[28:29], s[24:25]
	s_cbranch_execz .LBB17_892
.LBB17_882:                             ;   in Loop: Header=BB17_728 Depth=2
	v_ashrrev_i32_e32 v0, 31, v45
	v_lshrrev_b32_e32 v0, 21, v0
	v_add_u32_e32 v0, v45, v0
	v_ashrrev_i32_e32 v17, 11, v0
	v_sub_u32_e32 v15, v17, v4
	v_ashrrev_i32_e32 v0, 31, v14
	v_cmp_lt_i32_e32 vcc, 0, v15
	v_lshrrev_b32_e32 v16, 26, v0
	s_and_saveexec_b64 s[24:25], vcc
	s_cbranch_execz .LBB17_886
; %bb.883:                              ;   in Loop: Header=BB17_728 Depth=2
	v_add_u32_e32 v0, v14, v16
	v_and_b32_e32 v0, 0x7fffffc0, v0
	s_trap 2
	v_sub_u32_e32 v3, v14, v0
	ds_read_b64 v[0:1], v0
	v_lshlrev_b32_e32 v3, 1, v3
	v_lshlrev_b32_e32 v4, 11, v4
	v_add3_u32 v4, v3, v2, v4
	v_accvgpr_write_b32 a27, v43
	s_waitcnt vmcnt(0) lgkmcnt(0)
	ds_read_b128 v[8:11], v0
	v_accvgpr_write_b32 a26, v42
	v_accvgpr_write_b32 a14, v48
	;; [unrolled: 1-line block ×3, first 2 shown]
	v_ashrrev_i32_e32 v5, 31, v4
	v_accvgpr_read_b32 v42, a44
	v_accvgpr_write_b32 a3, v51
	v_accvgpr_write_b32 a15, v49
	;; [unrolled: 1-line block ×3, first 2 shown]
	s_waitcnt lgkmcnt(0)
	v_lshl_add_u64 v[8:9], v[8:9], 0, v[4:5]
	v_lshl_add_u64 v[10:11], v[10:11], 0, v[4:5]
	s_mov_b64 s[26:27], 0
	v_mov_b64_e32 v[12:13], v[6:7]
	v_mov_b64_e32 v[60:61], v[32:33]
	v_accvgpr_read_b32 v43, a45
.LBB17_884:                             ;   Parent Loop BB17_47 Depth=1
                                        ;     Parent Loop BB17_728 Depth=2
                                        ; =>    This Inner Loop Header: Depth=3
	v_lshl_add_u64 v[26:27], v[4:5], 0, v[12:13]
	v_lshl_add_u64 v[28:29], v[4:5], 0, v[0:1]
	flat_load_ushort v18, v[28:29] nt
	flat_load_ushort v19, v[28:29] offset:128 nt
	flat_load_ushort v20, v[28:29] offset:256 nt
	;; [unrolled: 1-line block ×14, first 2 shown]
	flat_load_ushort v36, v[26:27] nt
	flat_load_ushort v37, v[28:29] offset:1024 nt
	flat_load_ushort v38, v[28:29] offset:1152 nt
	;; [unrolled: 1-line block ×7, first 2 shown]
	s_nop 0
	flat_load_ushort v28, v[28:29] offset:1920 nt
	s_nop 0
	flat_load_ushort v29, v[26:27] offset:1024 nt
	flat_load_ushort v52, v[26:27] offset:1152 nt
	;; [unrolled: 1-line block ×7, first 2 shown]
	s_nop 0
	flat_load_ushort v26, v[26:27] offset:1920 nt
	v_sub_u32_e32 v15, v15, v60
	v_cmp_gt_i32_e32 vcc, 1, v15
	v_lshl_add_u64 v[12:13], v[12:13], 0, v[42:43]
	v_lshl_add_u64 v[0:1], v[0:1], 0, v[42:43]
	s_or_b64 s[26:27], vcc, s[26:27]
	s_waitcnt vmcnt(0) lgkmcnt(0)
	v_mul_f16_e32 v3, v3, v20
	v_mul_f16_e32 v30, v30, v21
	;; [unrolled: 1-line block ×16, first 2 shown]
	flat_store_short v[8:9], v27 nt
	flat_store_short v[8:9], v35 offset:128 nt
	flat_store_short v[8:9], v3 offset:256 nt
	;; [unrolled: 1-line block ×15, first 2 shown]
	flat_store_short v[10:11], v18 nt
	flat_store_short v[10:11], v19 offset:128 nt
	flat_store_short v[10:11], v20 offset:256 nt
	;; [unrolled: 1-line block ×15, first 2 shown]
	v_lshl_add_u64 v[8:9], v[8:9], 0, v[42:43]
	v_lshl_add_u64 v[10:11], v[10:11], 0, v[42:43]
	s_andn2_b64 exec, exec, s[26:27]
	s_cbranch_execnz .LBB17_884
; %bb.885:                              ;   in Loop: Header=BB17_728 Depth=2
	s_or_b64 exec, exec, s[26:27]
	scratch_load_dword v25, off, s33 offset:208 ; 4-byte Folded Reload
	scratch_load_dwordx2 v[26:27], off, s33 offset:200 ; 8-byte Folded Reload
	scratch_load_dword v29, off, s33 offset:212 ; 4-byte Folded Reload
	scratch_load_dwordx2 v[18:19], off, s33 offset:192 ; 8-byte Folded Reload
	v_accvgpr_read_b32 v41, a9
	v_accvgpr_mov_b32 a33, a17
	v_accvgpr_read_b32 v35, a23
	v_accvgpr_read_b32 v37, a25
	;; [unrolled: 1-line block ×7, first 2 shown]
	v_accvgpr_mov_b32 a32, a16
	v_accvgpr_read_b32 v34, a22
	v_accvgpr_read_b32 v36, a24
	;; [unrolled: 1-line block ×5, first 2 shown]
	v_mov_b64_e32 v[32:33], v[60:61]
	v_accvgpr_read_b32 v23, a43
	v_accvgpr_read_b32 v21, a51
	v_mov_b32_e32 v24, 1
	v_accvgpr_read_b32 v42, a26
	v_accvgpr_read_b32 v43, a27
.LBB17_886:                             ;   in Loop: Header=BB17_728 Depth=2
	s_or_b64 exec, exec, s[24:25]
	v_lshlrev_b32_e32 v0, 11, v17
	v_cmp_ne_u32_e32 vcc, v45, v0
	s_and_b64 exec, exec, vcc
	s_cbranch_execz .LBB17_892
; %bb.887:                              ;   in Loop: Header=BB17_728 Depth=2
	v_add_u32_e32 v1, v14, v16
	v_and_b32_e32 v1, 0xffffffc0, v1
	v_sub_u32_e32 v1, v14, v1
	v_lshlrev_b32_e32 v3, 6, v15
	v_sub_u32_e32 v1, v1, v3
	v_ashrrev_i32_e32 v3, 31, v1
	v_lshrrev_b32_e32 v3, 26, v3
	v_add_u32_e32 v3, v1, v3
	v_and_b32_e32 v4, 0x7fffffc0, v3
	v_sub_u32_e32 v1, v1, v4
	v_lshlrev_b32_e32 v3, 1, v3
	v_and_b32_e32 v3, 0xffffff80, v3
	v_lshlrev_b32_e32 v1, 1, v1
	v_add3_u32 v0, v3, v1, v0
	v_sub_u32_e32 v10, v45, v0
	v_cmp_lt_i32_e32 vcc, 1, v10
	s_and_b64 exec, exec, vcc
	s_cbranch_execz .LBB17_892
; %bb.888:                              ;   in Loop: Header=BB17_728 Depth=2
	s_trap 2
	ds_read_b64 v[4:5], v0
	ds_read_b128 v[12:15], v0
	v_add_u32_e32 v2, v0, v2
	v_ashrrev_i32_e32 v3, 31, v2
	s_mov_b64 s[56:57], 0
	s_waitcnt lgkmcnt(0)
	v_lshl_add_u64 v[0:1], v[4:5], 0, v[2:3]
	v_lshl_add_u64 v[4:5], v[2:3], 0, v[6:7]
	;; [unrolled: 1-line block ×3, first 2 shown]
	s_waitcnt vmcnt(0)
	v_lshl_add_u64 v[8:9], v[14:15], 0, v[2:3]
.LBB17_889:                             ;   Parent Loop BB17_47 Depth=1
                                        ;     Parent Loop BB17_728 Depth=2
                                        ; =>    This Loop Header: Depth=3
                                        ;         Child Loop BB17_890 Depth 4
	flat_load_ushort v2, v[0:1] nt
	flat_load_ushort v3, v[4:5] nt
	s_mov_b64 s[60:61], -1
	s_mov_b64 s[58:59], 0
	s_waitcnt vmcnt(0) lgkmcnt(0)
	v_mul_f16_e32 v11, v2, v3
.LBB17_890:                             ;   Parent Loop BB17_47 Depth=1
                                        ;     Parent Loop BB17_728 Depth=2
                                        ;       Parent Loop BB17_889 Depth=3
                                        ; =>      This Inner Loop Header: Depth=4
	v_cndmask_b32_e64 v12, 0, 1, s[60:61]
	v_cndmask_b32_e64 v3, v2, v11, s[60:61]
	v_readfirstlane_b32 s24, v12
	s_cmp_lg_u32 s24, 1
	s_cselect_b64 vcc, -1, 0
	s_cmp_eq_u32 s58, 1
	s_cselect_b64 s[24:25], -1, 0
	v_cndmask_b32_e32 v13, v7, v9, vcc
	v_cndmask_b32_e32 v12, v6, v8, vcc
	v_cndmask_b32_e64 v15, v7, v9, s[24:25]
	s_cmp_eq_u32 s58, 0
	v_cndmask_b32_e64 v14, v6, v8, s[24:25]
	flat_store_short v[12:13], v3 nt
	v_lshl_add_u64 v[12:13], v[14:15], 0, s[44:45]
	s_cselect_b64 s[26:27], -1, 0
	s_mov_b64 s[60:61], 0
	s_mov_b64 s[58:59], 1
	s_and_b64 vcc, exec, vcc
	v_cndmask_b32_e64 v9, v9, v13, s[24:25]
	v_cndmask_b32_e64 v8, v8, v12, s[24:25]
	;; [unrolled: 1-line block ×4, first 2 shown]
	s_cbranch_vccz .LBB17_890
; %bb.891:                              ;   in Loop: Header=BB17_889 Depth=3
	v_sub_u32_e32 v10, v10, v25
	v_cmp_gt_i32_e32 vcc, 2, v10
	v_lshl_add_u64 v[6:7], v[6:7], 0, v[26:27]
	v_lshl_add_u64 v[8:9], v[8:9], 0, v[26:27]
	;; [unrolled: 1-line block ×3, first 2 shown]
	s_or_b64 s[56:57], vcc, s[56:57]
	v_lshl_add_u64 v[4:5], v[4:5], 0, v[20:21]
	s_andn2_b64 exec, exec, s[56:57]
	s_cbranch_execnz .LBB17_889
.LBB17_892:                             ;   in Loop: Header=BB17_728 Depth=2
	s_or_b64 exec, exec, s[28:29]
	v_accvgpr_read_b32 v16, a44
	v_accvgpr_read_b32 v10, a52
	;; [unrolled: 1-line block ×6, first 2 shown]
	s_branch .LBB17_921
.LBB17_893:                             ;   in Loop: Header=BB17_728 Depth=2
	s_mov_b64 s[24:25], -1
	s_and_saveexec_b64 s[26:27], s[18:19]
	s_cbranch_execz .LBB17_895
; %bb.894:                              ;   in Loop: Header=BB17_728 Depth=2
	ds_read_b32 v0, v0 offset:720
	s_waitcnt lgkmcnt(0)
	v_and_b32_e32 v0, 15, v0
	v_cmp_eq_u32_e32 vcc, 0, v0
	s_orn2_b64 s[24:25], vcc, exec
.LBB17_895:                             ;   in Loop: Header=BB17_728 Depth=2
	s_or_b64 exec, exec, s[26:27]
	s_and_saveexec_b64 s[26:27], s[16:17]
	s_cbranch_execz .LBB17_897
; %bb.896:                              ;   in Loop: Header=BB17_728 Depth=2
	ds_read_b32 v0, v0 offset:784
	s_waitcnt lgkmcnt(0)
	v_and_b32_e32 v0, 15, v0
	v_cmp_eq_u32_e32 vcc, 0, v0
	s_and_b64 s[28:29], s[24:25], vcc
	s_andn2_b64 s[24:25], s[24:25], exec
	s_and_b64 s[28:29], s[28:29], exec
	s_or_b64 s[24:25], s[24:25], s[28:29]
.LBB17_897:                             ;   in Loop: Header=BB17_728 Depth=2
	s_or_b64 exec, exec, s[26:27]
	s_xor_b64 s[24:25], s[24:25], -1
	v_cndmask_b32_e64 v0, 0, 1, s[24:25]
	v_lshlrev_b32_e32 v60, 1, v43
	s_mov_b64 s[28:29], -1
	;;#ASMSTART
	;;#ASMEND
	v_mov_b32_e32 v61, 0
	v_cmp_ne_u32_e32 vcc, 0, v0
	s_cbranch_vccz .LBB17_899
; %bb.898:                              ;   in Loop: Header=BB17_728 Depth=2
	v_accvgpr_read_b32 v0, a41
	s_waitcnt vmcnt(0)
	v_mov_b32_e32 v4, v29
	s_and_saveexec_b64 s[24:25], s[28:29]
	s_cbranch_execnz .LBB17_912
	s_branch .LBB17_920
.LBB17_899:                             ;   in Loop: Header=BB17_728 Depth=2
	v_ashrrev_i32_e32 v0, 31, v60
	v_lshrrev_b32_e32 v0, 19, v0
	v_add_u32_e32 v0, v60, v0
	v_ashrrev_i32_e32 v0, 13, v0
	s_waitcnt vmcnt(0)
	v_sub_u32_e32 v28, v0, v29
	v_cmp_lt_i32_e32 vcc, 0, v28
	s_and_saveexec_b64 s[26:27], vcc
	s_cbranch_execz .LBB17_903
; %bb.900:                              ;   in Loop: Header=BB17_728 Depth=2
	s_trap 2
	scratch_load_dwordx2 v[4:5], off, s33 offset:256 ; 8-byte Folded Reload
	v_accvgpr_mov_b32 a15, a11
	v_accvgpr_mov_b32 a14, a10
	ds_read_b64 a[10:11], v0
	v_accvgpr_write_b32 a28, v48
	v_accvgpr_write_b32 a26, v38
	v_accvgpr_write_b32 a6, v32
	v_accvgpr_write_b32 a18, v22
	v_accvgpr_write_b32 a2, v0
	v_accvgpr_write_b32 a34, v60
	v_accvgpr_write_b32 a57, v43
	v_accvgpr_write_b32 a56, v42
	v_accvgpr_write_b32 a55, v44
	v_accvgpr_write_b32 a5, v51
	v_accvgpr_write_b32 a29, v49
	v_accvgpr_write_b32 a27, v39
	v_accvgpr_write_b32 a4, v57
	v_accvgpr_mov_b32 a3, a41
	s_mov_b64 s[28:29], 0
	v_accvgpr_write_b32 a7, v33
	v_accvgpr_write_b32 a19, v23
.LBB17_901:                             ;   Parent Loop BB17_47 Depth=1
                                        ;     Parent Loop BB17_728 Depth=2
                                        ; =>    This Inner Loop Header: Depth=3
	s_waitcnt lgkmcnt(0)
	v_accvgpr_read_b32 v0, a10
	v_accvgpr_read_b32 v1, a11
	s_waitcnt vmcnt(0)
	v_lshl_add_u64 v[6:7], v[0:1], 0, v[4:5]
	global_load_dwordx4 v[16:19], v[4:5], off offset:-4096 nt
	global_load_dwordx4 v[24:27], v[4:5], off offset:-3072 nt
	;; [unrolled: 1-line block ×8, first 2 shown]
	v_add_co_u32_e32 v8, vcc, 0xfffff000, v6
	s_waitcnt vmcnt(3)
	v_mul_f16_e32 v0, v20, v16
	v_accvgpr_write_b32 a20, v0
	v_mul_f16_sdwa v0, v20, v16 dst_sel:WORD_1 dst_unused:UNUSED_PAD src0_sel:WORD_1 src1_sel:WORD_1
	v_mul_f16_e32 v11, v23, v19
	v_accvgpr_write_b32 a41, v0
	v_mul_f16_e32 v0, v21, v17
	v_accvgpr_write_b32 a62, v0
	v_mul_f16_sdwa v0, v21, v17 dst_sel:WORD_1 dst_unused:UNUSED_PAD src0_sel:WORD_1 src1_sel:WORD_1
	v_mul_f16_sdwa v10, v23, v19 dst_sel:WORD_1 dst_unused:UNUSED_PAD src0_sel:WORD_1 src1_sel:WORD_1
	v_accvgpr_write_b32 a46, v0
	v_mul_f16_e32 v0, v22, v18
	v_accvgpr_write_b32 a47, v0
	v_mul_f16_sdwa v0, v22, v18 dst_sel:WORD_1 dst_unused:UNUSED_PAD src0_sel:WORD_1 src1_sel:WORD_1
	s_waitcnt vmcnt(2)
	v_mul_f16_e32 v13, v31, v25
	v_accvgpr_write_b32 a63, v0
	v_mul_f16_e32 v0, v30, v24
	v_accvgpr_write_b32 a32, v0
	v_mul_f16_sdwa v0, v30, v24 dst_sel:WORD_1 dst_unused:UNUSED_PAD src0_sel:WORD_1 src1_sel:WORD_1
	v_mul_f16_sdwa v12, v31, v25 dst_sel:WORD_1 dst_unused:UNUSED_PAD src0_sel:WORD_1 src1_sel:WORD_1
	v_accvgpr_write_b32 a33, v0
	v_mul_f16_e32 v0, v32, v26
	v_accvgpr_write_b32 a54, v0
	v_mul_f16_sdwa v0, v32, v26 dst_sel:WORD_1 dst_unused:UNUSED_PAD src0_sel:WORD_1 src1_sel:WORD_1
	v_mul_f16_e32 v15, v33, v27
	v_mul_f16_sdwa v14, v33, v27 dst_sel:WORD_1 dst_unused:UNUSED_PAD src0_sel:WORD_1 src1_sel:WORD_1
	s_waitcnt vmcnt(0)
	v_mul_f16_e32 v27, v58, v50
	v_mul_f16_sdwa v23, v58, v50 dst_sel:WORD_1 dst_unused:UNUSED_PAD src0_sel:WORD_1 src1_sel:WORD_1
	v_mul_f16_e32 v39, v59, v51
	v_mul_f16_sdwa v20, v59, v51 dst_sel:WORD_1 dst_unused:UNUSED_PAD src0_sel:WORD_1 src1_sel:WORD_1
	;; [unrolled: 2-line block ×4, first 2 shown]
	global_load_dwordx4 v[52:55], v[4:5], off nt
	global_load_dwordx4 v[58:61], v[6:7], off nt
	v_accvgpr_write_b32 a35, v0
	v_mul_f16_e32 v0, v44, v34
	v_accvgpr_write_b32 a40, v0
	v_mul_f16_sdwa v0, v44, v34 dst_sel:WORD_1 dst_unused:UNUSED_PAD src0_sel:WORD_1 src1_sel:WORD_1
	v_addc_co_u32_e32 v9, vcc, -1, v7, vcc
	v_accvgpr_write_b32 a38, v0
	v_mul_f16_e32 v0, v46, v36
	v_mul_f16_sdwa v21, v46, v36 dst_sel:WORD_1 dst_unused:UNUSED_PAD src0_sel:WORD_1 src1_sel:WORD_1
	v_mul_f16_e32 v17, v45, v35
	v_mul_f16_sdwa v16, v45, v35 dst_sel:WORD_1 dst_unused:UNUSED_PAD src0_sel:WORD_1 src1_sel:WORD_1
	v_accvgpr_write_b32 a39, v0
	v_mul_f16_e32 v19, v47, v37
	v_mul_f16_sdwa v18, v47, v37 dst_sel:WORD_1 dst_unused:UNUSED_PAD src0_sel:WORD_1 src1_sel:WORD_1
	v_or_b32_e32 v11, v10, v11
	v_or_b32_e32 v13, v12, v13
	v_or_b32_e32 v15, v14, v15
	v_or_b32_e32 v17, v16, v17
	v_or_b32_e32 v19, v18, v19
	s_waitcnt vmcnt(0)
	v_mul_f16_e32 v42, v60, v54
	v_mul_f16_sdwa v46, v60, v54 dst_sel:WORD_1 dst_unused:UNUSED_PAD src0_sel:WORD_1 src1_sel:WORD_1
	v_add_co_u32_e32 v60, vcc, 0xfffff000, v4
	v_mul_f16_e32 v45, v58, v52
	v_mul_f16_sdwa v24, v58, v52 dst_sel:WORD_1 dst_unused:UNUSED_PAD src0_sel:WORD_1 src1_sel:WORD_1
	v_mul_f16_e32 v44, v59, v53
	v_mul_f16_sdwa v47, v59, v53 dst_sel:WORD_1 dst_unused:UNUSED_PAD src0_sel:WORD_1 src1_sel:WORD_1
	;; [unrolled: 2-line block ×3, first 2 shown]
	v_addc_co_u32_e32 v61, vcc, -1, v5, vcc
	global_load_dwordx4 v[52:55], v[8:9], off offset:-3072 nt
	global_load_dwordx4 v[0:3], v[60:61], off offset:-3072 nt
	v_or_b32_e32 v24, v24, v45
	s_waitcnt vmcnt(0)
	v_mul_f16_e32 v43, v52, v0
	v_mul_f16_sdwa v48, v52, v0 dst_sel:WORD_1 dst_unused:UNUSED_PAD src0_sel:WORD_1 src1_sel:WORD_1
	v_mul_f16_e32 v40, v53, v1
	v_mul_f16_sdwa v56, v53, v1 dst_sel:WORD_1 dst_unused:UNUSED_PAD src0_sel:WORD_1 src1_sel:WORD_1
	;; [unrolled: 2-line block ×4, first 2 shown]
	global_load_dwordx4 v[0:3], v[8:9], off offset:-2048 nt
	global_load_dwordx4 v[52:55], v[60:61], off offset:-2048 nt
	s_waitcnt vmcnt(0)
	v_mul_f16_e32 v34, v0, v52
	v_mul_f16_sdwa v32, v0, v52 dst_sel:WORD_1 dst_unused:UNUSED_PAD src0_sel:WORD_1 src1_sel:WORD_1
	v_mul_f16_e32 v30, v1, v53
	v_mul_f16_sdwa v29, v1, v53 dst_sel:WORD_1 dst_unused:UNUSED_PAD src0_sel:WORD_1 src1_sel:WORD_1
	;; [unrolled: 2-line block ×4, first 2 shown]
	global_load_dwordx4 v[0:3], v[8:9], off offset:-1024 nt
	global_load_dwordx4 v[52:55], v[60:61], off offset:-1024 nt
	s_waitcnt vmcnt(0)
	v_mul_f16_e32 v60, v0, v52
	v_mul_f16_sdwa v52, v0, v52 dst_sel:WORD_1 dst_unused:UNUSED_PAD src0_sel:WORD_1 src1_sel:WORD_1
	v_mul_f16_e32 v61, v1, v53
	v_mul_f16_sdwa v53, v1, v53 dst_sel:WORD_1 dst_unused:UNUSED_PAD src0_sel:WORD_1 src1_sel:WORD_1
	v_accvgpr_read_b32 v0, a62
	v_accvgpr_read_b32 v1, a46
	v_or_b32_e32 v9, v1, v0
	v_accvgpr_read_b32 v0, a20
	v_accvgpr_read_b32 v1, a41
	v_or_b32_e32 v8, v1, v0
	;; [unrolled: 3-line block ×6, first 2 shown]
	v_accvgpr_read_b32 v0, a39
	v_or_b32_e32 v18, v21, v0
	v_or_b32_e32 v21, v20, v39
	;; [unrolled: 1-line block ×5, first 2 shown]
	v_accvgpr_read_b32 v41, a7
	v_accvgpr_read_b32 v40, a6
	v_mul_f16_e32 v36, v3, v55
	v_mul_f16_sdwa v55, v3, v55 dst_sel:WORD_1 dst_unused:UNUSED_PAD src0_sel:WORD_1 src1_sel:WORD_1
	v_or_b32_e32 v3, v31, v33
	v_sub_u32_e32 v28, v28, v40
	v_or_b32_e32 v31, v29, v30
	v_or_b32_e32 v30, v32, v34
	v_accvgpr_read_b32 v33, a19
	v_mul_f16_e32 v49, v2, v54
	v_mul_f16_sdwa v54, v2, v54 dst_sel:WORD_1 dst_unused:UNUSED_PAD src0_sel:WORD_1 src1_sel:WORD_1
	v_or_b32_e32 v2, v38, v57
	v_add_co_u32_e32 v38, vcc, s76, v6
	v_cmp_gt_i32_e64 s[24:25], 1, v28
	v_accvgpr_read_b32 v32, a18
	v_or_b32_e32 v0, v48, v43
	v_addc_co_u32_e32 v39, vcc, -1, v7, vcc
	s_or_b64 s[28:29], s[24:25], s[28:29]
	v_lshl_add_u64 v[4:5], v[4:5], 0, v[32:33]
	v_or_b32_e32 v22, v25, v26
	v_or_b32_e32 v25, v47, v44
	;; [unrolled: 1-line block ×10, first 2 shown]
	global_store_dwordx4 v[38:39], v[0:3], off offset:-3072 nt
	global_store_dwordx4 v[38:39], v[30:33], off offset:-2048 nt
	;; [unrolled: 1-line block ×7, first 2 shown]
	global_store_dwordx4 v[6:7], v[24:27], off nt
	s_andn2_b64 exec, exec, s[28:29]
	s_cbranch_execnz .LBB17_901
; %bb.902:                              ;   in Loop: Header=BB17_728 Depth=2
	s_or_b64 exec, exec, s[28:29]
	scratch_load_dwordx2 a[62:63], off, s33 offset:244 ; 8-byte Folded Reload
	scratch_load_dwordx2 v[46:47], off, s33 offset:236 ; 8-byte Folded Reload
	;; [unrolled: 1-line block ×3, first 2 shown]
	scratch_load_dword v56, off, s33 offset:252 ; 4-byte Folded Reload
	scratch_load_dword v25, off, s33 offset:208 ; 4-byte Folded Reload
	scratch_load_dwordx2 v[26:27], off, s33 offset:200 ; 8-byte Folded Reload
	scratch_load_dword v29, off, s33 offset:212 ; 4-byte Folded Reload
	scratch_load_dwordx2 v[18:19], off, s33 offset:192 ; 8-byte Folded Reload
	v_accvgpr_read_b32 v41, a9
	v_accvgpr_mov_b32 a10, a14
	v_accvgpr_mov_b32 a33, a17
	v_accvgpr_read_b32 v35, a23
	v_accvgpr_read_b32 v37, a25
	;; [unrolled: 1-line block ×11, first 2 shown]
	v_accvgpr_mov_b32 a41, a3
	v_accvgpr_read_b32 v57, a4
	v_accvgpr_read_b32 v40, a8
	v_accvgpr_mov_b32 a11, a15
	v_accvgpr_mov_b32 a32, a16
	v_accvgpr_read_b32 v34, a22
	v_accvgpr_read_b32 v36, a24
	;; [unrolled: 1-line block ×11, first 2 shown]
	v_mov_b32_e32 v24, 1
	v_accvgpr_read_b32 v14, a12
	v_accvgpr_read_b32 v44, a55
	v_accvgpr_read_b32 v42, a56
	v_accvgpr_read_b32 v43, a57
	v_accvgpr_read_b32 v60, a34
	s_waitcnt vmcnt(5)
	v_accvgpr_write_b32 a20, v0
	v_accvgpr_read_b32 v0, a2
.LBB17_903:                             ;   in Loop: Header=BB17_728 Depth=2
	s_or_b64 exec, exec, s[26:27]
	v_lshlrev_b32_e32 v2, 13, v0
	v_cmp_ne_u32_e32 vcc, v60, v2
	s_mov_b64 s[28:29], 0
	v_mov_b32_e32 v61, 0
                                        ; implicit-def: $vgpr0
                                        ; implicit-def: $vgpr4
	s_and_saveexec_b64 s[26:27], vcc
	s_cbranch_execz .LBB17_911
; %bb.904:                              ;   in Loop: Header=BB17_728 Depth=2
	scratch_load_dword v3, off, s33 offset:216 ; 4-byte Folded Reload
	v_lshlrev_b32_e32 v1, 6, v28
	v_sub_u32_e32 v0, v60, v2
	s_waitcnt vmcnt(0)
	v_sub_u32_e32 v1, v3, v1
	v_ashrrev_i32_e32 v3, 31, v1
	v_lshrrev_b32_e32 v3, 26, v3
	v_add_u32_e32 v3, v1, v3
	v_ashrrev_i32_e32 v5, 6, v3
	v_and_b32_e32 v3, 0xffffffc0, v3
	s_waitcnt lgkmcnt(0)
	v_sub_u32_e32 v6, v1, v3
	v_lshlrev_b32_e32 v1, 4, v6
	v_lshl_add_u32 v4, v5, 10, v1
	v_ashrrev_i32_e32 v1, 31, v0
	v_lshrrev_b32_e32 v1, 22, v1
	v_add_u32_e32 v1, v0, v1
	v_and_b32_e32 v7, 0xfffffc00, v1
	v_sub_u32_e32 v9, v0, v7
	v_ashrrev_i32_e32 v3, 10, v1
	v_cmp_lt_i32_e32 vcc, 15, v9
	v_sub_u32_e32 v10, v0, v4
	s_nop 0
	v_addc_co_u32_e64 v0, s[24:25], 0, v3, vcc
	v_sub_u32_e32 v8, v0, v5
	v_cmp_lt_i32_e64 s[24:25], 15, v10
	s_and_saveexec_b64 s[28:29], s[24:25]
	s_cbranch_execz .LBB17_908
; %bb.905:                              ;   in Loop: Header=BB17_728 Depth=2
	s_trap 2
	ds_read_b64 v[0:1], v0
	v_add_u32_e32 v4, v4, v2
	v_accvgpr_read_b32 v30, a48
	v_ashrrev_i32_e32 v5, 31, v4
	s_mov_b64 s[56:57], 0
	v_accvgpr_read_b32 v31, a49
.LBB17_906:                             ;   Parent Loop BB17_47 Depth=1
                                        ;     Parent Loop BB17_728 Depth=2
                                        ; =>    This Inner Loop Header: Depth=3
	s_waitcnt lgkmcnt(0)
	v_lshl_add_u64 v[20:21], v[0:1], 0, v[4:5]
	global_load_dwordx4 v[12:15], v[4:5], off nt
	global_load_dwordx4 v[16:19], v[20:21], off nt
	v_sub_u32_e32 v10, v10, v56
	v_cmp_gt_i32_e64 s[24:25], 16, v10
	v_lshl_add_u64 v[4:5], v[4:5], 0, v[30:31]
	v_sub_u32_e32 v8, v8, v32
	s_or_b64 s[56:57], s[24:25], s[56:57]
	s_waitcnt vmcnt(0)
	v_mul_f16_e32 v3, v16, v12
	v_mul_f16_sdwa v11, v16, v12 dst_sel:WORD_1 dst_unused:UNUSED_PAD src0_sel:WORD_1 src1_sel:WORD_1
	v_mul_f16_e32 v12, v17, v13
	v_mul_f16_sdwa v13, v17, v13 dst_sel:WORD_1 dst_unused:UNUSED_PAD src0_sel:WORD_1 src1_sel:WORD_1
	;; [unrolled: 2-line block ×4, first 2 shown]
	v_or_b32_e32 v13, v13, v12
	v_or_b32_e32 v12, v11, v3
	;; [unrolled: 1-line block ×4, first 2 shown]
	global_store_dwordx4 v[20:21], v[12:15], off nt
	s_andn2_b64 exec, exec, s[56:57]
	s_cbranch_execnz .LBB17_906
; %bb.907:                              ;   in Loop: Header=BB17_728 Depth=2
	s_or_b64 exec, exec, s[56:57]
	scratch_load_dwordx2 v[18:19], off, s33 offset:192 ; 8-byte Folded Reload
	v_accvgpr_read_b32 v16, a44
	v_accvgpr_read_b32 v20, a50
	;; [unrolled: 1-line block ×6, first 2 shown]
.LBB17_908:                             ;   in Loop: Header=BB17_728 Depth=2
	s_or_b64 exec, exec, s[28:29]
	v_and_b32_e32 v1, 14, v60
	v_cndmask_b32_e32 v60, v9, v1, vcc
	s_mov_b64 s[28:29], 0
	v_mov_b32_e32 v61, 0
	v_cmp_ne_u32_e64 s[24:25], 0, v60
                                        ; implicit-def: $vgpr0
                                        ; implicit-def: $vgpr4
	s_mov_b64 s[56:57], exec
	v_accvgpr_read_b32 v10, a52
	s_and_b64 s[24:25], s[56:57], s[24:25]
	v_accvgpr_read_b32 v11, a53
	s_mov_b64 exec, s[24:25]
	s_cbranch_execz .LBB17_910
; %bb.909:                              ;   in Loop: Header=BB17_728 Depth=2
	v_sub_u32_e32 v0, v9, v1
	v_cndmask_b32_e32 v0, 0, v0, vcc
	v_cmp_lt_i32_e32 vcc, 0, v8
	v_add3_u32 v61, v7, v2, v0
	s_mov_b64 s[28:29], exec
	v_cndmask_b32_e32 v0, 0, v32, vcc
	v_sub_u32_e32 v0, v0, v8
	v_lshl_add_u32 v0, v0, 6, v6
	v_ashrrev_i32_e32 v1, 31, v0
	v_lshrrev_b32_e32 v1, 26, v1
	v_add_u32_e32 v1, v0, v1
	v_ashrrev_i32_e32 v4, 6, v1
.LBB17_910:                             ;   in Loop: Header=BB17_728 Depth=2
	s_or_b64 exec, exec, s[56:57]
	s_and_b64 s[28:29], s[28:29], exec
.LBB17_911:                             ;   in Loop: Header=BB17_728 Depth=2
	s_or_b64 exec, exec, s[26:27]
	s_and_saveexec_b64 s[24:25], s[28:29]
	s_cbranch_execz .LBB17_920
.LBB17_912:                             ;   in Loop: Header=BB17_728 Depth=2
	v_ashrrev_i32_e32 v1, 31, v60
	v_lshrrev_b32_e32 v1, 21, v1
	v_add_u32_e32 v1, v60, v1
	v_ashrrev_i32_e32 v2, 11, v1
	v_sub_u32_e32 v1, v2, v4
	v_cmp_lt_i32_e32 vcc, 0, v1
	s_and_saveexec_b64 s[26:27], vcc
	s_cbranch_execz .LBB17_916
; %bb.913:                              ;   in Loop: Header=BB17_728 Depth=2
	v_accvgpr_write_b32 a3, v2
	v_ashrrev_i32_e32 v2, 31, v0
	v_lshrrev_b32_e32 v2, 26, v2
	v_add_u32_e32 v2, v0, v2
	v_and_b32_e32 v2, 0x7fffffc0, v2
	s_trap 2
	s_waitcnt lgkmcnt(0)
	ds_read_b64 v[6:7], v0
	v_sub_u32_e32 v2, v0, v2
	v_lshlrev_b32_e32 v2, 1, v2
	v_lshlrev_b32_e32 v3, 11, v4
	v_add3_u32 v2, v2, v61, v3
	v_accvgpr_write_b32 a4, v48
	v_ashrrev_i32_e32 v3, 31, v2
	v_mov_b32_e32 v31, v51
	v_accvgpr_write_b32 a5, v49
	v_mov_b64_e32 v[54:55], v[38:39]
	v_lshl_add_u64 v[8:9], v[2:3], 0, s[52:53]
	s_mov_b64 s[28:29], 0
.LBB17_914:                             ;   Parent Loop BB17_47 Depth=1
                                        ;     Parent Loop BB17_728 Depth=2
                                        ; =>    This Inner Loop Header: Depth=3
	s_waitcnt lgkmcnt(0)
	v_lshl_add_u64 v[10:11], v[6:7], 0, v[8:9]
	v_add_co_u32_e32 v2, vcc, 0xfffff880, v10
	s_nop 1
	v_addc_co_u32_e32 v3, vcc, -1, v11, vcc
	flat_load_ushort v14, v[2:3] nt
	v_add_co_u32_e32 v2, vcc, 0xfffff880, v8
	s_nop 1
	v_addc_co_u32_e32 v3, vcc, -1, v9, vcc
	flat_load_ushort v16, v[2:3] nt
	v_add_co_u32_e32 v2, vcc, 0xfffff900, v10
	s_waitcnt vmcnt(0) lgkmcnt(0)
	v_mul_f16_e32 v14, v14, v16
	v_addc_co_u32_e32 v3, vcc, -1, v11, vcc
	flat_load_ushort v15, v[2:3] nt
	v_add_co_u32_e32 v2, vcc, 0xfffff900, v8
	s_nop 1
	v_addc_co_u32_e32 v3, vcc, -1, v9, vcc
	flat_load_ushort v18, v[2:3] nt
	v_add_co_u32_e32 v2, vcc, 0xfffff980, v10
	s_nop 1
	;; [unrolled: 4-line block ×11, first 2 shown]
	v_addc_co_u32_e32 v3, vcc, -1, v9, vcc
	v_add_co_u32_e32 v12, vcc, s74, v10
	flat_load_ushort v28, v[2:3] nt
	s_nop 0
	v_addc_co_u32_e32 v13, vcc, -1, v11, vcc
	v_add_co_u32_e32 v2, vcc, s74, v8
	flat_load_ushort v27, v[12:13] nt
	s_nop 0
	v_addc_co_u32_e32 v3, vcc, -1, v9, vcc
	flat_load_ushort v29, v[2:3] nt
	v_add_co_u32_e32 v2, vcc, 0xfffffc80, v10
	s_nop 1
	v_addc_co_u32_e32 v3, vcc, -1, v11, vcc
	flat_load_ushort v32, v[2:3] nt
	v_add_co_u32_e32 v2, vcc, 0xfffffc80, v8
	;; [unrolled: 4-line block ×14, first 2 shown]
	s_nop 1
	v_addc_co_u32_e32 v3, vcc, -1, v9, vcc
	flat_load_ushort v4, v[2:3] nt
	flat_load_ushort v41, v[10:11] nt
	;; [unrolled: 1-line block ×3, first 2 shown]
	v_add_co_u32_e32 v2, vcc, s87, v10
	s_waitcnt vmcnt(0) lgkmcnt(0)
	v_mul_f16_e32 v4, v5, v4
	v_addc_co_u32_e32 v3, vcc, -1, v11, vcc
	flat_store_short v[2:3], v14 nt
	v_add_co_u32_e32 v2, vcc, s88, v10
	v_mul_f16_e32 v14, v15, v18
	s_nop 0
	v_addc_co_u32_e32 v3, vcc, -1, v11, vcc
	flat_store_short v[2:3], v14 nt
	v_add_co_u32_e32 v2, vcc, s89, v10
	v_mul_f16_e32 v14, v17, v20
	s_nop 0
	;; [unrolled: 5-line block ×6, first 2 shown]
	v_addc_co_u32_e32 v3, vcc, -1, v11, vcc
	flat_store_short v[2:3], v14 nt
	v_mul_f16_e32 v2, v27, v29
	flat_store_short v[12:13], v2 nt
	v_add_co_u32_e32 v2, vcc, s94, v10
	v_mul_f16_e32 v12, v32, v34
	s_nop 0
	v_addc_co_u32_e32 v3, vcc, -1, v11, vcc
	flat_store_short v[2:3], v12 nt
	v_add_co_u32_e32 v2, vcc, s95, v10
	v_mul_f16_e32 v12, v33, v36
	s_nop 0
	v_addc_co_u32_e32 v3, vcc, -1, v11, vcc
	;; [unrolled: 5-line block ×5, first 2 shown]
	flat_store_short v[2:3], v12 nt
	v_add_co_u32_e32 v2, vcc, 0xffffff00, v10
	v_accvgpr_read_b32 v33, a31
	v_mul_f16_e32 v12, v51, v49
	v_addc_co_u32_e32 v3, vcc, -1, v11, vcc
	v_accvgpr_read_b32 v32, a30
	flat_store_short v[2:3], v12 nt
	v_add_co_u32_e32 v2, vcc, 0xffffff80, v10
	v_accvgpr_read_b32 v16, a44
	s_nop 0
	v_addc_co_u32_e32 v3, vcc, -1, v11, vcc
	v_sub_u32_e32 v1, v1, v32
	v_accvgpr_read_b32 v17, a45
	v_cmp_gt_i32_e32 vcc, 1, v1
	flat_store_short v[2:3], v4 nt
	v_mul_f16_e32 v2, v41, v30
	v_lshl_add_u64 v[8:9], v[8:9], 0, v[16:17]
	s_or_b64 s[28:29], vcc, s[28:29]
	flat_store_short v[10:11], v2 nt
	s_andn2_b64 exec, exec, s[28:29]
	s_cbranch_execnz .LBB17_914
; %bb.915:                              ;   in Loop: Header=BB17_728 Depth=2
	s_or_b64 exec, exec, s[28:29]
	scratch_load_dword v25, off, s33 offset:208 ; 4-byte Folded Reload
	scratch_load_dwordx2 v[26:27], off, s33 offset:200 ; 8-byte Folded Reload
	scratch_load_dword v29, off, s33 offset:212 ; 4-byte Folded Reload
	scratch_load_dwordx2 v[18:19], off, s33 offset:192 ; 8-byte Folded Reload
	v_accvgpr_read_b32 v41, a9
	v_accvgpr_read_b32 v35, a23
	v_accvgpr_read_b32 v37, a25
	v_accvgpr_read_b32 v49, a5
	v_accvgpr_read_b32 v22, a42
	v_accvgpr_read_b32 v20, a50
	v_accvgpr_read_b32 v10, a52
	v_accvgpr_read_b32 v15, a13
	v_accvgpr_read_b32 v40, a8
	v_accvgpr_read_b32 v34, a22
	v_accvgpr_read_b32 v36, a24
	v_mov_b64_e32 v[38:39], v[54:55]
	v_accvgpr_read_b32 v48, a4
	v_mov_b32_e32 v51, v31
	v_accvgpr_read_b32 v23, a43
	v_accvgpr_read_b32 v21, a51
	;; [unrolled: 1-line block ×3, first 2 shown]
	v_mov_b32_e32 v24, 1
	v_accvgpr_read_b32 v14, a12
	v_accvgpr_read_b32 v2, a3
.LBB17_916:                             ;   in Loop: Header=BB17_728 Depth=2
	s_or_b64 exec, exec, s[26:27]
	v_lshlrev_b32_e32 v2, 11, v2
	v_cmp_ne_u32_e32 vcc, v60, v2
	s_and_b64 exec, exec, vcc
	s_cbranch_execz .LBB17_920
; %bb.917:                              ;   in Loop: Header=BB17_728 Depth=2
	v_ashrrev_i32_e32 v3, 31, v0
	v_lshrrev_b32_e32 v3, 26, v3
	v_add_u32_e32 v3, v0, v3
	v_and_b32_e32 v3, 0xffffffc0, v3
	v_sub_u32_e32 v0, v0, v3
	v_lshlrev_b32_e32 v1, 6, v1
	v_sub_u32_e32 v0, v0, v1
	v_ashrrev_i32_e32 v1, 31, v0
	v_lshrrev_b32_e32 v1, 26, v1
	v_add_u32_e32 v1, v0, v1
	v_and_b32_e32 v3, 0x7fffffc0, v1
	v_sub_u32_e32 v0, v0, v3
	v_lshlrev_b32_e32 v1, 1, v1
	v_and_b32_e32 v1, 0xffffff80, v1
	v_lshlrev_b32_e32 v0, 1, v0
	v_add3_u32 v4, v1, v0, v2
	v_sub_u32_e32 v2, v60, v4
	v_cmp_lt_i32_e32 vcc, 1, v2
	s_and_b64 exec, exec, vcc
	s_cbranch_execz .LBB17_920
; %bb.918:                              ;   in Loop: Header=BB17_728 Depth=2
	s_trap 2
	ds_read_b64 v[0:1], v0
	v_add_u32_e32 v4, v4, v61
	v_ashrrev_i32_e32 v5, 31, v4
	s_mov_b64 s[26:27], 0
.LBB17_919:                             ;   Parent Loop BB17_47 Depth=1
                                        ;     Parent Loop BB17_728 Depth=2
                                        ; =>    This Inner Loop Header: Depth=3
	s_waitcnt lgkmcnt(0)
	v_lshl_add_u64 v[6:7], v[0:1], 0, v[4:5]
	flat_load_ushort v3, v[4:5] nt
	flat_load_ushort v8, v[6:7] nt
	s_waitcnt vmcnt(0)
	v_sub_u32_e32 v2, v2, v25
	v_cmp_gt_i32_e32 vcc, 2, v2
	v_lshl_add_u64 v[4:5], v[4:5], 0, v[20:21]
	s_or_b64 s[26:27], vcc, s[26:27]
	s_waitcnt lgkmcnt(0)
	v_mul_f16_e32 v3, v8, v3
	flat_store_short v[6:7], v3 nt
	s_andn2_b64 exec, exec, s[26:27]
	s_cbranch_execnz .LBB17_919
.LBB17_920:                             ;   in Loop: Header=BB17_728 Depth=2
	s_or_b64 exec, exec, s[24:25]
.LBB17_921:                             ;   in Loop: Header=BB17_728 Depth=2
	v_cmp_lt_i32_e64 s[24:25], 0, v43
	s_and_saveexec_b64 s[26:27], s[6:7]
	s_cbranch_execz .LBB17_862
.LBB17_922:                             ;   in Loop: Header=BB17_728 Depth=2
	s_and_saveexec_b64 s[28:29], s[40:41]
	s_xor_b64 s[28:29], exec, s[28:29]
	s_cbranch_execz .LBB17_949
; %bb.923:                              ;   in Loop: Header=BB17_728 Depth=2
	s_and_saveexec_b64 s[56:57], s[14:15]
	s_cbranch_execz .LBB17_948
; %bb.924:                              ;   in Loop: Header=BB17_728 Depth=2
	s_mov_b64 s[60:61], exec
	v_mbcnt_lo_u32_b32 v0, s60, 0
	v_mbcnt_hi_u32_b32 v0, s61, v0
	v_cmp_eq_u32_e32 vcc, 0, v0
	s_waitcnt lgkmcnt(0)
	s_and_saveexec_b64 s[58:59], vcc
	s_cbranch_execz .LBB17_926
; %bb.925:                              ;   in Loop: Header=BB17_728 Depth=2
	s_bcnt1_i32_b64 vcc_lo, s[60:61]
	v_mov_b32_e32 v50, vcc_lo
	ds_add_u64 v0, v[50:51]
	s_trap 2
.LBB17_926:                             ;   in Loop: Header=BB17_728 Depth=2
	s_or_b64 exec, exec, s[58:59]
	s_trap 2
	ds_read_b64 v[0:1], v0
	v_lshl_add_u64 v[48:49], v[48:49], 0, v[32:33]
	s_waitcnt lgkmcnt(0)
	v_cmp_lt_u64_e32 vcc, v[0:1], v[48:49]
	s_and_saveexec_b64 s[58:59], vcc
	s_cbranch_execz .LBB17_947
; %bb.927:                              ;   in Loop: Header=BB17_728 Depth=2
	s_mov_b32 s71, 0
	s_mov_b64 s[60:61], 0
                                        ; implicit-def: $sgpr62_sgpr63
                                        ; implicit-def: $sgpr64_sgpr65
	s_branch .LBB17_929
.LBB17_928:                             ;   in Loop: Header=BB17_929 Depth=3
	s_or_b64 exec, exec, s[68:69]
	s_and_b64 vcc, exec, vcc
	s_or_b64 s[60:61], vcc, s[60:61]
	s_andn2_b64 vcc, s[62:63], exec
	s_and_b64 s[62:63], s[64:65], exec
	s_or_b64 s[62:63], vcc, s[62:63]
	s_andn2_b64 exec, exec, s[60:61]
	s_cbranch_execz .LBB17_945
.LBB17_929:                             ;   Parent Loop BB17_47 Depth=1
                                        ;     Parent Loop BB17_728 Depth=2
                                        ; =>    This Inner Loop Header: Depth=3
	s_add_i32 s71, s71, 1
	s_cmpk_lg_i32 s71, 0x2710
	s_cselect_b64 s[66:67], -1, 0
	s_and_b64 vcc, exec, s[66:67]
                                        ; implicit-def: $sgpr68_sgpr69
	s_cbranch_vccnz .LBB17_931
; %bb.930:                              ;   in Loop: Header=BB17_929 Depth=3
	s_trap 2
	ds_read_b64 v[0:1], v0
	s_andn2_b64 s[66:67], s[66:67], exec
	s_mov_b32 s71, 0
	s_mov_b64 s[68:69], -1
	s_waitcnt vmcnt(0) lgkmcnt(0)
	flat_load_dword v0, v[0:1] sc0 sc1
	s_waitcnt vmcnt(0) lgkmcnt(0)
	buffer_inv sc0 sc1
	v_cmp_eq_u32_e32 vcc, 0, v0
	s_and_b64 vcc, vcc, exec
	s_or_b64 s[66:67], s[66:67], vcc
.LBB17_931:                             ;   in Loop: Header=BB17_929 Depth=3
	s_andn2_b64 s[64:65], s[64:65], exec
	s_and_b64 s[68:69], s[68:69], exec
	s_mov_b64 vcc, -1
	s_or_b64 s[64:65], s[64:65], s[68:69]
	s_and_saveexec_b64 s[68:69], s[66:67]
	s_cbranch_execz .LBB17_928
; %bb.932:                              ;   in Loop: Header=BB17_929 Depth=3
	s_sleep 1
	s_trap 2
	ds_read_b64 v[0:1], v0
	s_andn2_b64 s[64:65], s[64:65], exec
	s_waitcnt lgkmcnt(0)
	v_cmp_ge_u64_e32 vcc, v[0:1], v[48:49]
	s_orn2_b64 vcc, vcc, exec
	s_branch .LBB17_928
.LBB17_933:                             ;   in Loop: Header=BB17_728 Depth=2
	s_or_b64 exec, exec, s[56:57]
	s_and_saveexec_b64 vcc, s[58:59]
	s_xor_b64 vcc, exec, vcc
	s_cbranch_execz .LBB17_935
; %bb.934:                              ;   in Loop: Header=BB17_728 Depth=2
	ds_write_b32 v0, v24
	s_trap 2
.LBB17_935:                             ;   in Loop: Header=BB17_728 Depth=2
	s_or_b64 exec, exec, s[54:55]
	;;#ASMSTART
	s_wakeup
	;;#ASMEND
.LBB17_936:                             ;   in Loop: Header=BB17_728 Depth=2
	s_or_b64 exec, exec, s[30:31]
.LBB17_937:                             ;   in Loop: Header=BB17_728 Depth=2
	s_andn2_saveexec_b64 s[28:29], s[28:29]
	s_cbranch_execz .LBB17_939
; %bb.938:                              ;   in Loop: Header=BB17_728 Depth=2
	;;#ASMSTART
	s_waitcnt lgkmcnt(0) vmcnt(0)
	;;#ASMEND
	s_barrier
.LBB17_939:                             ;   in Loop: Header=BB17_728 Depth=2
	s_or_b64 exec, exec, s[28:29]
	v_and_b32_e32 v1, 16, v57
.LBB17_940:                             ;   in Loop: Header=BB17_728 Depth=2
	s_or_b64 exec, exec, s[24:25]
	v_cmp_ne_u32_e32 vcc, 0, v1
	s_xor_b64 s[24:25], s[10:11], -1
	s_and_b64 s[28:29], vcc, s[24:25]
	s_and_saveexec_b64 s[24:25], s[28:29]
	s_cbranch_execz .LBB17_942
; %bb.941:                              ;   in Loop: Header=BB17_728 Depth=2
	flat_store_dword v[36:37], v24 sc0 sc1
.LBB17_942:                             ;   in Loop: Header=BB17_728 Depth=2
	s_or_b64 exec, exec, s[24:25]
	v_and_b32_e32 v0, 48, v57
	v_cmp_ne_u32_e32 vcc, 0, v0
	s_and_saveexec_b64 s[24:25], vcc
	s_cbranch_execz .LBB17_944
; %bb.943:                              ;   in Loop: Header=BB17_728 Depth=2
	v_accvgpr_read_b32 v0, a10
	v_accvgpr_read_b32 v1, a11
	v_lshl_add_u64 v[0:1], v[0:1], 0, 4
	v_accvgpr_write_b32 a11, v1
	v_accvgpr_write_b32 a10, v0
	flat_store_dwordx2 v[46:47], v[0:1] sc0 sc1
.LBB17_944:                             ;   in Loop: Header=BB17_728 Depth=2
	s_or_b64 exec, exec, s[24:25]
	s_or_b64 exec, exec, s[26:27]
	s_add_i32 s24, s70, 1
	s_cmp_eq_u32 s70, s83
	s_cbranch_scc0 .LBB17_977
	s_branch .LBB17_978
.LBB17_945:                             ;   in Loop: Header=BB17_728 Depth=2
	s_or_b64 exec, exec, s[60:61]
	s_and_saveexec_b64 vcc, s[62:63]
	s_xor_b64 vcc, exec, vcc
	s_cbranch_execz .LBB17_947
; %bb.946:                              ;   in Loop: Header=BB17_728 Depth=2
	ds_write_b32 v0, v24
	s_trap 2
.LBB17_947:                             ;   in Loop: Header=BB17_728 Depth=2
	s_or_b64 exec, exec, s[58:59]
	;;#ASMSTART
	s_wakeup
	;;#ASMEND
.LBB17_948:                             ;   in Loop: Header=BB17_728 Depth=2
	s_or_b64 exec, exec, s[56:57]
.LBB17_949:                             ;   in Loop: Header=BB17_728 Depth=2
	s_andn2_saveexec_b64 s[28:29], s[28:29]
	s_cbranch_execz .LBB17_951
; %bb.950:                              ;   in Loop: Header=BB17_728 Depth=2
	s_waitcnt lgkmcnt(0)
	s_barrier
.LBB17_951:                             ;   in Loop: Header=BB17_728 Depth=2
	s_or_b64 exec, exec, s[28:29]
	s_or_b64 exec, exec, s[26:27]
                                        ; implicit-def: $vgpr0
	s_and_saveexec_b64 s[26:27], s[22:23]
	s_xor_b64 s[26:27], exec, s[26:27]
	s_cbranch_execnz .LBB17_863
.LBB17_952:                             ;   in Loop: Header=BB17_728 Depth=2
	s_andn2_saveexec_b64 s[24:25], s[26:27]
	s_cbranch_execz .LBB17_971
.LBB17_953:                             ;   in Loop: Header=BB17_728 Depth=2
	s_and_saveexec_b64 s[26:27], s[40:41]
	s_xor_b64 s[26:27], exec, s[26:27]
	s_cbranch_execz .LBB17_968
; %bb.954:                              ;   in Loop: Header=BB17_728 Depth=2
	s_and_saveexec_b64 s[28:29], s[14:15]
	s_cbranch_execz .LBB17_967
; %bb.955:                              ;   in Loop: Header=BB17_728 Depth=2
	s_mov_b64 s[58:59], exec
	v_mbcnt_lo_u32_b32 v0, s58, 0
	v_mbcnt_hi_u32_b32 v0, s59, v0
	v_cmp_eq_u32_e32 vcc, 0, v0
	;;#ASMSTART
	s_waitcnt lgkmcnt(0) vmcnt(0)
	;;#ASMEND
	s_and_saveexec_b64 s[56:57], vcc
	s_cbranch_execz .LBB17_957
; %bb.956:                              ;   in Loop: Header=BB17_728 Depth=2
	s_bcnt1_i32_b64 vcc_lo, s[58:59]
	v_mov_b32_e32 v50, vcc_lo
	ds_add_u64 v0, v[50:51]
	s_trap 2
.LBB17_957:                             ;   in Loop: Header=BB17_728 Depth=2
	s_or_b64 exec, exec, s[56:57]
	s_trap 2
	ds_read_b64 v[0:1], v0
	v_lshl_add_u64 v[48:49], v[48:49], 0, v[32:33]
	s_waitcnt lgkmcnt(0)
	v_cmp_lt_u64_e32 vcc, v[0:1], v[48:49]
	s_and_saveexec_b64 s[56:57], vcc
	s_cbranch_execz .LBB17_966
; %bb.958:                              ;   in Loop: Header=BB17_728 Depth=2
	s_mov_b32 s68, 0
	s_mov_b64 s[58:59], 0
                                        ; implicit-def: $sgpr60_sgpr61
                                        ; implicit-def: $sgpr62_sgpr63
	s_branch .LBB17_960
.LBB17_959:                             ;   in Loop: Header=BB17_960 Depth=3
	s_or_b64 exec, exec, s[66:67]
	s_and_b64 vcc, exec, vcc
	s_or_b64 s[58:59], vcc, s[58:59]
	s_andn2_b64 vcc, s[60:61], exec
	s_and_b64 s[60:61], s[62:63], exec
	s_or_b64 s[60:61], vcc, s[60:61]
	s_andn2_b64 exec, exec, s[58:59]
	s_cbranch_execz .LBB17_964
.LBB17_960:                             ;   Parent Loop BB17_47 Depth=1
                                        ;     Parent Loop BB17_728 Depth=2
                                        ; =>    This Inner Loop Header: Depth=3
	s_add_i32 s68, s68, 1
	s_cmpk_lg_i32 s68, 0x2710
	s_cselect_b64 s[64:65], -1, 0
	s_and_b64 vcc, exec, s[64:65]
                                        ; implicit-def: $sgpr66_sgpr67
	s_cbranch_vccnz .LBB17_962
; %bb.961:                              ;   in Loop: Header=BB17_960 Depth=3
	s_trap 2
	ds_read_b64 v[0:1], v0
	s_andn2_b64 s[64:65], s[64:65], exec
	s_mov_b32 s68, 0
	s_mov_b64 s[66:67], -1
	s_waitcnt vmcnt(0) lgkmcnt(0)
	flat_load_dword v0, v[0:1] sc0 sc1
	s_waitcnt vmcnt(0) lgkmcnt(0)
	buffer_inv sc0 sc1
	v_cmp_eq_u32_e32 vcc, 0, v0
	s_and_b64 vcc, vcc, exec
	s_or_b64 s[64:65], s[64:65], vcc
.LBB17_962:                             ;   in Loop: Header=BB17_960 Depth=3
	s_andn2_b64 s[62:63], s[62:63], exec
	s_and_b64 s[66:67], s[66:67], exec
	s_mov_b64 vcc, -1
	s_or_b64 s[62:63], s[62:63], s[66:67]
	s_and_saveexec_b64 s[66:67], s[64:65]
	s_cbranch_execz .LBB17_959
; %bb.963:                              ;   in Loop: Header=BB17_960 Depth=3
	s_sleep 1
	s_trap 2
	ds_read_b64 v[0:1], v0
	s_andn2_b64 s[62:63], s[62:63], exec
	s_waitcnt lgkmcnt(0)
	v_cmp_ge_u64_e32 vcc, v[0:1], v[48:49]
	s_orn2_b64 vcc, vcc, exec
	s_branch .LBB17_959
.LBB17_964:                             ;   in Loop: Header=BB17_728 Depth=2
	s_or_b64 exec, exec, s[58:59]
	s_and_saveexec_b64 vcc, s[60:61]
	s_xor_b64 vcc, exec, vcc
	s_cbranch_execz .LBB17_966
; %bb.965:                              ;   in Loop: Header=BB17_728 Depth=2
	ds_write_b32 v0, v24
	s_trap 2
.LBB17_966:                             ;   in Loop: Header=BB17_728 Depth=2
	s_or_b64 exec, exec, s[56:57]
	;;#ASMSTART
	s_wakeup
	;;#ASMEND
.LBB17_967:                             ;   in Loop: Header=BB17_728 Depth=2
	s_or_b64 exec, exec, s[28:29]
.LBB17_968:                             ;   in Loop: Header=BB17_728 Depth=2
	s_andn2_saveexec_b64 s[26:27], s[26:27]
	s_cbranch_execz .LBB17_970
; %bb.969:                              ;   in Loop: Header=BB17_728 Depth=2
	;;#ASMSTART
	s_waitcnt lgkmcnt(0) vmcnt(0)
	;;#ASMEND
	s_barrier
.LBB17_970:                             ;   in Loop: Header=BB17_728 Depth=2
	s_or_b64 exec, exec, s[26:27]
	v_and_b32_e32 v0, 16, v57
.LBB17_971:                             ;   in Loop: Header=BB17_728 Depth=2
	s_or_b64 exec, exec, s[24:25]
	v_cmp_ne_u32_e32 vcc, 0, v0
	s_xor_b64 s[24:25], s[10:11], -1
	s_and_b64 s[26:27], vcc, s[24:25]
	s_and_saveexec_b64 s[24:25], s[26:27]
	s_cbranch_execz .LBB17_973
; %bb.972:                              ;   in Loop: Header=BB17_728 Depth=2
	flat_store_dword v[36:37], v24 sc0 sc1
.LBB17_973:                             ;   in Loop: Header=BB17_728 Depth=2
	s_or_b64 exec, exec, s[24:25]
	v_and_b32_e32 v0, 48, v57
	v_cmp_ne_u32_e32 vcc, 0, v0
	s_and_saveexec_b64 s[24:25], vcc
	s_cbranch_execz .LBB17_975
; %bb.974:                              ;   in Loop: Header=BB17_728 Depth=2
	v_accvgpr_read_b32 v0, a10
	v_accvgpr_read_b32 v1, a11
	v_lshl_add_u64 v[0:1], v[0:1], 0, 4
	v_accvgpr_write_b32 a11, v1
	v_accvgpr_write_b32 a10, v0
	flat_store_dwordx2 v[46:47], v[0:1] sc0 sc1
.LBB17_975:                             ;   in Loop: Header=BB17_728 Depth=2
	s_or_b64 exec, exec, s[24:25]
	v_mov_b32_e32 v4, v42
	s_or_b64 exec, exec, s[54:55]
	s_and_saveexec_b64 s[26:27], s[30:31]
	s_cbranch_execnz .LBB17_735
.LBB17_976:                             ;   in Loop: Header=BB17_728 Depth=2
	s_or_b64 exec, exec, s[26:27]
	s_add_i32 s24, s70, 1
	s_cmp_eq_u32 s70, s83
	s_cbranch_scc1 .LBB17_978
.LBB17_977:                             ;   in Loop: Header=BB17_728 Depth=2
	s_mov_b32 s70, s24
	s_branch .LBB17_728
.LBB17_978:                             ;   in Loop: Header=BB17_47 Depth=1
	v_accvgpr_read_b32 v4, a60
	v_accvgpr_read_b32 v5, a61
	v_mul_lo_u32 v2, v5, s81
	v_mul_lo_u32 v3, v4, s82
	v_mad_u64_u32 v[0:1], s[24:25], v4, s81, 0
	v_add3_u32 v1, v1, v3, v2
	v_sub_co_u32_e32 v2, vcc, v14, v0
	s_waitcnt lgkmcnt(0)
	v_mov_b32_e32 v6, 0
	v_subb_co_u32_e32 v3, vcc, v15, v1, vcc
	v_cmp_lt_i64_e32 vcc, v[4:5], v[2:3]
	s_nop 1
	v_cndmask_b32_e32 v2, v2, v4, vcc
	v_max_i32_e32 v60, 0, v2
	v_add_u32_e32 v3, 15, v60
	v_ashrrev_i32_e32 v4, 31, v3
	v_lshrrev_b32_e32 v4, 28, v4
	v_add_u32_e32 v3, v3, v4
	v_cmp_gt_i32_e32 vcc, 1, v2
	v_and_b32_e32 v3, -16, v3
	s_or_b64 s[26:27], s[2:3], vcc
	v_max_i32_e32 v61, s80, v3
	s_xor_b64 s[24:25], s[26:27], -1
	s_and_saveexec_b64 s[28:29], s[24:25]
	s_cbranch_execz .LBB17_1115
; %bb.979:                              ;   in Loop: Header=BB17_47 Depth=1
	s_and_saveexec_b64 s[24:25], s[0:1]
	s_cbranch_execz .LBB17_981
; %bb.980:                              ;   in Loop: Header=BB17_47 Depth=1
	s_trap 2
	ds_read_b128 v[4:7], v0
	v_accvgpr_read_b32 v3, a1
	v_accvgpr_read_b32 v2, a0
	v_lshl_add_u64 v[0:1], v[0:1], 0, v[2:3]
	v_lshlrev_b64 v[0:1], 1, v[0:1]
	s_waitcnt lgkmcnt(0)
	v_lshl_add_u64 v[2:3], v[4:5], 0, v[0:1]
	v_lshl_add_u64 v[0:1], v[6:7], 0, v[0:1]
	v_cmp_ne_u64_e32 vcc, 0, v[6:7]
	ds_write_b64 v0, v[2:3]
	s_nop 0
	v_cndmask_b32_e32 v1, 0, v1, vcc
	v_cndmask_b32_e32 v0, 0, v0, vcc
	ds_write_b64 v0, v[0:1]
.LBB17_981:                             ;   in Loop: Header=BB17_47 Depth=1
	s_or_b64 exec, exec, s[24:25]
	v_and_b32_e32 v0, 4, v57
	v_cmp_ne_u32_e32 vcc, 0, v0
	s_mov_b64 s[30:31], -1
	s_and_saveexec_b64 s[24:25], vcc
	s_cbranch_execz .LBB17_991
; %bb.982:                              ;   in Loop: Header=BB17_47 Depth=1
	v_accvgpr_read_b32 v0, a10
	v_accvgpr_read_b32 v1, a11
	v_lshl_add_u64 v[0:1], v[0:1], 0, 4
	v_cmp_lt_u64_e32 vcc, v[38:39], v[0:1]
	v_mov_b32_e32 v2, 1
	s_and_saveexec_b64 s[30:31], vcc
	s_cbranch_execz .LBB17_1002
; %bb.983:                              ;   in Loop: Header=BB17_47 Depth=1
	s_mov_b64 s[54:55], 0
	v_mov_b32_e32 v2, 0
                                        ; implicit-def: $sgpr56_sgpr57
	s_branch .LBB17_987
.LBB17_984:                             ;   in Loop: Header=BB17_987 Depth=2
	s_or_b64 exec, exec, s[64:65]
	v_mov_b32_e32 v4, 0
	s_orn2_b64 s[62:63], s[62:63], exec
.LBB17_985:                             ;   in Loop: Header=BB17_987 Depth=2
	s_or_b64 exec, exec, s[60:61]
	s_andn2_b64 vcc, s[56:57], exec
	s_and_b64 s[56:57], s[62:63], exec
	s_or_b64 s[56:57], vcc, s[56:57]
	v_mov_b32_e32 v2, v4
.LBB17_986:                             ;   in Loop: Header=BB17_987 Depth=2
	s_or_b64 exec, exec, s[58:59]
	s_waitcnt vmcnt(0) lgkmcnt(0)
	v_cmp_ge_u64_e32 vcc, v[38:39], v[0:1]
	s_xor_b64 s[58:59], s[56:57], -1
	s_or_b64 vcc, s[58:59], vcc
	s_and_b64 vcc, exec, vcc
	s_or_b64 s[54:55], vcc, s[54:55]
	s_andn2_b64 exec, exec, s[54:55]
	s_cbranch_execz .LBB17_1001
.LBB17_987:                             ;   Parent Loop BB17_47 Depth=1
                                        ; =>  This Inner Loop Header: Depth=2
	s_sleep 1
	flat_load_dwordx2 v[38:39], v[46:47] sc0 sc1
	v_and_b32_e32 v3, 64, v57
	v_cmp_eq_u32_e32 vcc, 0, v3
	s_andn2_b64 s[56:57], s[56:57], exec
	s_and_saveexec_b64 s[58:59], vcc
	s_cbranch_execz .LBB17_986
; %bb.988:                              ;   in Loop: Header=BB17_987 Depth=2
	v_add_u32_e32 v4, 1, v2
	v_cmp_lt_i32_e32 vcc, s84, v2
	s_mov_b64 s[62:63], -1
	s_and_saveexec_b64 s[60:61], vcc
	s_cbranch_execz .LBB17_985
; %bb.989:                              ;   in Loop: Header=BB17_987 Depth=2
	s_trap 2
	ds_read_b64 v[2:3], v0
	s_waitcnt vmcnt(0) lgkmcnt(0)
	flat_load_dword v2, v[2:3] sc0 sc1
	s_waitcnt vmcnt(0) lgkmcnt(0)
	buffer_inv sc0 sc1
	v_cmp_ne_u32_e32 vcc, 0, v2
	s_and_saveexec_b64 s[64:65], vcc
	s_cbranch_execz .LBB17_984
; %bb.990:                              ;   in Loop: Header=BB17_987 Depth=2
	v_or_b32_e32 v57, 64, v57
	s_xor_b64 s[62:63], exec, -1
	ds_write_b32 v0, v2
	s_trap 2
	s_branch .LBB17_984
.LBB17_991:                             ;   in Loop: Header=BB17_47 Depth=1
	s_or_b64 exec, exec, s[24:25]
	s_xor_b64 s[24:25], s[30:31], -1
	s_and_saveexec_b64 s[30:31], s[24:25]
	s_cbranch_execz .LBB17_1003
.LBB17_992:                             ;   in Loop: Header=BB17_47 Depth=1
	v_and_b32_e32 v0, 0x100, v57
	v_cmp_ne_u32_e32 vcc, 0, v0
	v_accvgpr_read_b32 v0, a10
	v_accvgpr_read_b32 v1, a11
	v_and_b32_e32 v2, 7, v0
	s_mov_b64 s[24:25], -1
                                        ; implicit-def: $vgpr0_vgpr1
	s_and_saveexec_b64 s[54:55], vcc
	s_cbranch_execz .LBB17_996
; %bb.993:                              ;   in Loop: Header=BB17_47 Depth=1
	v_accvgpr_read_b32 v0, a32
	v_accvgpr_read_b32 v1, a33
	v_mad_u64_u32 v[4:5], s[24:25], v2, 24, v[0:1]
	flat_load_dword v0, v[4:5]
	s_waitcnt vmcnt(0) lgkmcnt(0)
	v_cmp_ne_u32_e32 vcc, 1, v0
	v_cmp_eq_u32_e64 s[24:25], 1, v0
                                        ; implicit-def: $vgpr0_vgpr1
	s_and_saveexec_b64 s[56:57], s[24:25]
	s_cbranch_execz .LBB17_995
; %bb.994:                              ;   in Loop: Header=BB17_47 Depth=1
	flat_load_dword v0, v[4:5] offset:4 sc0 sc1
	s_waitcnt vmcnt(0) lgkmcnt(0)
	v_ashrrev_i32_e32 v1, 31, v0
	v_lshrrev_b64 v[0:1], 1, v[0:1]
.LBB17_995:                             ;   in Loop: Header=BB17_47 Depth=1
	s_or_b64 exec, exec, s[56:57]
	s_orn2_b64 s[24:25], vcc, exec
.LBB17_996:                             ;   in Loop: Header=BB17_47 Depth=1
	s_or_b64 exec, exec, s[54:55]
	s_and_saveexec_b64 vcc, s[24:25]
; %bb.997:                              ;   in Loop: Header=BB17_47 Depth=1
	v_accvgpr_read_b32 v0, a20
	v_mad_i64_i32 v[0:1], s[24:25], v2, v0, 0
; %bb.998:                              ;   in Loop: Header=BB17_47 Depth=1
	s_or_b64 exec, exec, vcc
	v_lshl_add_u64 v[0:1], v[0:1], 1, v[34:35]
	ds_write_b64 v0, v[0:1] offset:720
	v_and_b32_e32 v0, 0x2000, v57
	v_cmp_ne_u32_e32 vcc, 0, v0
	s_and_saveexec_b64 s[24:25], vcc
	s_cbranch_execz .LBB17_1000
; %bb.999:                              ;   in Loop: Header=BB17_47 Depth=1
	ds_read_b64 v[0:1], v0 offset:584
	s_waitcnt lgkmcnt(0)
	v_lshl_add_u64 v[0:1], v[0:1], 0, 1
	ds_write_b64 v0, v[0:1] offset:584
.LBB17_1000:                            ;   in Loop: Header=BB17_47 Depth=1
	s_or_b64 exec, exec, s[24:25]
	v_accvgpr_read_b32 v0, a10
	v_accvgpr_read_b32 v1, a11
	v_lshl_add_u64 v[0:1], v[0:1], 0, 4
	v_accvgpr_write_b32 a11, v1
	v_accvgpr_write_b32 a10, v0
	s_or_b64 exec, exec, s[30:31]
	s_and_saveexec_b64 s[24:25], s[6:7]
	s_cbranch_execz .LBB17_1022
	s_branch .LBB17_1004
.LBB17_1001:                            ;   in Loop: Header=BB17_47 Depth=1
	s_or_b64 exec, exec, s[54:55]
	v_and_b32_e32 v2, 4, v57
.LBB17_1002:                            ;   in Loop: Header=BB17_47 Depth=1
	s_or_b64 exec, exec, s[30:31]
	v_cmp_eq_u32_e32 vcc, 0, v2
	s_orn2_b64 s[30:31], vcc, exec
	;;#ASMSTART
	s_wakeup
	;;#ASMEND
	s_or_b64 exec, exec, s[24:25]
	s_xor_b64 s[24:25], s[30:31], -1
	s_and_saveexec_b64 s[30:31], s[24:25]
	s_cbranch_execnz .LBB17_992
.LBB17_1003:                            ;   in Loop: Header=BB17_47 Depth=1
	s_or_b64 exec, exec, s[30:31]
	s_and_saveexec_b64 s[24:25], s[6:7]
	s_cbranch_execz .LBB17_1022
.LBB17_1004:                            ;   in Loop: Header=BB17_47 Depth=1
	s_and_saveexec_b64 vcc, s[40:41]
	s_xor_b64 s[30:31], exec, vcc
	s_cbranch_execz .LBB17_1019
; %bb.1005:                             ;   in Loop: Header=BB17_47 Depth=1
	s_and_saveexec_b64 s[54:55], s[14:15]
	s_cbranch_execz .LBB17_1018
; %bb.1006:                             ;   in Loop: Header=BB17_47 Depth=1
	s_mov_b64 s[58:59], exec
	v_mbcnt_lo_u32_b32 v0, s58, 0
	v_mbcnt_hi_u32_b32 v0, s59, v0
	v_cmp_eq_u32_e32 vcc, 0, v0
	s_waitcnt lgkmcnt(0)
	s_and_saveexec_b64 s[56:57], vcc
	s_cbranch_execz .LBB17_1008
; %bb.1007:                             ;   in Loop: Header=BB17_47 Depth=1
	s_bcnt1_i32_b64 vcc_lo, s[58:59]
	v_mov_b32_e32 v50, vcc_lo
	ds_add_u64 v0, v[50:51]
	s_trap 2
.LBB17_1008:                            ;   in Loop: Header=BB17_47 Depth=1
	s_or_b64 exec, exec, s[56:57]
	s_trap 2
	ds_read_b64 v[0:1], v0
	v_lshl_add_u64 v[48:49], v[48:49], 0, v[32:33]
	s_waitcnt lgkmcnt(0)
	v_cmp_lt_u64_e32 vcc, v[0:1], v[48:49]
	s_and_saveexec_b64 s[56:57], vcc
	s_cbranch_execz .LBB17_1017
; %bb.1009:                             ;   in Loop: Header=BB17_47 Depth=1
	s_mov_b32 s68, 0
	s_mov_b64 s[58:59], 0
                                        ; implicit-def: $sgpr60_sgpr61
                                        ; implicit-def: $sgpr62_sgpr63
	s_branch .LBB17_1011
.LBB17_1010:                            ;   in Loop: Header=BB17_1011 Depth=2
	s_or_b64 exec, exec, s[66:67]
	s_and_b64 vcc, exec, vcc
	s_or_b64 s[58:59], vcc, s[58:59]
	s_andn2_b64 vcc, s[60:61], exec
	s_and_b64 s[60:61], s[62:63], exec
	s_or_b64 s[60:61], vcc, s[60:61]
	s_andn2_b64 exec, exec, s[58:59]
	s_cbranch_execz .LBB17_1015
.LBB17_1011:                            ;   Parent Loop BB17_47 Depth=1
                                        ; =>  This Inner Loop Header: Depth=2
	s_add_i32 s68, s68, 1
	s_cmpk_lg_i32 s68, 0x2710
	s_cselect_b64 s[64:65], -1, 0
	s_and_b64 vcc, exec, s[64:65]
                                        ; implicit-def: $sgpr66_sgpr67
	s_cbranch_vccnz .LBB17_1013
; %bb.1012:                             ;   in Loop: Header=BB17_1011 Depth=2
	s_trap 2
	ds_read_b64 v[0:1], v0
	s_andn2_b64 s[64:65], s[64:65], exec
	s_mov_b32 s68, 0
	s_mov_b64 s[66:67], -1
	s_waitcnt vmcnt(0) lgkmcnt(0)
	flat_load_dword v0, v[0:1] sc0 sc1
	s_waitcnt vmcnt(0) lgkmcnt(0)
	buffer_inv sc0 sc1
	v_cmp_eq_u32_e32 vcc, 0, v0
	s_and_b64 vcc, vcc, exec
	s_or_b64 s[64:65], s[64:65], vcc
.LBB17_1013:                            ;   in Loop: Header=BB17_1011 Depth=2
	s_andn2_b64 s[62:63], s[62:63], exec
	s_and_b64 s[66:67], s[66:67], exec
	s_mov_b64 vcc, -1
	s_or_b64 s[62:63], s[62:63], s[66:67]
	s_and_saveexec_b64 s[66:67], s[64:65]
	s_cbranch_execz .LBB17_1010
; %bb.1014:                             ;   in Loop: Header=BB17_1011 Depth=2
	s_sleep 1
	s_trap 2
	ds_read_b64 v[0:1], v0
	s_andn2_b64 s[62:63], s[62:63], exec
	s_waitcnt lgkmcnt(0)
	v_cmp_ge_u64_e32 vcc, v[0:1], v[48:49]
	s_orn2_b64 vcc, vcc, exec
	s_branch .LBB17_1010
.LBB17_1015:                            ;   in Loop: Header=BB17_47 Depth=1
	s_or_b64 exec, exec, s[58:59]
	s_and_saveexec_b64 vcc, s[60:61]
	s_xor_b64 vcc, exec, vcc
	s_cbranch_execz .LBB17_1017
; %bb.1016:                             ;   in Loop: Header=BB17_47 Depth=1
	ds_write_b32 v0, v24
	s_trap 2
.LBB17_1017:                            ;   in Loop: Header=BB17_47 Depth=1
	s_or_b64 exec, exec, s[56:57]
	;;#ASMSTART
	s_wakeup
	;;#ASMEND
.LBB17_1018:                            ;   in Loop: Header=BB17_47 Depth=1
	s_or_b64 exec, exec, s[54:55]
.LBB17_1019:                            ;   in Loop: Header=BB17_47 Depth=1
	s_andn2_saveexec_b64 vcc, s[30:31]
	s_cbranch_execz .LBB17_1021
; %bb.1020:                             ;   in Loop: Header=BB17_47 Depth=1
	s_waitcnt lgkmcnt(0)
	s_barrier
.LBB17_1021:                            ;   in Loop: Header=BB17_47 Depth=1
	s_or_b64 exec, exec, vcc
.LBB17_1022:                            ;   in Loop: Header=BB17_47 Depth=1
	s_or_b64 exec, exec, s[24:25]
	s_trap 2
	ds_read_b32 v0, v0
	v_and_b32_e32 v1, 0x4000, v57
	v_cmp_ne_u32_e32 vcc, 0, v1
	s_xor_b64 s[24:25], s[4:5], -1
	s_and_b64 vcc, s[24:25], vcc
	s_and_saveexec_b64 s[24:25], vcc
	s_cbranch_execz .LBB17_1041
; %bb.1023:                             ;   in Loop: Header=BB17_47 Depth=1
	s_and_saveexec_b64 vcc, s[40:41]
	s_xor_b64 s[30:31], exec, vcc
	s_cbranch_execz .LBB17_1038
; %bb.1024:                             ;   in Loop: Header=BB17_47 Depth=1
	s_and_saveexec_b64 s[54:55], s[14:15]
	s_cbranch_execz .LBB17_1037
; %bb.1025:                             ;   in Loop: Header=BB17_47 Depth=1
	s_mov_b64 s[58:59], exec
	v_mbcnt_lo_u32_b32 v1, s58, 0
	v_mbcnt_hi_u32_b32 v1, s59, v1
	v_cmp_eq_u32_e32 vcc, 0, v1
	s_waitcnt lgkmcnt(0)
	s_and_saveexec_b64 s[56:57], vcc
	s_cbranch_execz .LBB17_1027
; %bb.1026:                             ;   in Loop: Header=BB17_47 Depth=1
	s_bcnt1_i32_b64 vcc_lo, s[58:59]
	v_mov_b32_e32 v50, vcc_lo
	ds_add_u64 v0, v[50:51]
	s_trap 2
.LBB17_1027:                            ;   in Loop: Header=BB17_47 Depth=1
	s_or_b64 exec, exec, s[56:57]
	s_trap 2
	ds_read_b64 v[2:3], v0
	v_lshl_add_u64 v[48:49], v[48:49], 0, v[32:33]
	s_waitcnt lgkmcnt(0)
	v_cmp_lt_u64_e32 vcc, v[2:3], v[48:49]
	s_and_saveexec_b64 s[56:57], vcc
	s_cbranch_execz .LBB17_1036
; %bb.1028:                             ;   in Loop: Header=BB17_47 Depth=1
	s_mov_b32 s68, 0
	s_mov_b64 s[58:59], 0
                                        ; implicit-def: $sgpr60_sgpr61
                                        ; implicit-def: $sgpr62_sgpr63
	s_branch .LBB17_1030
.LBB17_1029:                            ;   in Loop: Header=BB17_1030 Depth=2
	s_or_b64 exec, exec, s[66:67]
	s_and_b64 vcc, exec, vcc
	s_or_b64 s[58:59], vcc, s[58:59]
	s_andn2_b64 vcc, s[60:61], exec
	s_and_b64 s[60:61], s[62:63], exec
	s_or_b64 s[60:61], vcc, s[60:61]
	s_andn2_b64 exec, exec, s[58:59]
	s_cbranch_execz .LBB17_1034
.LBB17_1030:                            ;   Parent Loop BB17_47 Depth=1
                                        ; =>  This Inner Loop Header: Depth=2
	s_add_i32 s68, s68, 1
	s_cmpk_lg_i32 s68, 0x2710
	s_cselect_b64 s[64:65], -1, 0
	s_and_b64 vcc, exec, s[64:65]
                                        ; implicit-def: $sgpr66_sgpr67
	s_cbranch_vccnz .LBB17_1032
; %bb.1031:                             ;   in Loop: Header=BB17_1030 Depth=2
	s_trap 2
	ds_read_b64 v[2:3], v0
	s_andn2_b64 s[64:65], s[64:65], exec
	s_mov_b32 s68, 0
	s_mov_b64 s[66:67], -1
	s_waitcnt vmcnt(0) lgkmcnt(0)
	flat_load_dword v1, v[2:3] sc0 sc1
	s_waitcnt vmcnt(0) lgkmcnt(0)
	buffer_inv sc0 sc1
	v_cmp_eq_u32_e32 vcc, 0, v1
	s_and_b64 vcc, vcc, exec
	s_or_b64 s[64:65], s[64:65], vcc
.LBB17_1032:                            ;   in Loop: Header=BB17_1030 Depth=2
	s_andn2_b64 s[62:63], s[62:63], exec
	s_and_b64 s[66:67], s[66:67], exec
	s_mov_b64 vcc, -1
	s_or_b64 s[62:63], s[62:63], s[66:67]
	s_and_saveexec_b64 s[66:67], s[64:65]
	s_cbranch_execz .LBB17_1029
; %bb.1033:                             ;   in Loop: Header=BB17_1030 Depth=2
	s_sleep 1
	s_trap 2
	ds_read_b64 v[2:3], v0
	s_andn2_b64 s[62:63], s[62:63], exec
	s_waitcnt lgkmcnt(0)
	v_cmp_ge_u64_e32 vcc, v[2:3], v[48:49]
	s_orn2_b64 vcc, vcc, exec
	s_branch .LBB17_1029
.LBB17_1034:                            ;   in Loop: Header=BB17_47 Depth=1
	s_or_b64 exec, exec, s[58:59]
	s_and_saveexec_b64 vcc, s[60:61]
	s_xor_b64 vcc, exec, vcc
	s_cbranch_execz .LBB17_1036
; %bb.1035:                             ;   in Loop: Header=BB17_47 Depth=1
	ds_write_b32 v0, v24
	s_trap 2
.LBB17_1036:                            ;   in Loop: Header=BB17_47 Depth=1
	s_or_b64 exec, exec, s[56:57]
	;;#ASMSTART
	s_wakeup
	;;#ASMEND
.LBB17_1037:                            ;   in Loop: Header=BB17_47 Depth=1
	s_or_b64 exec, exec, s[54:55]
.LBB17_1038:                            ;   in Loop: Header=BB17_47 Depth=1
	s_andn2_saveexec_b64 vcc, s[30:31]
	s_cbranch_execz .LBB17_1040
; %bb.1039:                             ;   in Loop: Header=BB17_47 Depth=1
	s_waitcnt lgkmcnt(0)
	s_barrier
.LBB17_1040:                            ;   in Loop: Header=BB17_47 Depth=1
	s_or_b64 exec, exec, vcc
.LBB17_1041:                            ;   in Loop: Header=BB17_47 Depth=1
	s_or_b64 exec, exec, s[24:25]
	s_trap 2
	s_waitcnt lgkmcnt(0)
	ds_read_b64 v[2:3], v0
	v_min_i32_e32 v61, v61, v60
	s_waitcnt lgkmcnt(0)
	v_readfirstlane_b32 s24, v2
	v_readfirstlane_b32 s25, v3
	s_cmp_eq_u64 s[24:25], 0
	s_cselect_b64 s[24:25], -1, 0
	s_or_b64 vcc, s[24:25], s[24:25]
	s_mov_b64 s[24:25], 0
	s_and_b64 vcc, exec, vcc
	s_cbranch_vccnz .LBB17_1048
; %bb.1042:                             ;   in Loop: Header=BB17_47 Depth=1
	s_trap 2
	ds_read_b64 v[42:43], v0
	s_mov_b64 s[24:25], -1
	s_and_saveexec_b64 s[30:31], s[18:19]
	s_cbranch_execz .LBB17_1044
; %bb.1043:                             ;   in Loop: Header=BB17_47 Depth=1
	ds_read_b32 v1, v0 offset:720
	s_waitcnt lgkmcnt(0)
	v_and_b32_e32 v1, 15, v1
	v_cmp_eq_u32_e32 vcc, 0, v1
	s_orn2_b64 s[24:25], vcc, exec
.LBB17_1044:                            ;   in Loop: Header=BB17_47 Depth=1
	s_or_b64 exec, exec, s[30:31]
	s_and_saveexec_b64 s[30:31], s[16:17]
	s_cbranch_execz .LBB17_1046
; %bb.1045:                             ;   in Loop: Header=BB17_47 Depth=1
	ds_read_b32 v1, v0 offset:784
	s_waitcnt lgkmcnt(0)
	v_and_b32_e32 v1, 15, v1
	v_cmp_eq_u32_e32 vcc, 0, v1
	s_and_b64 vcc, s[24:25], vcc
	s_andn2_b64 s[24:25], s[24:25], exec
	s_and_b64 vcc, vcc, exec
	s_or_b64 s[24:25], s[24:25], vcc
.LBB17_1046:                            ;   in Loop: Header=BB17_47 Depth=1
	s_or_b64 exec, exec, s[30:31]
	v_cmp_eq_u32_e32 vcc, 0, v0
	s_xor_b64 s[24:25], s[24:25], -1
	v_cndmask_b32_e64 v0, 0, 1, s[24:25]
	v_cndmask_b32_e32 v28, 0, v61, vcc
	v_mov_b32_e32 v14, 0
	v_lshlrev_b32_e32 v50, 1, v28
	s_mov_b64 s[54:55], -1
	;;#ASMSTART
	;;#ASMEND
	s_nop 0
	v_cmp_ne_u32_e32 vcc, 0, v0
	s_cbranch_vccz .LBB17_1060
; %bb.1047:                             ;   in Loop: Header=BB17_47 Depth=1
	v_accvgpr_read_b32 v15, a41
	s_waitcnt vmcnt(0)
	v_mov_b32_e32 v4, v29
	s_and_saveexec_b64 s[24:25], s[54:55]
	s_cbranch_execnz .LBB17_1073
	s_branch .LBB17_1081
.LBB17_1048:                            ;   in Loop: Header=BB17_47 Depth=1
	s_and_saveexec_b64 s[30:31], s[6:7]
	s_cbranch_execz .LBB17_1082
.LBB17_1049:                            ;   in Loop: Header=BB17_47 Depth=1
	s_and_saveexec_b64 vcc, s[40:41]
	s_xor_b64 s[54:55], exec, vcc
	s_cbranch_execz .LBB17_1090
; %bb.1050:                             ;   in Loop: Header=BB17_47 Depth=1
	s_and_saveexec_b64 s[56:57], s[14:15]
	s_cbranch_execz .LBB17_1089
; %bb.1051:                             ;   in Loop: Header=BB17_47 Depth=1
	s_mov_b64 s[60:61], exec
	v_mbcnt_lo_u32_b32 v0, s60, 0
	v_mbcnt_hi_u32_b32 v0, s61, v0
	v_cmp_eq_u32_e32 vcc, 0, v0
	s_waitcnt lgkmcnt(0)
	s_and_saveexec_b64 s[58:59], vcc
	s_cbranch_execz .LBB17_1053
; %bb.1052:                             ;   in Loop: Header=BB17_47 Depth=1
	s_bcnt1_i32_b64 vcc_lo, s[60:61]
	v_mov_b32_e32 v50, vcc_lo
	ds_add_u64 v0, v[50:51]
	s_trap 2
.LBB17_1053:                            ;   in Loop: Header=BB17_47 Depth=1
	s_or_b64 exec, exec, s[58:59]
	s_trap 2
	ds_read_b64 v[0:1], v0
	v_lshl_add_u64 v[48:49], v[48:49], 0, v[32:33]
	s_waitcnt lgkmcnt(0)
	v_cmp_lt_u64_e32 vcc, v[0:1], v[48:49]
	s_and_saveexec_b64 s[58:59], vcc
	s_cbranch_execz .LBB17_1088
; %bb.1054:                             ;   in Loop: Header=BB17_47 Depth=1
	s_mov_b32 s70, 0
	s_mov_b64 s[60:61], 0
                                        ; implicit-def: $sgpr62_sgpr63
                                        ; implicit-def: $sgpr64_sgpr65
	s_branch .LBB17_1056
.LBB17_1055:                            ;   in Loop: Header=BB17_1056 Depth=2
	s_or_b64 exec, exec, s[68:69]
	s_and_b64 vcc, exec, vcc
	s_or_b64 s[60:61], vcc, s[60:61]
	s_andn2_b64 vcc, s[62:63], exec
	s_and_b64 s[62:63], s[64:65], exec
	s_or_b64 s[62:63], vcc, s[62:63]
	s_andn2_b64 exec, exec, s[60:61]
	s_cbranch_execz .LBB17_1086
.LBB17_1056:                            ;   Parent Loop BB17_47 Depth=1
                                        ; =>  This Inner Loop Header: Depth=2
	s_add_i32 s70, s70, 1
	s_cmpk_lg_i32 s70, 0x2710
	s_cselect_b64 s[66:67], -1, 0
	s_and_b64 vcc, exec, s[66:67]
                                        ; implicit-def: $sgpr68_sgpr69
	s_cbranch_vccnz .LBB17_1058
; %bb.1057:                             ;   in Loop: Header=BB17_1056 Depth=2
	s_trap 2
	ds_read_b64 v[0:1], v0
	s_andn2_b64 s[66:67], s[66:67], exec
	s_mov_b32 s70, 0
	s_mov_b64 s[68:69], -1
	s_waitcnt vmcnt(0) lgkmcnt(0)
	flat_load_dword v0, v[0:1] sc0 sc1
	s_waitcnt vmcnt(0) lgkmcnt(0)
	buffer_inv sc0 sc1
	v_cmp_eq_u32_e32 vcc, 0, v0
	s_and_b64 vcc, vcc, exec
	s_or_b64 s[66:67], s[66:67], vcc
.LBB17_1058:                            ;   in Loop: Header=BB17_1056 Depth=2
	s_andn2_b64 s[64:65], s[64:65], exec
	s_and_b64 s[68:69], s[68:69], exec
	s_mov_b64 vcc, -1
	s_or_b64 s[64:65], s[64:65], s[68:69]
	s_and_saveexec_b64 s[68:69], s[66:67]
	s_cbranch_execz .LBB17_1055
; %bb.1059:                             ;   in Loop: Header=BB17_1056 Depth=2
	s_sleep 1
	s_trap 2
	ds_read_b64 v[0:1], v0
	s_andn2_b64 s[64:65], s[64:65], exec
	s_waitcnt lgkmcnt(0)
	v_cmp_ge_u64_e32 vcc, v[0:1], v[48:49]
	s_orn2_b64 vcc, vcc, exec
	s_branch .LBB17_1055
.LBB17_1060:                            ;   in Loop: Header=BB17_47 Depth=1
	v_ashrrev_i32_e32 v0, 31, v50
	v_lshrrev_b32_e32 v0, 19, v0
	v_add_u32_e32 v0, v50, v0
	v_ashrrev_i32_e32 v40, 13, v0
	s_waitcnt vmcnt(0)
	v_sub_u32_e32 v41, v40, v29
	v_cmp_lt_i32_e32 vcc, 0, v41
	s_and_saveexec_b64 s[24:25], vcc
	s_cbranch_execz .LBB17_1064
; %bb.1061:                             ;   in Loop: Header=BB17_47 Depth=1
	s_trap 2
	ds_read_b64 v[0:1], v0
	v_accvgpr_write_b32 a26, v48
	v_accvgpr_write_b32 a14, v38
	v_accvgpr_mov_b32 a4, a10
	s_waitcnt lgkmcnt(1)
	v_accvgpr_write_b32 a6, v42
	v_accvgpr_write_b32 a28, v32
	;; [unrolled: 1-line block ×10, first 2 shown]
	v_accvgpr_mov_b32 a5, a11
	s_mov_b64 s[30:31], 0
	s_waitcnt lgkmcnt(0)
	v_mov_b64_e32 v[4:5], v[0:1]
	v_accvgpr_write_b32 a7, v43
	v_mov_b64_e32 v[28:29], v[42:43]
	v_accvgpr_write_b32 a29, v33
	v_accvgpr_write_b32 a19, v23
.LBB17_1062:                            ;   Parent Loop BB17_47 Depth=1
                                        ; =>  This Inner Loop Header: Depth=2
	s_waitcnt vmcnt(1)
	v_lshl_add_u64 v[8:9], v[18:19], 0, v[28:29]
	v_lshl_add_u64 v[10:11], v[18:19], 0, v[4:5]
	global_load_dwordx4 v[34:37], v[8:9], off nt
	global_load_dwordx4 v[48:51], v[10:11], off nt
	global_load_dwordx4 v[44:47], v[10:11], off offset:1024 nt
	global_load_dwordx4 v[52:55], v[8:9], off offset:1024 nt
	;; [unrolled: 1-line block ×6, first 2 shown]
	v_add_co_u32_e32 v32, vcc, s85, v10
	s_waitcnt vmcnt(6)
	v_mul_f16_e32 v60, v48, v34
	v_addc_co_u32_e32 v33, vcc, 0, v11, vcc
	s_waitcnt vmcnt(4)
	v_mul_f16_sdwa v2, v44, v52 dst_sel:WORD_1 dst_unused:UNUSED_PAD src0_sel:WORD_1 src1_sel:WORD_1
	v_add_co_u32_e32 v30, vcc, s85, v8
	v_accvgpr_write_b32 a2, v2
	v_mul_f16_e32 v2, v45, v53
	v_accvgpr_write_b32 a10, v2
	v_mul_f16_sdwa v2, v45, v53 dst_sel:WORD_1 dst_unused:UNUSED_PAD src0_sel:WORD_1 src1_sel:WORD_1
	v_addc_co_u32_e32 v31, vcc, 0, v9, vcc
	v_accvgpr_write_b32 a11, v2
	v_mul_f16_e32 v2, v46, v54
	v_accvgpr_write_b32 a20, v2
	v_mul_f16_sdwa v2, v46, v54 dst_sel:WORD_1 dst_unused:UNUSED_PAD src0_sel:WORD_1 src1_sel:WORD_1
	v_mul_f16_sdwa v34, v48, v34 dst_sel:WORD_1 dst_unused:UNUSED_PAD src0_sel:WORD_1 src1_sel:WORD_1
	v_accvgpr_write_b32 a32, v2
	v_mul_f16_e32 v2, v47, v55
	v_accvgpr_write_b32 a33, v2
	v_mul_f16_sdwa v2, v47, v55 dst_sel:WORD_1 dst_unused:UNUSED_PAD src0_sel:WORD_1 src1_sel:WORD_1
	v_mul_f16_e32 v38, v49, v35
	v_accvgpr_write_b32 a34, v2
	s_waitcnt vmcnt(2)
	v_mul_f16_e32 v2, v24, v20
	v_accvgpr_write_b32 a35, v2
	v_mul_f16_sdwa v2, v24, v20 dst_sel:WORD_1 dst_unused:UNUSED_PAD src0_sel:WORD_1 src1_sel:WORD_1
	v_mul_f16_sdwa v35, v49, v35 dst_sel:WORD_1 dst_unused:UNUSED_PAD src0_sel:WORD_1 src1_sel:WORD_1
	v_accvgpr_write_b32 a38, v2
	v_mul_f16_e32 v2, v25, v21
	v_mul_f16_e32 v39, v50, v36
	v_mul_f16_sdwa v36, v50, v36 dst_sel:WORD_1 dst_unused:UNUSED_PAD src0_sel:WORD_1 src1_sel:WORD_1
	v_mul_f16_e32 v48, v51, v37
	v_mul_f16_sdwa v37, v51, v37 dst_sel:WORD_1 dst_unused:UNUSED_PAD src0_sel:WORD_1 src1_sel:WORD_1
	v_accvgpr_write_b32 a39, v2
	v_mul_f16_sdwa v2, v25, v21 dst_sel:WORD_1 dst_unused:UNUSED_PAD src0_sel:WORD_1 src1_sel:WORD_1
	global_load_dwordx4 v[8:11], v[32:33], off nt
	v_mul_f16_e32 v56, v44, v52
	v_accvgpr_write_b32 a40, v2
	v_mul_f16_e32 v59, v26, v22
	v_mul_f16_sdwa v47, v26, v22 dst_sel:WORD_1 dst_unused:UNUSED_PAD src0_sel:WORD_1 src1_sel:WORD_1
	v_mul_f16_e32 v45, v27, v23
	v_mul_f16_sdwa v44, v27, v23 dst_sel:WORD_1 dst_unused:UNUSED_PAD src0_sel:WORD_1 src1_sel:WORD_1
	global_load_dwordx4 v[20:23], v[32:33], off offset:1024 nt
	s_waitcnt vmcnt(2)
	v_mul_f16_e32 v42, v12, v16
	v_mul_f16_sdwa v43, v12, v16 dst_sel:WORD_1 dst_unused:UNUSED_PAD src0_sel:WORD_1 src1_sel:WORD_1
	v_mul_f16_e32 v7, v13, v17
	v_mul_f16_sdwa v2, v13, v17 dst_sel:WORD_1 dst_unused:UNUSED_PAD src0_sel:WORD_1 src1_sel:WORD_1
	;; [unrolled: 2-line block ×4, first 2 shown]
	v_or_b32_e32 v53, v35, v38
	v_or_b32_e32 v52, v34, v60
	;; [unrolled: 1-line block ×3, first 2 shown]
	global_load_dwordx4 v[16:19], v[32:33], off offset:2048 nt
	v_or_b32_e32 v54, v36, v39
	global_load_dwordx4 v[12:15], v[32:33], off offset:3072 nt
	global_load_dwordx4 v[48:51], v[30:31], off nt
	global_load_dwordx4 v[36:39], v[30:31], off offset:1024 nt
	s_nop 0
	global_load_dwordx4 v[32:35], v[30:31], off offset:2048 nt
	global_load_dwordx4 v[24:27], v[30:31], off offset:3072 nt
	s_nop 0
	scratch_load_dwordx2 v[30:31], off, s33 offset:192 ; 8-byte Folded Reload
	v_or_b32_e32 v46, v46, v58
	s_waitcnt vmcnt(0)
	v_lshl_add_u64 v[60:61], v[30:31], 0, v[0:1]
	v_accvgpr_read_b32 v30, a10
	v_accvgpr_read_b32 v31, a11
	global_store_dwordx4 v[60:61], v[52:55], off nt
	s_nop 1
	v_or_b32_e32 v53, v31, v30
	v_accvgpr_read_b32 v30, a2
	v_or_b32_e32 v52, v30, v56
	v_accvgpr_read_b32 v30, a33
	v_accvgpr_read_b32 v31, a34
	v_or_b32_e32 v55, v31, v30
	v_accvgpr_read_b32 v30, a20
	v_accvgpr_read_b32 v31, a32
	v_or_b32_e32 v54, v31, v30
	v_accvgpr_read_b32 v30, a39
	v_accvgpr_read_b32 v31, a40
	global_store_dwordx4 v[60:61], v[52:55], off offset:1024 nt
	s_nop 1
	v_or_b32_e32 v53, v31, v30
	v_accvgpr_read_b32 v30, a35
	v_accvgpr_read_b32 v31, a38
	v_or_b32_e32 v52, v31, v30
	v_accvgpr_read_b32 v31, a29
	v_accvgpr_read_b32 v30, a28
	v_sub_u32_e32 v41, v41, v30
	v_accvgpr_read_b32 v31, a19
	v_accvgpr_read_b32 v30, a18
	v_or_b32_e32 v55, v44, v45
	v_or_b32_e32 v54, v47, v59
	;; [unrolled: 1-line block ×3, first 2 shown]
	v_lshl_add_u64 v[28:29], v[28:29], 0, v[30:31]
	v_lshl_add_u64 v[4:5], v[4:5], 0, v[30:31]
	;; [unrolled: 1-line block ×3, first 2 shown]
	v_or_b32_e32 v47, v3, v6
	v_add_co_u32_e32 v30, vcc, s85, v60
	v_mul_f16_e32 v2, v8, v48
	v_mul_f16_sdwa v3, v8, v48 dst_sel:WORD_1 dst_unused:UNUSED_PAD src0_sel:WORD_1 src1_sel:WORD_1
	v_mul_f16_e32 v6, v9, v49
	v_mul_f16_sdwa v7, v9, v49 dst_sel:WORD_1 dst_unused:UNUSED_PAD src0_sel:WORD_1 src1_sel:WORD_1
	v_mul_f16_e32 v48, v10, v50
	v_mul_f16_sdwa v10, v10, v50 dst_sel:WORD_1 dst_unused:UNUSED_PAD src0_sel:WORD_1 src1_sel:WORD_1
	v_mul_f16_e32 v49, v11, v51
	v_mul_f16_sdwa v11, v11, v51 dst_sel:WORD_1 dst_unused:UNUSED_PAD src0_sel:WORD_1 src1_sel:WORD_1
	v_addc_co_u32_e32 v31, vcc, 0, v61, vcc
	v_mul_f16_e32 v50, v20, v36
	v_mul_f16_sdwa v20, v20, v36 dst_sel:WORD_1 dst_unused:UNUSED_PAD src0_sel:WORD_1 src1_sel:WORD_1
	v_mul_f16_e32 v36, v21, v37
	v_mul_f16_sdwa v21, v21, v37 dst_sel:WORD_1 dst_unused:UNUSED_PAD src0_sel:WORD_1 src1_sel:WORD_1
	;; [unrolled: 2-line block ×8, first 2 shown]
	v_or_b32_e32 v9, v7, v6
	v_or_b32_e32 v8, v3, v2
	;; [unrolled: 1-line block ×5, first 2 shown]
	global_store_dwordx4 v[60:61], v[52:55], off offset:2048 nt
	global_store_dwordx4 v[60:61], v[44:47], off offset:3072 nt
	v_mul_f16_e32 v35, v12, v24
	v_mul_f16_sdwa v24, v12, v24 dst_sel:WORD_1 dst_unused:UNUSED_PAD src0_sel:WORD_1 src1_sel:WORD_1
	v_mul_f16_e32 v51, v13, v25
	v_mul_f16_sdwa v25, v13, v25 dst_sel:WORD_1 dst_unused:UNUSED_PAD src0_sel:WORD_1 src1_sel:WORD_1
	v_mul_f16_e32 v52, v14, v26
	v_mul_f16_sdwa v26, v14, v26 dst_sel:WORD_1 dst_unused:UNUSED_PAD src0_sel:WORD_1 src1_sel:WORD_1
	v_mul_f16_e32 v53, v15, v27
	v_mul_f16_sdwa v27, v15, v27 dst_sel:WORD_1 dst_unused:UNUSED_PAD src0_sel:WORD_1 src1_sel:WORD_1
	v_or_b32_e32 v13, v21, v36
	v_or_b32_e32 v12, v20, v50
	;; [unrolled: 1-line block ×8, first 2 shown]
	global_store_dwordx4 v[30:31], v[8:11], off nt
	global_store_dwordx4 v[30:31], v[12:15], off offset:1024 nt
	global_store_dwordx4 v[30:31], v[16:19], off offset:2048 nt
	scratch_load_dwordx2 v[18:19], off, s33 offset:192 ; 8-byte Folded Reload
	v_cmp_gt_i32_e32 vcc, 1, v41
	s_or_b64 s[30:31], vcc, s[30:31]
	v_or_b32_e32 v21, v25, v51
	v_or_b32_e32 v20, v24, v35
	;; [unrolled: 1-line block ×4, first 2 shown]
	global_store_dwordx4 v[30:31], v[20:23], off offset:3072 nt
	s_andn2_b64 exec, exec, s[30:31]
	s_cbranch_execnz .LBB17_1062
; %bb.1063:                             ;   in Loop: Header=BB17_47 Depth=1
	s_or_b64 exec, exec, s[30:31]
	scratch_load_dwordx2 a[62:63], off, s33 offset:244 ; 8-byte Folded Reload
	scratch_load_dwordx2 v[46:47], off, s33 offset:236 ; 8-byte Folded Reload
	;; [unrolled: 1-line block ×3, first 2 shown]
	scratch_load_dword v56, off, s33 offset:252 ; 4-byte Folded Reload
	scratch_load_dword v25, off, s33 offset:208 ; 4-byte Folded Reload
	scratch_load_dwordx2 v[26:27], off, s33 offset:200 ; 8-byte Folded Reload
	scratch_load_dword v29, off, s33 offset:212 ; 4-byte Folded Reload
	v_accvgpr_mov_b32 a11, a5
	v_accvgpr_mov_b32 a33, a17
	v_accvgpr_read_b32 v35, a23
	v_accvgpr_read_b32 v37, a25
	;; [unrolled: 1-line block ×9, first 2 shown]
	v_accvgpr_mov_b32 a10, a4
	v_accvgpr_mov_b32 a32, a16
	v_accvgpr_read_b32 v34, a22
	v_accvgpr_read_b32 v36, a24
	v_accvgpr_read_b32 v38, a14
	v_accvgpr_read_b32 v48, a26
	v_accvgpr_read_b32 v51, a3
	v_accvgpr_read_b32 v32, a28
	v_accvgpr_read_b32 v22, a18
	v_accvgpr_read_b32 v21, a51
	v_accvgpr_read_b32 v59, a59
	v_mov_b32_e32 v24, 1
	v_accvgpr_read_b32 v60, a0
	v_accvgpr_read_b32 v61, a1
	;; [unrolled: 1-line block ×5, first 2 shown]
	s_waitcnt vmcnt(4)
	v_accvgpr_write_b32 a20, v0
.LBB17_1064:                            ;   in Loop: Header=BB17_47 Depth=1
	s_or_b64 exec, exec, s[24:25]
	v_lshlrev_b32_e32 v8, 13, v40
	v_cmp_ne_u32_e32 vcc, v50, v8
	s_mov_b64 s[54:55], 0
	v_mov_b32_e32 v14, 0
                                        ; implicit-def: $vgpr15
                                        ; implicit-def: $vgpr4
	s_and_saveexec_b64 s[30:31], vcc
	s_cbranch_execz .LBB17_1072
; %bb.1065:                             ;   in Loop: Header=BB17_47 Depth=1
	scratch_load_dword v2, off, s33 offset:216 ; 4-byte Folded Reload
	v_lshlrev_b32_e32 v1, 6, v41
	v_sub_u32_e32 v0, v50, v8
	s_waitcnt vmcnt(0)
	v_sub_u32_e32 v1, v2, v1
	v_ashrrev_i32_e32 v2, 31, v1
	v_lshrrev_b32_e32 v2, 26, v2
	v_add_u32_e32 v2, v1, v2
	v_ashrrev_i32_e32 v3, 6, v2
	v_and_b32_e32 v2, 0xffffffc0, v2
	v_sub_u32_e32 v9, v1, v2
	v_lshlrev_b32_e32 v1, 4, v9
	v_lshl_add_u32 v4, v3, 10, v1
	v_ashrrev_i32_e32 v1, 31, v0
	v_lshrrev_b32_e32 v1, 22, v1
	v_add_u32_e32 v1, v0, v1
	v_and_b32_e32 v10, 0xfffffc00, v1
	v_sub_u32_e32 v12, v0, v10
	v_ashrrev_i32_e32 v2, 10, v1
	v_cmp_lt_i32_e32 vcc, 15, v12
	v_sub_u32_e32 v13, v0, v4
	s_nop 0
	v_addc_co_u32_e64 v0, s[24:25], 0, v2, vcc
	v_sub_u32_e32 v11, v0, v3
	v_cmp_lt_i32_e64 s[24:25], 15, v13
	s_mov_b64 s[54:55], exec
	v_accvgpr_read_b32 v30, a48
	s_and_b64 s[24:25], s[54:55], s[24:25]
	v_accvgpr_read_b32 v31, a49
	s_mov_b64 exec, s[24:25]
	s_cbranch_execz .LBB17_1069
; %bb.1066:                             ;   in Loop: Header=BB17_47 Depth=1
	s_trap 2
	ds_read_b64 v[0:1], v0
	v_add_u32_e32 v4, v4, v8
	v_ashrrev_i32_e32 v5, 31, v4
	s_mov_b64 s[56:57], 0
.LBB17_1067:                            ;   Parent Loop BB17_47 Depth=1
                                        ; =>  This Inner Loop Header: Depth=2
	s_waitcnt lgkmcnt(1)
	v_lshl_add_u64 v[18:19], v[42:43], 0, v[4:5]
	s_waitcnt lgkmcnt(0)
	v_lshl_add_u64 v[22:23], v[0:1], 0, v[4:5]
	global_load_dwordx4 v[14:17], v[22:23], off nt
	s_nop 0
	global_load_dwordx4 v[18:21], v[18:19], off nt
	v_sub_u32_e32 v13, v13, v56
	v_cmp_gt_i32_e64 s[24:25], 16, v13
	v_sub_u32_e32 v11, v11, v32
	v_lshl_add_u64 v[4:5], v[4:5], 0, v[30:31]
	s_or_b64 s[56:57], s[24:25], s[56:57]
	s_waitcnt vmcnt(0)
	v_mul_f16_e32 v2, v14, v18
	v_mul_f16_sdwa v3, v14, v18 dst_sel:WORD_1 dst_unused:UNUSED_PAD src0_sel:WORD_1 src1_sel:WORD_1
	v_mul_f16_e32 v6, v15, v19
	v_mul_f16_sdwa v7, v15, v19 dst_sel:WORD_1 dst_unused:UNUSED_PAD src0_sel:WORD_1 src1_sel:WORD_1
	v_mul_f16_e32 v18, v16, v20
	v_mul_f16_sdwa v16, v16, v20 dst_sel:WORD_1 dst_unused:UNUSED_PAD src0_sel:WORD_1 src1_sel:WORD_1
	v_mul_f16_e32 v19, v17, v21
	v_mul_f16_sdwa v17, v17, v21 dst_sel:WORD_1 dst_unused:UNUSED_PAD src0_sel:WORD_1 src1_sel:WORD_1
	v_or_b32_e32 v15, v7, v6
	v_or_b32_e32 v14, v3, v2
	;; [unrolled: 1-line block ×4, first 2 shown]
	global_store_dwordx4 v[22:23], v[14:17], off nt
	s_andn2_b64 exec, exec, s[56:57]
	s_cbranch_execnz .LBB17_1067
; %bb.1068:                             ;   in Loop: Header=BB17_47 Depth=1
	s_or_b64 exec, exec, s[56:57]
	scratch_load_dwordx2 v[18:19], off, s33 offset:192 ; 8-byte Folded Reload
	v_accvgpr_read_b32 v22, a42
	v_accvgpr_read_b32 v20, a50
	;; [unrolled: 1-line block ×4, first 2 shown]
.LBB17_1069:                            ;   in Loop: Header=BB17_47 Depth=1
	s_or_b64 exec, exec, s[54:55]
	v_and_b32_e32 v0, 14, v50
	v_cndmask_b32_e32 v50, v12, v0, vcc
	v_cmp_ne_u32_e64 s[24:25], 0, v50
	s_mov_b64 s[54:55], 0
	v_mov_b32_e32 v14, 0
                                        ; implicit-def: $vgpr15
                                        ; implicit-def: $vgpr4
	s_and_saveexec_b64 s[56:57], s[24:25]
	s_cbranch_execz .LBB17_1071
; %bb.1070:                             ;   in Loop: Header=BB17_47 Depth=1
	v_sub_u32_e32 v0, v12, v0
	v_cndmask_b32_e32 v0, 0, v0, vcc
	v_cmp_lt_i32_e32 vcc, 0, v11
	v_add3_u32 v14, v10, v8, v0
	s_mov_b64 s[54:55], exec
	v_cndmask_b32_e32 v0, 0, v32, vcc
	v_sub_u32_e32 v0, v0, v11
	v_lshl_add_u32 v15, v0, 6, v9
	v_ashrrev_i32_e32 v0, 31, v15
	v_lshrrev_b32_e32 v0, 26, v0
	v_add_u32_e32 v0, v15, v0
	v_ashrrev_i32_e32 v4, 6, v0
.LBB17_1071:                            ;   in Loop: Header=BB17_47 Depth=1
	s_or_b64 exec, exec, s[56:57]
	s_and_b64 s[54:55], s[54:55], exec
.LBB17_1072:                            ;   in Loop: Header=BB17_47 Depth=1
	s_or_b64 exec, exec, s[30:31]
	v_accvgpr_read_b32 v41, a9
	v_accvgpr_read_b32 v40, a8
	s_and_saveexec_b64 s[24:25], s[54:55]
	s_cbranch_execz .LBB17_1081
.LBB17_1073:                            ;   in Loop: Header=BB17_47 Depth=1
	v_ashrrev_i32_e32 v0, 31, v50
	v_lshrrev_b32_e32 v0, 21, v0
	v_add_u32_e32 v0, v50, v0
	s_waitcnt vmcnt(0)
	v_ashrrev_i32_e32 v18, 11, v0
	v_sub_u32_e32 v16, v18, v4
	v_ashrrev_i32_e32 v0, 31, v15
	v_cmp_lt_i32_e32 vcc, 0, v16
	v_lshrrev_b32_e32 v17, 26, v0
	s_and_saveexec_b64 s[30:31], vcc
	s_cbranch_execz .LBB17_1077
; %bb.1074:                             ;   in Loop: Header=BB17_47 Depth=1
	s_trap 2
	ds_read_b64 v[0:1], v0
	v_add_u32_e32 v2, v15, v17
	v_and_b32_e32 v2, 0x7fffffc0, v2
	v_sub_u32_e32 v2, v15, v2
	v_lshlrev_b32_e32 v2, 1, v2
	v_lshlrev_b32_e32 v3, 11, v4
	s_waitcnt lgkmcnt(1)
	v_accvgpr_write_b32 a0, v42
	v_accvgpr_write_b32 a14, v48
	;; [unrolled: 1-line block ×3, first 2 shown]
	v_add3_u32 v4, v2, v14, v3
	v_accvgpr_write_b32 a1, v43
	v_mov_b64_e32 v[10:11], v[42:43]
	v_accvgpr_read_b32 v42, a44
	v_accvgpr_write_b32 a6, v50
	v_accvgpr_write_b32 a3, v28
	v_mov_b32_e32 v55, v51
	v_accvgpr_write_b32 a15, v49
	v_accvgpr_write_b32 a5, v39
	v_ashrrev_i32_e32 v5, 31, v4
	s_mov_b64 s[54:55], 0
	s_waitcnt lgkmcnt(0)
	v_mov_b64_e32 v[8:9], v[0:1]
	v_mov_b64_e32 v[44:45], v[32:33]
	v_accvgpr_read_b32 v43, a45
.LBB17_1075:                            ;   Parent Loop BB17_47 Depth=1
                                        ; =>  This Inner Loop Header: Depth=2
	v_lshl_add_u64 v[20:21], v[4:5], 0, v[8:9]
	v_lshl_add_u64 v[12:13], v[4:5], 0, v[10:11]
	flat_load_ushort v2, v[20:21] nt
	flat_load_ushort v3, v[20:21] offset:128 nt
	flat_load_ushort v6, v[20:21] offset:256 nt
	;; [unrolled: 1-line block ×7, first 2 shown]
	flat_load_ushort v25, v[12:13] nt
	flat_load_ushort v26, v[12:13] offset:128 nt
	flat_load_ushort v27, v[12:13] offset:256 nt
	;; [unrolled: 1-line block ×14, first 2 shown]
	s_nop 0
	flat_load_ushort v20, v[20:21] offset:1920 nt
	s_nop 0
	flat_load_ushort v21, v[12:13] offset:1024 nt
	flat_load_ushort v48, v[12:13] offset:1152 nt
	flat_load_ushort v49, v[12:13] offset:1280 nt
	flat_load_ushort v50, v[12:13] offset:1408 nt
	flat_load_ushort v51, v[12:13] offset:1536 nt
	flat_load_ushort v52, v[12:13] offset:1664 nt
	flat_load_ushort v53, v[12:13] offset:1792 nt
	flat_load_ushort v54, v[12:13] offset:1920 nt
	v_sub_u32_e32 v16, v16, v44
	v_cmp_gt_i32_e32 vcc, 1, v16
	v_lshl_add_u64 v[12:13], v[4:5], 0, v[0:1]
	v_lshl_add_u64 v[10:11], v[10:11], 0, v[42:43]
	;; [unrolled: 1-line block ×4, first 2 shown]
	s_or_b64 s[54:55], vcc, s[54:55]
	s_waitcnt vmcnt(0) lgkmcnt(0)
	v_mul_f16_e32 v2, v2, v25
	v_mul_f16_e32 v3, v3, v26
	;; [unrolled: 1-line block ×16, first 2 shown]
	flat_store_short v[12:13], v2 nt
	flat_store_short v[12:13], v3 offset:128 nt
	flat_store_short v[12:13], v6 offset:256 nt
	;; [unrolled: 1-line block ×15, first 2 shown]
	s_andn2_b64 exec, exec, s[54:55]
	s_cbranch_execnz .LBB17_1075
; %bb.1076:                             ;   in Loop: Header=BB17_47 Depth=1
	s_or_b64 exec, exec, s[54:55]
	scratch_load_dword v25, off, s33 offset:208 ; 4-byte Folded Reload
	scratch_load_dwordx2 v[26:27], off, s33 offset:200 ; 8-byte Folded Reload
	scratch_load_dword v29, off, s33 offset:212 ; 4-byte Folded Reload
	v_accvgpr_mov_b32 a33, a17
	v_accvgpr_read_b32 v35, a23
	v_accvgpr_read_b32 v37, a25
	;; [unrolled: 1-line block ×7, first 2 shown]
	v_accvgpr_mov_b32 a32, a16
	v_accvgpr_read_b32 v34, a22
	v_accvgpr_read_b32 v36, a24
	;; [unrolled: 1-line block ×4, first 2 shown]
	v_mov_b32_e32 v51, v55
	v_mov_b64_e32 v[32:33], v[44:45]
	v_accvgpr_read_b32 v23, a43
	v_accvgpr_read_b32 v21, a51
	v_mov_b32_e32 v24, 1
	v_accvgpr_read_b32 v42, a0
	v_accvgpr_read_b32 v28, a3
	;; [unrolled: 1-line block ×3, first 2 shown]
.LBB17_1077:                            ;   in Loop: Header=BB17_47 Depth=1
	s_or_b64 exec, exec, s[30:31]
	v_lshlrev_b32_e32 v0, 11, v18
	scratch_load_dwordx2 v[18:19], off, s33 offset:192 ; 8-byte Folded Reload
	v_cmp_ne_u32_e32 vcc, v50, v0
	s_and_b64 vcc, exec, vcc
	s_mov_b64 exec, vcc
	s_cbranch_execz .LBB17_1081
; %bb.1078:                             ;   in Loop: Header=BB17_47 Depth=1
	v_add_u32_e32 v1, v15, v17
	v_and_b32_e32 v1, 0xffffffc0, v1
	v_sub_u32_e32 v1, v15, v1
	v_lshlrev_b32_e32 v2, 6, v16
	v_sub_u32_e32 v1, v1, v2
	v_ashrrev_i32_e32 v2, 31, v1
	v_lshrrev_b32_e32 v2, 26, v2
	v_add_u32_e32 v2, v1, v2
	v_and_b32_e32 v3, 0x7fffffc0, v2
	v_sub_u32_e32 v1, v1, v3
	v_lshlrev_b32_e32 v2, 1, v2
	v_and_b32_e32 v2, 0xffffff80, v2
	v_lshlrev_b32_e32 v1, 1, v1
	v_add3_u32 v4, v2, v1, v0
	v_sub_u32_e32 v2, v50, v4
	v_cmp_lt_i32_e32 vcc, 1, v2
	s_and_b64 exec, exec, vcc
	s_cbranch_execz .LBB17_1081
; %bb.1079:                             ;   in Loop: Header=BB17_47 Depth=1
	s_trap 2
	ds_read_b64 v[0:1], v0
	v_add_u32_e32 v4, v4, v14
	v_ashrrev_i32_e32 v5, 31, v4
	s_mov_b64 s[30:31], 0
.LBB17_1080:                            ;   Parent Loop BB17_47 Depth=1
                                        ; =>  This Inner Loop Header: Depth=2
	s_waitcnt lgkmcnt(0)
	v_lshl_add_u64 v[10:11], v[0:1], 0, v[4:5]
	v_lshl_add_u64 v[8:9], v[42:43], 0, v[4:5]
	flat_load_ushort v3, v[10:11] nt
	flat_load_ushort v6, v[8:9] nt
	s_waitcnt vmcnt(0)
	v_sub_u32_e32 v2, v2, v25
	v_cmp_gt_i32_e32 vcc, 2, v2
	v_lshl_add_u64 v[4:5], v[4:5], 0, v[20:21]
	s_or_b64 s[30:31], vcc, s[30:31]
	s_waitcnt lgkmcnt(0)
	v_mul_f16_e32 v3, v3, v6
	flat_store_short v[10:11], v3 nt
	s_andn2_b64 exec, exec, s[30:31]
	s_cbranch_execnz .LBB17_1080
.LBB17_1081:                            ;   in Loop: Header=BB17_47 Depth=1
	s_or_b64 exec, exec, s[24:25]
	v_accvgpr_read_b32 v16, a44
	v_cmp_lt_i32_e64 s[24:25], 0, v28
	v_accvgpr_read_b32 v17, a45
	s_and_saveexec_b64 s[30:31], s[6:7]
	s_cbranch_execnz .LBB17_1049
.LBB17_1082:                            ;   in Loop: Header=BB17_47 Depth=1
	s_or_b64 exec, exec, s[30:31]
	s_and_saveexec_b64 vcc, s[22:23]
	s_xor_b64 s[30:31], exec, vcc
	s_cbranch_execz .LBB17_1093
.LBB17_1083:                            ;   in Loop: Header=BB17_47 Depth=1
	v_and_b32_e32 v0, 16, v57
	v_cmp_ne_u32_e32 vcc, 0, v0
	s_and_b64 vcc, vcc, s[24:25]
	s_and_saveexec_b64 s[24:25], vcc
	s_cbranch_execz .LBB17_1085
; %bb.1084:                             ;   in Loop: Header=BB17_47 Depth=1
	buffer_wbl2 sc1
	s_waitcnt vmcnt(0) lgkmcnt(0)
	buffer_inv sc1
.LBB17_1085:                            ;   in Loop: Header=BB17_47 Depth=1
	s_or_b64 exec, exec, s[24:25]
	s_andn2_saveexec_b64 s[24:25], s[30:31]
	s_cbranch_execz .LBB17_1112
	s_branch .LBB17_1094
.LBB17_1086:                            ;   in Loop: Header=BB17_47 Depth=1
	s_or_b64 exec, exec, s[60:61]
	s_and_saveexec_b64 vcc, s[62:63]
	s_xor_b64 vcc, exec, vcc
	s_cbranch_execz .LBB17_1088
; %bb.1087:                             ;   in Loop: Header=BB17_47 Depth=1
	ds_write_b32 v0, v24
	s_trap 2
.LBB17_1088:                            ;   in Loop: Header=BB17_47 Depth=1
	s_or_b64 exec, exec, s[58:59]
	;;#ASMSTART
	s_wakeup
	;;#ASMEND
.LBB17_1089:                            ;   in Loop: Header=BB17_47 Depth=1
	s_or_b64 exec, exec, s[56:57]
.LBB17_1090:                            ;   in Loop: Header=BB17_47 Depth=1
	s_andn2_saveexec_b64 vcc, s[54:55]
	s_cbranch_execz .LBB17_1092
; %bb.1091:                             ;   in Loop: Header=BB17_47 Depth=1
	s_waitcnt lgkmcnt(0)
	s_barrier
.LBB17_1092:                            ;   in Loop: Header=BB17_47 Depth=1
	s_or_b64 exec, exec, vcc
	s_or_b64 exec, exec, s[30:31]
	s_and_saveexec_b64 vcc, s[22:23]
	s_xor_b64 s[30:31], exec, vcc
	s_cbranch_execnz .LBB17_1083
.LBB17_1093:                            ;   in Loop: Header=BB17_47 Depth=1
	s_andn2_saveexec_b64 s[24:25], s[30:31]
	s_cbranch_execz .LBB17_1112
.LBB17_1094:                            ;   in Loop: Header=BB17_47 Depth=1
	s_and_saveexec_b64 vcc, s[40:41]
	s_xor_b64 s[30:31], exec, vcc
	s_cbranch_execz .LBB17_1109
; %bb.1095:                             ;   in Loop: Header=BB17_47 Depth=1
	s_and_saveexec_b64 s[54:55], s[14:15]
	s_cbranch_execz .LBB17_1108
; %bb.1096:                             ;   in Loop: Header=BB17_47 Depth=1
	s_mov_b64 s[58:59], exec
	v_mbcnt_lo_u32_b32 v0, s58, 0
	v_mbcnt_hi_u32_b32 v0, s59, v0
	v_cmp_eq_u32_e32 vcc, 0, v0
	;;#ASMSTART
	s_waitcnt lgkmcnt(0) vmcnt(0)
	;;#ASMEND
	s_and_saveexec_b64 s[56:57], vcc
	s_cbranch_execz .LBB17_1098
; %bb.1097:                             ;   in Loop: Header=BB17_47 Depth=1
	s_bcnt1_i32_b64 vcc_lo, s[58:59]
	v_mov_b32_e32 v50, vcc_lo
	ds_add_u64 v0, v[50:51]
	s_trap 2
.LBB17_1098:                            ;   in Loop: Header=BB17_47 Depth=1
	s_or_b64 exec, exec, s[56:57]
	s_trap 2
	ds_read_b64 v[0:1], v0
	v_lshl_add_u64 v[48:49], v[48:49], 0, v[32:33]
	s_waitcnt lgkmcnt(0)
	v_cmp_lt_u64_e32 vcc, v[0:1], v[48:49]
	s_and_saveexec_b64 s[56:57], vcc
	s_cbranch_execz .LBB17_1107
; %bb.1099:                             ;   in Loop: Header=BB17_47 Depth=1
	s_mov_b32 s68, 0
	s_mov_b64 s[58:59], 0
                                        ; implicit-def: $sgpr60_sgpr61
                                        ; implicit-def: $sgpr62_sgpr63
	s_branch .LBB17_1101
.LBB17_1100:                            ;   in Loop: Header=BB17_1101 Depth=2
	s_or_b64 exec, exec, s[66:67]
	s_and_b64 vcc, exec, vcc
	s_or_b64 s[58:59], vcc, s[58:59]
	s_andn2_b64 vcc, s[60:61], exec
	s_and_b64 s[60:61], s[62:63], exec
	s_or_b64 s[60:61], vcc, s[60:61]
	s_andn2_b64 exec, exec, s[58:59]
	s_cbranch_execz .LBB17_1105
.LBB17_1101:                            ;   Parent Loop BB17_47 Depth=1
                                        ; =>  This Inner Loop Header: Depth=2
	s_add_i32 s68, s68, 1
	s_cmpk_lg_i32 s68, 0x2710
	s_cselect_b64 s[64:65], -1, 0
	s_and_b64 vcc, exec, s[64:65]
                                        ; implicit-def: $sgpr66_sgpr67
	s_cbranch_vccnz .LBB17_1103
; %bb.1102:                             ;   in Loop: Header=BB17_1101 Depth=2
	s_trap 2
	ds_read_b64 v[0:1], v0
	s_andn2_b64 s[64:65], s[64:65], exec
	s_mov_b32 s68, 0
	s_mov_b64 s[66:67], -1
	s_waitcnt vmcnt(0) lgkmcnt(0)
	flat_load_dword v0, v[0:1] sc0 sc1
	s_waitcnt vmcnt(0) lgkmcnt(0)
	buffer_inv sc0 sc1
	v_cmp_eq_u32_e32 vcc, 0, v0
	s_and_b64 vcc, vcc, exec
	s_or_b64 s[64:65], s[64:65], vcc
.LBB17_1103:                            ;   in Loop: Header=BB17_1101 Depth=2
	s_andn2_b64 s[62:63], s[62:63], exec
	s_and_b64 s[66:67], s[66:67], exec
	s_mov_b64 vcc, -1
	s_or_b64 s[62:63], s[62:63], s[66:67]
	s_and_saveexec_b64 s[66:67], s[64:65]
	s_cbranch_execz .LBB17_1100
; %bb.1104:                             ;   in Loop: Header=BB17_1101 Depth=2
	s_sleep 1
	s_trap 2
	ds_read_b64 v[0:1], v0
	s_andn2_b64 s[62:63], s[62:63], exec
	s_waitcnt lgkmcnt(0)
	v_cmp_ge_u64_e32 vcc, v[0:1], v[48:49]
	s_orn2_b64 vcc, vcc, exec
	s_branch .LBB17_1100
.LBB17_1105:                            ;   in Loop: Header=BB17_47 Depth=1
	s_or_b64 exec, exec, s[58:59]
	s_and_saveexec_b64 vcc, s[60:61]
	s_xor_b64 vcc, exec, vcc
	s_cbranch_execz .LBB17_1107
; %bb.1106:                             ;   in Loop: Header=BB17_47 Depth=1
	ds_write_b32 v0, v24
	s_trap 2
.LBB17_1107:                            ;   in Loop: Header=BB17_47 Depth=1
	s_or_b64 exec, exec, s[56:57]
	;;#ASMSTART
	s_wakeup
	;;#ASMEND
.LBB17_1108:                            ;   in Loop: Header=BB17_47 Depth=1
	s_or_b64 exec, exec, s[54:55]
.LBB17_1109:                            ;   in Loop: Header=BB17_47 Depth=1
	s_andn2_saveexec_b64 vcc, s[30:31]
	s_cbranch_execz .LBB17_1111
; %bb.1110:                             ;   in Loop: Header=BB17_47 Depth=1
	;;#ASMSTART
	s_waitcnt lgkmcnt(0) vmcnt(0)
	;;#ASMEND
	s_barrier
.LBB17_1111:                            ;   in Loop: Header=BB17_47 Depth=1
	s_or_b64 exec, exec, vcc
.LBB17_1112:                            ;   in Loop: Header=BB17_47 Depth=1
	s_or_b64 exec, exec, s[24:25]
	v_and_b32_e32 v0, 32, v57
	v_cmp_ne_u32_e32 vcc, 0, v0
	s_and_saveexec_b64 s[24:25], vcc
	s_cbranch_execz .LBB17_1114
; %bb.1113:                             ;   in Loop: Header=BB17_47 Depth=1
	v_accvgpr_read_b32 v0, a10
	v_accvgpr_read_b32 v1, a11
	v_lshl_add_u64 v[0:1], v[0:1], 0, 4
	v_accvgpr_write_b32 a11, v1
	v_accvgpr_write_b32 a10, v0
	flat_store_dwordx2 v[46:47], v[0:1] sc0 sc1
.LBB17_1114:                            ;   in Loop: Header=BB17_47 Depth=1
	s_or_b64 exec, exec, s[24:25]
	v_mov_b32_e32 v6, v61
.LBB17_1115:                            ;   in Loop: Header=BB17_47 Depth=1
	s_or_b64 exec, exec, s[28:29]
	s_and_saveexec_b64 s[28:29], s[26:27]
	s_cbranch_execz .LBB17_46
; %bb.1116:                             ;   in Loop: Header=BB17_47 Depth=1
	v_and_b32_e32 v0, 4, v57
	v_cmp_ne_u32_e32 vcc, 0, v0
	s_mov_b64 s[26:27], -1
	s_and_saveexec_b64 s[24:25], vcc
	s_cbranch_execz .LBB17_1126
; %bb.1117:                             ;   in Loop: Header=BB17_47 Depth=1
	v_accvgpr_read_b32 v0, a10
	v_accvgpr_read_b32 v1, a11
	v_lshl_add_u64 v[0:1], v[0:1], 0, 4
	v_cmp_lt_u64_e32 vcc, v[38:39], v[0:1]
	v_mov_b32_e32 v2, 1
	s_and_saveexec_b64 s[26:27], vcc
	s_cbranch_execz .LBB17_1141
; %bb.1118:                             ;   in Loop: Header=BB17_47 Depth=1
	s_mov_b64 s[30:31], 0
	v_mov_b32_e32 v2, 0
                                        ; implicit-def: $sgpr54_sgpr55
	s_branch .LBB17_1122
.LBB17_1119:                            ;   in Loop: Header=BB17_1122 Depth=2
	s_or_b64 exec, exec, s[62:63]
	v_mov_b32_e32 v4, 0
	s_orn2_b64 s[60:61], s[60:61], exec
.LBB17_1120:                            ;   in Loop: Header=BB17_1122 Depth=2
	s_or_b64 exec, exec, s[58:59]
	s_andn2_b64 vcc, s[54:55], exec
	s_and_b64 s[54:55], s[60:61], exec
	s_or_b64 s[54:55], vcc, s[54:55]
	v_mov_b32_e32 v2, v4
.LBB17_1121:                            ;   in Loop: Header=BB17_1122 Depth=2
	s_or_b64 exec, exec, s[56:57]
	s_waitcnt vmcnt(0) lgkmcnt(0)
	v_cmp_ge_u64_e32 vcc, v[38:39], v[0:1]
	s_xor_b64 s[56:57], s[54:55], -1
	s_or_b64 vcc, s[56:57], vcc
	s_and_b64 vcc, exec, vcc
	s_or_b64 s[30:31], vcc, s[30:31]
	s_andn2_b64 exec, exec, s[30:31]
	s_cbranch_execz .LBB17_1140
.LBB17_1122:                            ;   Parent Loop BB17_47 Depth=1
                                        ; =>  This Inner Loop Header: Depth=2
	s_sleep 1
	flat_load_dwordx2 v[38:39], v[46:47] sc0 sc1
	v_and_b32_e32 v3, 64, v57
	v_cmp_eq_u32_e32 vcc, 0, v3
	s_andn2_b64 s[54:55], s[54:55], exec
	s_and_saveexec_b64 s[56:57], vcc
	s_cbranch_execz .LBB17_1121
; %bb.1123:                             ;   in Loop: Header=BB17_1122 Depth=2
	v_add_u32_e32 v4, 1, v2
	v_cmp_lt_i32_e32 vcc, s84, v2
	s_mov_b64 s[60:61], -1
	s_and_saveexec_b64 s[58:59], vcc
	s_cbranch_execz .LBB17_1120
; %bb.1124:                             ;   in Loop: Header=BB17_1122 Depth=2
	s_trap 2
	ds_read_b64 v[2:3], v0
	s_waitcnt vmcnt(0) lgkmcnt(0)
	flat_load_dword v2, v[2:3] sc0 sc1
	s_waitcnt vmcnt(0) lgkmcnt(0)
	buffer_inv sc0 sc1
	v_cmp_ne_u32_e32 vcc, 0, v2
	s_and_saveexec_b64 s[62:63], vcc
	s_cbranch_execz .LBB17_1119
; %bb.1125:                             ;   in Loop: Header=BB17_1122 Depth=2
	v_or_b32_e32 v57, 64, v57
	s_xor_b64 s[60:61], exec, -1
	ds_write_b32 v0, v2
	s_trap 2
	s_branch .LBB17_1119
.LBB17_1126:                            ;   in Loop: Header=BB17_47 Depth=1
	s_or_b64 exec, exec, s[24:25]
	s_xor_b64 s[24:25], s[26:27], -1
	s_and_saveexec_b64 s[26:27], s[24:25]
	s_cbranch_execz .LBB17_1142
.LBB17_1127:                            ;   in Loop: Header=BB17_47 Depth=1
	v_and_b32_e32 v0, 0x100, v57
	v_cmp_ne_u32_e32 vcc, 0, v0
	v_accvgpr_read_b32 v0, a10
	v_accvgpr_read_b32 v1, a11
	v_and_b32_e32 v2, 7, v0
	s_mov_b64 s[24:25], -1
                                        ; implicit-def: $vgpr0_vgpr1
	s_and_saveexec_b64 s[30:31], vcc
	s_cbranch_execz .LBB17_1131
; %bb.1128:                             ;   in Loop: Header=BB17_47 Depth=1
	v_accvgpr_read_b32 v0, a32
	v_accvgpr_read_b32 v1, a33
	v_mad_u64_u32 v[4:5], s[24:25], v2, 24, v[0:1]
	flat_load_dword v0, v[4:5]
	s_waitcnt vmcnt(0) lgkmcnt(0)
	v_cmp_ne_u32_e32 vcc, 1, v0
	v_cmp_eq_u32_e64 s[24:25], 1, v0
                                        ; implicit-def: $vgpr0_vgpr1
	s_and_saveexec_b64 s[54:55], s[24:25]
	s_cbranch_execz .LBB17_1130
; %bb.1129:                             ;   in Loop: Header=BB17_47 Depth=1
	flat_load_dword v0, v[4:5] offset:4 sc0 sc1
	s_waitcnt vmcnt(0) lgkmcnt(0)
	v_ashrrev_i32_e32 v1, 31, v0
	v_lshrrev_b64 v[0:1], 1, v[0:1]
.LBB17_1130:                            ;   in Loop: Header=BB17_47 Depth=1
	s_or_b64 exec, exec, s[54:55]
	s_orn2_b64 s[24:25], vcc, exec
.LBB17_1131:                            ;   in Loop: Header=BB17_47 Depth=1
	s_or_b64 exec, exec, s[30:31]
	s_and_saveexec_b64 vcc, s[24:25]
; %bb.1132:                             ;   in Loop: Header=BB17_47 Depth=1
	v_accvgpr_read_b32 v0, a20
	v_mad_i64_i32 v[0:1], s[24:25], v2, v0, 0
; %bb.1133:                             ;   in Loop: Header=BB17_47 Depth=1
	s_or_b64 exec, exec, vcc
	v_lshl_add_u64 v[0:1], v[0:1], 1, v[34:35]
	ds_write_b64 v0, v[0:1] offset:720
	v_and_b32_e32 v0, 0x2000, v57
	v_cmp_ne_u32_e32 vcc, 0, v0
	s_and_saveexec_b64 s[24:25], vcc
	s_cbranch_execz .LBB17_1135
; %bb.1134:                             ;   in Loop: Header=BB17_47 Depth=1
	ds_read_b64 v[0:1], v0 offset:584
	s_waitcnt lgkmcnt(0)
	v_lshl_add_u64 v[0:1], v[0:1], 0, 1
	ds_write_b64 v0, v[0:1] offset:584
.LBB17_1135:                            ;   in Loop: Header=BB17_47 Depth=1
	s_or_b64 exec, exec, s[24:25]
	v_accvgpr_read_b32 v0, a10
	v_accvgpr_read_b32 v1, a11
	v_lshl_add_u64 v[0:1], v[0:1], 0, 4
	v_accvgpr_write_b32 a11, v1
	v_accvgpr_write_b32 a10, v0
	s_or_b64 exec, exec, s[26:27]
	s_and_saveexec_b64 s[24:25], s[6:7]
	s_cbranch_execnz .LBB17_1143
.LBB17_1136:                            ;   in Loop: Header=BB17_47 Depth=1
	s_or_b64 exec, exec, s[24:25]
	s_and_saveexec_b64 s[24:25], s[22:23]
	s_xor_b64 s[24:25], exec, s[24:25]
	s_cbranch_execz .LBB17_1161
.LBB17_1137:                            ;   in Loop: Header=BB17_47 Depth=1
	s_trap 2
	ds_read_b32 v0, v0
	v_sub_u32_e32 v1, v60, v6
	v_min_i32_e32 v1, v61, v1
	v_cmp_lt_i32_e32 vcc, 0, v1
	s_waitcnt lgkmcnt(0)
	v_readfirstlane_b32 s26, v0
	s_cmp_eq_u32 s26, 0
	s_cselect_b64 s[26:27], -1, 0
	v_and_b32_e32 v0, 16, v57
	s_and_b64 s[26:27], vcc, s[26:27]
	v_cmp_ne_u32_e32 vcc, 0, v0
	s_and_b64 vcc, vcc, s[26:27]
	s_and_saveexec_b64 s[26:27], vcc
	s_cbranch_execz .LBB17_1139
; %bb.1138:                             ;   in Loop: Header=BB17_47 Depth=1
	buffer_wbl2 sc1
	s_waitcnt vmcnt(0)
	buffer_inv sc1
.LBB17_1139:                            ;   in Loop: Header=BB17_47 Depth=1
	s_or_b64 exec, exec, s[26:27]
	s_andn2_saveexec_b64 s[24:25], s[24:25]
	s_cbranch_execz .LBB17_1180
	s_branch .LBB17_1162
.LBB17_1140:                            ;   in Loop: Header=BB17_47 Depth=1
	s_or_b64 exec, exec, s[30:31]
	v_and_b32_e32 v2, 4, v57
.LBB17_1141:                            ;   in Loop: Header=BB17_47 Depth=1
	s_or_b64 exec, exec, s[26:27]
	v_cmp_eq_u32_e32 vcc, 0, v2
	s_orn2_b64 s[26:27], vcc, exec
	;;#ASMSTART
	s_wakeup
	;;#ASMEND
	s_or_b64 exec, exec, s[24:25]
	s_xor_b64 s[24:25], s[26:27], -1
	s_and_saveexec_b64 s[26:27], s[24:25]
	s_cbranch_execnz .LBB17_1127
.LBB17_1142:                            ;   in Loop: Header=BB17_47 Depth=1
	s_or_b64 exec, exec, s[26:27]
	s_and_saveexec_b64 s[24:25], s[6:7]
	s_cbranch_execz .LBB17_1136
.LBB17_1143:                            ;   in Loop: Header=BB17_47 Depth=1
	s_and_saveexec_b64 s[26:27], s[40:41]
	s_xor_b64 s[26:27], exec, s[26:27]
	s_cbranch_execz .LBB17_1158
; %bb.1144:                             ;   in Loop: Header=BB17_47 Depth=1
	s_and_saveexec_b64 s[30:31], s[14:15]
	s_cbranch_execz .LBB17_1157
; %bb.1145:                             ;   in Loop: Header=BB17_47 Depth=1
	s_mov_b64 s[56:57], exec
	v_mbcnt_lo_u32_b32 v0, s56, 0
	v_mbcnt_hi_u32_b32 v0, s57, v0
	v_cmp_eq_u32_e32 vcc, 0, v0
	s_waitcnt lgkmcnt(0)
	s_and_saveexec_b64 s[54:55], vcc
	s_cbranch_execz .LBB17_1147
; %bb.1146:                             ;   in Loop: Header=BB17_47 Depth=1
	s_bcnt1_i32_b64 vcc_lo, s[56:57]
	v_mov_b32_e32 v50, vcc_lo
	ds_add_u64 v0, v[50:51]
	s_trap 2
.LBB17_1147:                            ;   in Loop: Header=BB17_47 Depth=1
	s_or_b64 exec, exec, s[54:55]
	s_trap 2
	ds_read_b64 v[0:1], v0
	v_lshl_add_u64 v[48:49], v[48:49], 0, v[32:33]
	s_waitcnt lgkmcnt(0)
	v_cmp_lt_u64_e32 vcc, v[0:1], v[48:49]
	s_and_saveexec_b64 s[54:55], vcc
	s_cbranch_execz .LBB17_1156
; %bb.1148:                             ;   in Loop: Header=BB17_47 Depth=1
	s_mov_b32 s66, 0
	s_mov_b64 s[56:57], 0
                                        ; implicit-def: $sgpr58_sgpr59
                                        ; implicit-def: $sgpr60_sgpr61
	s_branch .LBB17_1150
.LBB17_1149:                            ;   in Loop: Header=BB17_1150 Depth=2
	s_or_b64 exec, exec, s[64:65]
	s_and_b64 vcc, exec, vcc
	s_or_b64 s[56:57], vcc, s[56:57]
	s_andn2_b64 vcc, s[58:59], exec
	s_and_b64 s[58:59], s[60:61], exec
	s_or_b64 s[58:59], vcc, s[58:59]
	s_andn2_b64 exec, exec, s[56:57]
	s_cbranch_execz .LBB17_1154
.LBB17_1150:                            ;   Parent Loop BB17_47 Depth=1
                                        ; =>  This Inner Loop Header: Depth=2
	s_add_i32 s66, s66, 1
	s_cmpk_lg_i32 s66, 0x2710
	s_cselect_b64 s[62:63], -1, 0
	s_and_b64 vcc, exec, s[62:63]
                                        ; implicit-def: $sgpr64_sgpr65
	s_cbranch_vccnz .LBB17_1152
; %bb.1151:                             ;   in Loop: Header=BB17_1150 Depth=2
	s_trap 2
	ds_read_b64 v[0:1], v0
	s_andn2_b64 s[62:63], s[62:63], exec
	s_mov_b32 s66, 0
	s_mov_b64 s[64:65], -1
	s_waitcnt vmcnt(0) lgkmcnt(0)
	flat_load_dword v0, v[0:1] sc0 sc1
	s_waitcnt vmcnt(0) lgkmcnt(0)
	buffer_inv sc0 sc1
	v_cmp_eq_u32_e32 vcc, 0, v0
	s_and_b64 vcc, vcc, exec
	s_or_b64 s[62:63], s[62:63], vcc
.LBB17_1152:                            ;   in Loop: Header=BB17_1150 Depth=2
	s_andn2_b64 s[60:61], s[60:61], exec
	s_and_b64 s[64:65], s[64:65], exec
	s_mov_b64 vcc, -1
	s_or_b64 s[60:61], s[60:61], s[64:65]
	s_and_saveexec_b64 s[64:65], s[62:63]
	s_cbranch_execz .LBB17_1149
; %bb.1153:                             ;   in Loop: Header=BB17_1150 Depth=2
	s_sleep 1
	s_trap 2
	ds_read_b64 v[0:1], v0
	s_andn2_b64 s[60:61], s[60:61], exec
	s_waitcnt lgkmcnt(0)
	v_cmp_ge_u64_e32 vcc, v[0:1], v[48:49]
	s_orn2_b64 vcc, vcc, exec
	s_branch .LBB17_1149
.LBB17_1154:                            ;   in Loop: Header=BB17_47 Depth=1
	s_or_b64 exec, exec, s[56:57]
	s_and_saveexec_b64 vcc, s[58:59]
	s_xor_b64 vcc, exec, vcc
	s_cbranch_execz .LBB17_1156
; %bb.1155:                             ;   in Loop: Header=BB17_47 Depth=1
	ds_write_b32 v0, v24
	s_trap 2
.LBB17_1156:                            ;   in Loop: Header=BB17_47 Depth=1
	s_or_b64 exec, exec, s[54:55]
	;;#ASMSTART
	s_wakeup
	;;#ASMEND
.LBB17_1157:                            ;   in Loop: Header=BB17_47 Depth=1
	s_or_b64 exec, exec, s[30:31]
.LBB17_1158:                            ;   in Loop: Header=BB17_47 Depth=1
	s_andn2_saveexec_b64 s[26:27], s[26:27]
	s_cbranch_execz .LBB17_1160
; %bb.1159:                             ;   in Loop: Header=BB17_47 Depth=1
	s_waitcnt lgkmcnt(0)
	s_barrier
.LBB17_1160:                            ;   in Loop: Header=BB17_47 Depth=1
	s_or_b64 exec, exec, s[26:27]
	s_or_b64 exec, exec, s[24:25]
	s_and_saveexec_b64 s[24:25], s[22:23]
	s_xor_b64 s[24:25], exec, s[24:25]
	s_cbranch_execnz .LBB17_1137
.LBB17_1161:                            ;   in Loop: Header=BB17_47 Depth=1
	s_andn2_saveexec_b64 s[24:25], s[24:25]
	s_cbranch_execz .LBB17_1180
.LBB17_1162:                            ;   in Loop: Header=BB17_47 Depth=1
	s_and_saveexec_b64 s[26:27], s[40:41]
	s_xor_b64 s[26:27], exec, s[26:27]
	s_cbranch_execz .LBB17_1177
; %bb.1163:                             ;   in Loop: Header=BB17_47 Depth=1
	s_and_saveexec_b64 s[30:31], s[14:15]
	s_cbranch_execz .LBB17_1176
; %bb.1164:                             ;   in Loop: Header=BB17_47 Depth=1
	s_mov_b64 s[56:57], exec
	v_mbcnt_lo_u32_b32 v0, s56, 0
	v_mbcnt_hi_u32_b32 v0, s57, v0
	v_cmp_eq_u32_e32 vcc, 0, v0
	;;#ASMSTART
	s_waitcnt lgkmcnt(0) vmcnt(0)
	;;#ASMEND
	s_and_saveexec_b64 s[54:55], vcc
	s_cbranch_execz .LBB17_1166
; %bb.1165:                             ;   in Loop: Header=BB17_47 Depth=1
	s_bcnt1_i32_b64 vcc_lo, s[56:57]
	v_mov_b32_e32 v50, vcc_lo
	ds_add_u64 v0, v[50:51]
	s_trap 2
.LBB17_1166:                            ;   in Loop: Header=BB17_47 Depth=1
	s_or_b64 exec, exec, s[54:55]
	s_trap 2
	ds_read_b64 v[0:1], v0
	v_lshl_add_u64 v[48:49], v[48:49], 0, v[32:33]
	s_waitcnt lgkmcnt(0)
	v_cmp_lt_u64_e32 vcc, v[0:1], v[48:49]
	s_and_saveexec_b64 s[54:55], vcc
	s_cbranch_execz .LBB17_1175
; %bb.1167:                             ;   in Loop: Header=BB17_47 Depth=1
	s_mov_b32 s66, 0
	s_mov_b64 s[56:57], 0
                                        ; implicit-def: $sgpr58_sgpr59
                                        ; implicit-def: $sgpr60_sgpr61
	s_branch .LBB17_1169
.LBB17_1168:                            ;   in Loop: Header=BB17_1169 Depth=2
	s_or_b64 exec, exec, s[64:65]
	s_and_b64 vcc, exec, vcc
	s_or_b64 s[56:57], vcc, s[56:57]
	s_andn2_b64 vcc, s[58:59], exec
	s_and_b64 s[58:59], s[60:61], exec
	s_or_b64 s[58:59], vcc, s[58:59]
	s_andn2_b64 exec, exec, s[56:57]
	s_cbranch_execz .LBB17_1173
.LBB17_1169:                            ;   Parent Loop BB17_47 Depth=1
                                        ; =>  This Inner Loop Header: Depth=2
	s_add_i32 s66, s66, 1
	s_cmpk_lg_i32 s66, 0x2710
	s_cselect_b64 s[62:63], -1, 0
	s_and_b64 vcc, exec, s[62:63]
                                        ; implicit-def: $sgpr64_sgpr65
	s_cbranch_vccnz .LBB17_1171
; %bb.1170:                             ;   in Loop: Header=BB17_1169 Depth=2
	s_trap 2
	ds_read_b64 v[0:1], v0
	s_andn2_b64 s[62:63], s[62:63], exec
	s_mov_b32 s66, 0
	s_mov_b64 s[64:65], -1
	s_waitcnt vmcnt(0) lgkmcnt(0)
	flat_load_dword v0, v[0:1] sc0 sc1
	s_waitcnt vmcnt(0) lgkmcnt(0)
	buffer_inv sc0 sc1
	v_cmp_eq_u32_e32 vcc, 0, v0
	s_and_b64 vcc, vcc, exec
	s_or_b64 s[62:63], s[62:63], vcc
.LBB17_1171:                            ;   in Loop: Header=BB17_1169 Depth=2
	s_andn2_b64 s[60:61], s[60:61], exec
	s_and_b64 s[64:65], s[64:65], exec
	s_mov_b64 vcc, -1
	s_or_b64 s[60:61], s[60:61], s[64:65]
	s_and_saveexec_b64 s[64:65], s[62:63]
	s_cbranch_execz .LBB17_1168
; %bb.1172:                             ;   in Loop: Header=BB17_1169 Depth=2
	s_sleep 1
	s_trap 2
	ds_read_b64 v[0:1], v0
	s_andn2_b64 s[60:61], s[60:61], exec
	s_waitcnt lgkmcnt(0)
	v_cmp_ge_u64_e32 vcc, v[0:1], v[48:49]
	s_orn2_b64 vcc, vcc, exec
	s_branch .LBB17_1168
.LBB17_1173:                            ;   in Loop: Header=BB17_47 Depth=1
	s_or_b64 exec, exec, s[56:57]
	s_and_saveexec_b64 vcc, s[58:59]
	s_xor_b64 vcc, exec, vcc
	s_cbranch_execz .LBB17_1175
; %bb.1174:                             ;   in Loop: Header=BB17_47 Depth=1
	ds_write_b32 v0, v24
	s_trap 2
.LBB17_1175:                            ;   in Loop: Header=BB17_47 Depth=1
	s_or_b64 exec, exec, s[54:55]
	;;#ASMSTART
	s_wakeup
	;;#ASMEND
.LBB17_1176:                            ;   in Loop: Header=BB17_47 Depth=1
	s_or_b64 exec, exec, s[30:31]
.LBB17_1177:                            ;   in Loop: Header=BB17_47 Depth=1
	s_andn2_saveexec_b64 s[26:27], s[26:27]
	s_cbranch_execz .LBB17_1179
; %bb.1178:                             ;   in Loop: Header=BB17_47 Depth=1
	;;#ASMSTART
	s_waitcnt lgkmcnt(0) vmcnt(0)
	;;#ASMEND
	s_barrier
.LBB17_1179:                            ;   in Loop: Header=BB17_47 Depth=1
	s_or_b64 exec, exec, s[26:27]
.LBB17_1180:                            ;   in Loop: Header=BB17_47 Depth=1
	s_or_b64 exec, exec, s[24:25]
	v_and_b32_e32 v0, 32, v57
	v_cmp_ne_u32_e32 vcc, 0, v0
	s_and_saveexec_b64 s[24:25], vcc
	s_cbranch_execz .LBB17_45
; %bb.1181:                             ;   in Loop: Header=BB17_47 Depth=1
	v_accvgpr_read_b32 v0, a10
	v_accvgpr_read_b32 v1, a11
	v_lshl_add_u64 v[0:1], v[0:1], 0, 4
	v_accvgpr_write_b32 a11, v1
	v_accvgpr_write_b32 a10, v0
	flat_store_dwordx2 v[46:47], v[0:1] sc0 sc1
	s_branch .LBB17_45
.LBB17_1182:
	s_or_b64 exec, exec, s[38:39]
	scratch_load_dwordx2 v[4:5], off, s33 offset:268 ; 8-byte Folded Reload
.LBB17_1183:
	s_or_b64 exec, exec, s[36:37]
	v_and_b32_e32 v0, 0x800, v57
	v_cmp_eq_u32_e32 vcc, 0, v0
	s_and_saveexec_b64 s[0:1], vcc
	s_cbranch_execz .LBB17_1218
; %bb.1184:
	v_and_b32_e32 v0, 48, v57
	v_cmp_ne_u32_e32 vcc, 0, v0
	s_and_saveexec_b64 s[2:3], vcc
	s_cbranch_execz .LBB17_1186
; %bb.1185:
	s_waitcnt vmcnt(0)
	flat_store_dwordx2 v[4:5], a[10:11] offset:104
.LBB17_1186:
	s_or_b64 exec, exec, s[2:3]
	s_movk_i32 s2, 0x88
	v_and_b32_e32 v0, 0x88, v57
	v_cmp_eq_u32_e32 vcc, s2, v0
	s_and_saveexec_b64 s[2:3], vcc
	s_cbranch_execz .LBB17_1198
; %bb.1187:
	v_accvgpr_read_b32 v0, a10
	v_and_b32_e32 v0, 7, v0
	v_accvgpr_read_b32 v2, a32
	v_xor_b32_e32 v0, 4, v0
	v_accvgpr_read_b32 v3, a33
	v_mad_u64_u32 v[0:1], s[4:5], v0, 24, v[2:3]
	v_lshl_add_u64 v[0:1], v[0:1], 0, 8
	s_mov_b64 s[4:5], 0
	v_mov_b32_e32 v2, 0
	s_movk_i32 s20, 0x270e
                                        ; implicit-def: $sgpr6_sgpr7
	s_branch .LBB17_1192
.LBB17_1188:                            ;   in Loop: Header=BB17_1192 Depth=1
	s_or_b64 exec, exec, s[18:19]
	v_mov_b32_e32 v3, 0
	s_orn2_b64 s[16:17], s[16:17], exec
.LBB17_1189:                            ;   in Loop: Header=BB17_1192 Depth=1
	s_or_b64 exec, exec, s[14:15]
	s_and_b64 s[14:15], s[16:17], exec
	v_mov_b32_e32 v2, v3
.LBB17_1190:                            ;   in Loop: Header=BB17_1192 Depth=1
	s_or_b64 exec, exec, s[12:13]
	s_xor_b64 s[12:13], s[14:15], -1
	s_andn2_b64 s[6:7], s[6:7], exec
	s_and_b64 s[12:13], s[12:13], exec
	s_or_b64 s[6:7], s[6:7], s[12:13]
.LBB17_1191:                            ;   in Loop: Header=BB17_1192 Depth=1
	s_or_b64 exec, exec, s[10:11]
	s_and_b64 s[10:11], exec, s[6:7]
	s_or_b64 s[4:5], s[10:11], s[4:5]
	s_andn2_b64 exec, exec, s[4:5]
	s_cbranch_execz .LBB17_1197
.LBB17_1192:                            ; =>This Inner Loop Header: Depth=1
	s_waitcnt vmcnt(0)
	flat_load_dwordx2 v[4:5], v[0:1] sc0 sc1
	s_waitcnt vmcnt(0)
	s_or_b64 s[6:7], s[6:7], exec
	s_waitcnt lgkmcnt(0)
	v_cmp_ne_u64_e32 vcc, -1, v[4:5]
	s_and_saveexec_b64 s[10:11], vcc
	s_cbranch_execz .LBB17_1191
; %bb.1193:                             ;   in Loop: Header=BB17_1192 Depth=1
	v_and_b32_e32 v3, 64, v57
	v_cmp_eq_u32_e32 vcc, 0, v3
	s_mov_b64 s[14:15], 0
	s_and_saveexec_b64 s[12:13], vcc
	s_cbranch_execz .LBB17_1190
; %bb.1194:                             ;   in Loop: Header=BB17_1192 Depth=1
	v_add_u32_e32 v3, 1, v2
	v_cmp_lt_i32_e32 vcc, s20, v2
	s_mov_b64 s[16:17], -1
	s_and_saveexec_b64 s[14:15], vcc
	s_cbranch_execz .LBB17_1189
; %bb.1195:                             ;   in Loop: Header=BB17_1192 Depth=1
	s_trap 2
	ds_read_b64 v[2:3], v0
	s_waitcnt lgkmcnt(0)
	flat_load_dword v2, v[2:3] sc0 sc1
	s_waitcnt vmcnt(0) lgkmcnt(0)
	buffer_inv sc0 sc1
	v_cmp_ne_u32_e32 vcc, 0, v2
	s_and_saveexec_b64 s[18:19], vcc
	s_cbranch_execz .LBB17_1188
; %bb.1196:                             ;   in Loop: Header=BB17_1192 Depth=1
	v_or_b32_e32 v57, 64, v57
	s_xor_b64 s[16:17], exec, -1
	ds_write_b32 v0, v2
	s_trap 2
	s_branch .LBB17_1188
.LBB17_1197:
	s_or_b64 exec, exec, s[4:5]
.LBB17_1198:
	s_or_b64 exec, exec, s[2:3]
	v_and_b32_e32 v0, 0x2000, v57
	v_cmp_ne_u32_e32 vcc, 0, v0
	s_and_saveexec_b64 s[2:3], vcc
	s_cbranch_execz .LBB17_1200
; %bb.1199:
	s_trap 2
	scratch_load_dwordx2 v[2:3], off, s33 offset:324 ; 8-byte Folded Reload
	ds_read_b64 v[0:1], v0
	s_waitcnt vmcnt(0) lgkmcnt(0)
	flat_store_dwordx2 v[2:3], v[0:1] offset:16
.LBB17_1200:
	s_or_b64 exec, exec, s[2:3]
	scratch_load_dword v0, off, s33 offset:264 ; 4-byte Folded Reload
	s_waitcnt vmcnt(0)
	v_cmp_ne_u32_e32 vcc, 64, v0
	s_and_b64 exec, exec, vcc
	s_cbranch_execz .LBB17_1218
; %bb.1201:
	scratch_load_dword v1, off, s33 offset:280 ; 4-byte Folded Reload
	scratch_load_dword v0, off, s33 offset:264 ; 4-byte Folded Reload
	s_waitcnt vmcnt(0)
	v_cmp_ne_u32_sdwa s[2:3], v1, v0 src0_sel:WORD_0 src1_sel:DWORD
	s_and_saveexec_b64 s[4:5], s[2:3]
	s_xor_b64 s[2:3], exec, s[4:5]
	s_cbranch_execz .LBB17_1216
; %bb.1202:
	scratch_load_dword v0, off, s33 offset:276 ; 4-byte Folded Reload
	s_waitcnt vmcnt(0)
	v_and_b32_e32 v0, 63, v0
	v_cmp_eq_u32_e32 vcc, 0, v0
	s_and_saveexec_b64 s[4:5], vcc
	s_cbranch_execz .LBB17_1215
; %bb.1203:
	s_mov_b64 s[10:11], exec
	v_mbcnt_lo_u32_b32 v0, s10, 0
	v_mbcnt_hi_u32_b32 v0, s11, v0
	v_cmp_eq_u32_e32 vcc, 0, v0
	s_waitcnt lgkmcnt(0)
	s_and_saveexec_b64 s[6:7], vcc
	s_cbranch_execz .LBB17_1205
; %bb.1204:
	s_bcnt1_i32_b64 s10, s[10:11]
	v_mov_b32_e32 v0, s10
	v_mov_b32_e32 v1, 0
	ds_add_u64 v0, v[0:1]
	s_trap 2
.LBB17_1205:
	s_or_b64 exec, exec, s[6:7]
	scratch_load_dword v1, off, s33 offset:264 ; 4-byte Folded Reload
	s_trap 2
	s_waitcnt vmcnt(0)
	v_ashrrev_i32_e32 v0, 31, v1
	v_lshrrev_b32_e32 v0, 26, v0
	ds_read_b64 v[2:3], v0
	v_add_u32_e32 v0, v1, v0
	v_ashrrev_i32_e32 v0, 6, v0
	v_ashrrev_i32_e32 v1, 31, v0
	v_lshl_add_u64 v[0:1], v[48:49], 0, v[0:1]
	s_waitcnt lgkmcnt(0)
	v_cmp_lt_u64_e32 vcc, v[2:3], v[0:1]
	s_and_saveexec_b64 s[6:7], vcc
	s_cbranch_execz .LBB17_1214
; %bb.1206:
	s_mov_b32 s22, 0
	s_mov_b64 s[10:11], 0
                                        ; implicit-def: $sgpr12_sgpr13
                                        ; implicit-def: $sgpr14_sgpr15
	s_branch .LBB17_1208
.LBB17_1207:                            ;   in Loop: Header=BB17_1208 Depth=1
	s_or_b64 exec, exec, s[20:21]
	s_and_b64 s[16:17], exec, s[18:19]
	s_or_b64 s[10:11], s[16:17], s[10:11]
	s_andn2_b64 s[12:13], s[12:13], exec
	s_and_b64 s[16:17], s[14:15], exec
	s_or_b64 s[12:13], s[12:13], s[16:17]
	s_andn2_b64 exec, exec, s[10:11]
	s_cbranch_execz .LBB17_1212
.LBB17_1208:                            ; =>This Inner Loop Header: Depth=1
	s_add_i32 s22, s22, 1
	s_cmpk_lg_i32 s22, 0x2710
	s_cselect_b64 s[16:17], -1, 0
	s_and_b64 vcc, exec, s[16:17]
                                        ; implicit-def: $sgpr20_sgpr21
	s_cbranch_vccnz .LBB17_1210
; %bb.1209:                             ;   in Loop: Header=BB17_1208 Depth=1
	s_trap 2
	ds_read_b64 v[2:3], v0
	s_andn2_b64 s[16:17], s[16:17], exec
	s_mov_b32 s22, 0
	s_mov_b64 s[20:21], -1
	s_waitcnt lgkmcnt(0)
	flat_load_dword v2, v[2:3] sc0 sc1
	s_waitcnt vmcnt(0) lgkmcnt(0)
	buffer_inv sc0 sc1
	v_cmp_eq_u32_e32 vcc, 0, v2
	s_and_b64 s[18:19], vcc, exec
	s_or_b64 s[16:17], s[16:17], s[18:19]
.LBB17_1210:                            ;   in Loop: Header=BB17_1208 Depth=1
	s_andn2_b64 s[14:15], s[14:15], exec
	s_and_b64 s[20:21], s[20:21], exec
	s_mov_b64 s[18:19], -1
	s_or_b64 s[14:15], s[14:15], s[20:21]
	s_and_saveexec_b64 s[20:21], s[16:17]
	s_cbranch_execz .LBB17_1207
; %bb.1211:                             ;   in Loop: Header=BB17_1208 Depth=1
	s_sleep 1
	s_trap 2
	ds_read_b64 v[2:3], v0
	s_andn2_b64 s[14:15], s[14:15], exec
	s_waitcnt lgkmcnt(0)
	v_cmp_ge_u64_e32 vcc, v[2:3], v[0:1]
	s_orn2_b64 s[18:19], vcc, exec
	s_branch .LBB17_1207
.LBB17_1212:
	s_or_b64 exec, exec, s[10:11]
	s_and_saveexec_b64 s[10:11], s[12:13]
	s_xor_b64 s[10:11], exec, s[10:11]
	s_cbranch_execz .LBB17_1214
; %bb.1213:
	v_mov_b32_e32 v0, 1
	ds_write_b32 v0, v0
	s_trap 2
.LBB17_1214:
	s_or_b64 exec, exec, s[6:7]
	;;#ASMSTART
	s_wakeup
	;;#ASMEND
.LBB17_1215:
	s_or_b64 exec, exec, s[4:5]
.LBB17_1216:
	s_andn2_saveexec_b64 s[2:3], s[2:3]
	s_cbranch_execz .LBB17_1218
; %bb.1217:
	s_waitcnt lgkmcnt(0)
	s_barrier
.LBB17_1218:
	s_or_b64 exec, exec, s[0:1]
.LBB17_1219:
	s_andn2_saveexec_b64 s[22:23], s[34:35]
	s_cbranch_execz .LBB17_1221
; %bb.1220:
	s_getpc_b64 s[0:1]
	s_add_u32 s0, s0, __PRETTY_FUNCTION__._ZN10PrimitivesI6__half8FuncProdIS0_E12FanSymmetricILi1EELi0E11ProtoSimpleILi1ELi4ELi1ELi4ELi0ELi0EELi0ELb0ELi0ELi0ELi1EEC2EiiPKiS9_PKvPvmhhhP15ncclDevWorkCollP14ncclDevWorkP2pii@rel32@lo+4
	s_addc_u32 s1, s1, __PRETTY_FUNCTION__._ZN10PrimitivesI6__half8FuncProdIS0_E12FanSymmetricILi1EELi0E11ProtoSimpleILi1ELi4ELi1ELi4ELi0ELi0EELi0ELb0ELi0ELi0ELi1EEC2EiiPKiS9_PKvPvmhhhP15ncclDevWorkCollP14ncclDevWorkP2pii@rel32@hi+12
	v_mov_b32_e32 v0, s0
	v_mov_b32_e32 v1, s1
	s_getpc_b64 s[2:3]
	s_add_u32 s2, s2, __assert_fail@rel32@lo+4
	s_addc_u32 s3, s3, __assert_fail@rel32@hi+12
	s_swappc_b64 s[30:31], s[2:3]
	; divergent unreachable
.LBB17_1221:
	s_or_b64 exec, exec, s[22:23]
	scratch_load_dword a63, off, s33        ; 4-byte Folded Reload
	scratch_load_dword a62, off, s33 offset:4 ; 4-byte Folded Reload
	scratch_load_dword a61, off, s33 offset:8 ; 4-byte Folded Reload
	;; [unrolled: 1-line block ×41, first 2 shown]
	s_waitcnt lgkmcnt(0)
	scratch_load_dword v43, off, s33 offset:168 ; 4-byte Folded Reload
	scratch_load_dword v42, off, s33 offset:172 ; 4-byte Folded Reload
	;; [unrolled: 1-line block ×4, first 2 shown]
	v_readlane_b32 s30, v62, 1
	v_readlane_b32 s31, v62, 2
	;; [unrolled: 1-line block ×68, first 2 shown]
	s_or_saveexec_b64 s[2:3], -1
	scratch_load_dword v63, off, s33 offset:332 ; 4-byte Folded Reload
	scratch_load_dword v62, off, s33 offset:336 ; 4-byte Folded Reload
	s_mov_b64 exec, s[2:3]
	s_addk_i32 s32, 0xfea0
	s_mov_b32 s33, s0
	s_waitcnt vmcnt(0)
	s_setpc_b64 s[30:31]
.Lfunc_end17:
	.size	_ZN12_GLOBAL__N_17runRingI6__half8FuncProdIS1_E11ProtoSimpleILi1ELi4ELi1ELi4ELi0ELi0EELi0ELi1ELi4ELi0EEEviiP15ncclDevWorkColl, .Lfunc_end17-_ZN12_GLOBAL__N_17runRingI6__half8FuncProdIS1_E11ProtoSimpleILi1ELi4ELi1ELi4ELi0ELi0EELi0ELi1ELi4ELi0EEEviiP15ncclDevWorkColl
                                        ; -- End function
	.section	.AMDGPU.csdata,"",@progbits
; Function info:
; codeLenInByte = 53160
; NumSgprs: 105
; NumVgprs: 64
; NumAgprs: 64
; TotalNumVgprs: 128
; ScratchSize: 416
; MemoryBound: 1
	.text
	.p2align	2                               ; -- Begin function _ZN12_GLOBAL__N_17runRingI6__half8FuncProdIS1_E11ProtoSimpleILi2ELi2ELi1ELi4ELi0ELi0EELi0ELi1ELi4ELi0EEEviiP15ncclDevWorkColl
	.type	_ZN12_GLOBAL__N_17runRingI6__half8FuncProdIS1_E11ProtoSimpleILi2ELi2ELi1ELi4ELi0ELi0EELi0ELi1ELi4ELi0EEEviiP15ncclDevWorkColl,@function
_ZN12_GLOBAL__N_17runRingI6__half8FuncProdIS1_E11ProtoSimpleILi2ELi2ELi1ELi4ELi0ELi0EELi0ELi1ELi4ELi0EEEviiP15ncclDevWorkColl: ; @_ZN12_GLOBAL__N_17runRingI6__half8FuncProdIS1_E11ProtoSimpleILi2ELi2ELi1ELi4ELi0ELi0EELi0ELi1ELi4ELi0EEEviiP15ncclDevWorkColl
; %bb.0:
	s_waitcnt vmcnt(0) expcnt(0) lgkmcnt(0)
	s_mov_b32 s0, s33
	s_mov_b32 s33, s32
	s_or_saveexec_b64 s[2:3], -1
	scratch_store_dword off, v63, s33 offset:328 ; 4-byte Folded Spill
	scratch_store_dword off, v62, s33 offset:332 ; 4-byte Folded Spill
	s_mov_b64 exec, s[2:3]
	v_writelane_b32 v62, s0, 4
	s_addk_i32 s32, 0x160
	scratch_store_dword off, v40, s33 offset:180 ; 4-byte Folded Spill
	scratch_store_dword off, v41, s33 offset:176 ; 4-byte Folded Spill
	;; [unrolled: 1-line block ×45, first 2 shown]
	scratch_store_dword off, a63, s33       ; 4-byte Folded Spill
	v_writelane_b32 v63, s34, 0
	v_writelane_b32 v63, s35, 1
	;; [unrolled: 1-line block ×67, first 2 shown]
	s_nop 1
	v_writelane_b32 v62, s31, 3
	scratch_store_dword off, v31, s33 offset:312 ; 4-byte Folded Spill
	scratch_store_dword off, v1, s33 offset:300 ; 4-byte Folded Spill
	s_trap 2
	flat_load_dword v5, v[2:3]
	ds_read_b32 v6, v0
	v_mov_b32_e32 v56, v0
                                        ; implicit-def: $vgpr8_vgpr9
                                        ; implicit-def: $vgpr0_vgpr1
                                        ; kill: killed $vgpr8_vgpr9
                                        ; implicit-def: $vgpr8_vgpr9
	scratch_store_dwordx4 off, v[8:11], s33 offset:260 ; 16-byte Folded Spill
	s_waitcnt lgkmcnt(0)
	v_readfirstlane_b32 s72, v6
	s_waitcnt vmcnt(0)
	v_cmp_ne_u32_sdwa s[0:1], v5, v6 src0_sel:BYTE_0 src1_sel:DWORD
	s_and_saveexec_b64 s[2:3], s[0:1]
	s_xor_b64 s[0:1], exec, s[2:3]
	s_cbranch_execz .LBB18_6
; %bb.1:
	v_not_b32_sdwa v4, v5 dst_sel:DWORD dst_unused:UNUSED_PAD src0_sel:BYTE_0
	v_cmp_ne_u32_sdwa s[2:3], v5, v6 src0_sel:BYTE_1 src1_sel:DWORD
                                        ; implicit-def: $vgpr8_vgpr9
                                        ; implicit-def: $vgpr0_vgpr1
                                        ; kill: killed $vgpr8_vgpr9
                                        ; implicit-def: $vgpr8_vgpr9
	scratch_store_dwordx4 off, v[8:11], s33 offset:260 ; 16-byte Folded Spill
	s_and_saveexec_b64 s[4:5], s[2:3]
	s_xor_b64 s[2:3], exec, s[4:5]
	s_cbranch_execz .LBB18_3
; %bb.2:
	flat_load_dwordx4 v[8:11], v[2:3] offset:72
	flat_load_dwordx2 v[0:1], v[2:3] offset:96
	v_add_u32_e32 v4, v6, v4
	v_ashrrev_i32_e32 v5, 31, v4
	s_waitcnt vmcnt(0) lgkmcnt(0)
	v_mul_lo_u32 v5, v10, v5
	v_mad_u64_u32 v[6:7], s[4:5], v10, v4, v[8:9]
	v_mul_lo_u32 v4, v11, v4
	v_add3_u32 v7, v4, v7, v5
	v_mov_b64_e32 v[4:5], v[10:11]
	v_lshrrev_b64 v[0:1], 13, v[0:1]
	scratch_store_dwordx2 off, v[6:7], s33 offset:276 ; 8-byte Folded Spill
	scratch_store_dwordx4 off, v[4:7], s33 offset:260 ; 16-byte Folded Spill
                                        ; implicit-def: $vgpr5
                                        ; implicit-def: $vgpr4
.LBB18_3:
	s_andn2_saveexec_b64 s[2:3], s[2:3]
	s_cbranch_execz .LBB18_5
; %bb.4:
	flat_load_dwordx4 v[6:9], v[2:3] offset:72
	flat_load_dwordx4 v[10:13], v[2:3] offset:88
	v_add_u32_sdwa v0, v5, v4 dst_sel:DWORD dst_unused:UNUSED_PAD src0_sel:BYTE_1 src1_sel:DWORD
	v_ashrrev_i32_e32 v1, 31, v0
	s_waitcnt vmcnt(0) lgkmcnt(0)
	v_mul_lo_u32 v1, v8, v1
	v_mad_u64_u32 v[4:5], s[4:5], v8, v0, v[6:7]
	v_mul_lo_u32 v0, v9, v0
	v_add3_u32 v5, v0, v5, v1
	v_lshrrev_b32_e32 v0, 2, v13
	scratch_store_dwordx2 off, v[4:5], s33 offset:276 ; 8-byte Folded Spill
	scratch_store_dwordx4 off, v[10:13], s33 offset:260 ; 16-byte Folded Spill
.LBB18_5:
	s_or_b64 exec, exec, s[2:3]
.LBB18_6:
	s_andn2_saveexec_b64 s[0:1], s[0:1]
	s_cbranch_execz .LBB18_8
; %bb.7:
	flat_load_dwordx2 v[0:1], v[2:3] offset:96
	flat_load_dwordx2 v[4:5], v[2:3] offset:72
	s_waitcnt vmcnt(0) lgkmcnt(0)
	v_lshlrev_b64 v[0:1], 8, v[0:1]
	scratch_store_dwordx4 off, v[4:7], s33 offset:260 ; 16-byte Folded Spill
	s_nop 1
	v_mov_b64_e32 v[4:5], 0
	scratch_store_dwordx2 off, v[4:5], s33 offset:276 ; 8-byte Folded Spill
.LBB18_8:
	s_or_b64 exec, exec, s[0:1]
	s_trap 2
	ds_read_b64 v[4:5], v0
	s_waitcnt lgkmcnt(0)
	v_cmp_ne_u32_e32 vcc, -1, v4
	s_nop 1
	v_cndmask_b32_e64 v14, 0, 1, vcc
	v_cmp_ne_u32_e32 vcc, -1, v5
	scratch_load_dword v5, off, s33 offset:300 ; 4-byte Folded Reload
	s_nop 0
	v_addc_co_u32_e64 v1, s[0:1], 0, v14, vcc
	v_lshlrev_b32_e32 v4, 1, v1
	s_waitcnt vmcnt(0)
	v_cmp_le_i32_e64 s[0:1], v4, v5
	s_and_saveexec_b64 s[2:3], s[0:1]
	s_xor_b64 s[30:31], exec, s[2:3]
	s_cbranch_execz .LBB18_1244
; %bb.9:
	flat_load_dwordx2 v[4:5], v[2:3] offset:104
	flat_load_dwordx4 v[10:13], v[2:3] offset:16
	flat_load_ushort v9, v[2:3] offset:8
	flat_load_dword v8, v[2:3] offset:4
	s_trap 2
	s_load_dword s0, s[8:9], 0x0
	v_mov_b32_e32 v6, 0
	v_mov_b32_e32 v57, 4
	s_waitcnt lgkmcnt(0)
	s_cmp_lt_u32 s12, s0
	s_cselect_b32 s0, 12, 18
	s_add_u32 s0, s8, s0
	s_addc_u32 s1, s9, 0
	global_load_ushort v6, v6, s[0:1]
	v_cmp_ge_i32_e64 s[0:1], v56, v14
	s_waitcnt vmcnt(0)
	scratch_store_dword off, v6, s33 offset:316 ; 4-byte Folded Spill
	ds_read_b32 v6, v0
	s_waitcnt lgkmcnt(0)
	v_readfirstlane_b32 s14, v6
	s_and_saveexec_b64 s[2:3], s[0:1]
	s_cbranch_execz .LBB18_19
; %bb.10:
	v_cmp_le_u32_e64 s[0:1], v1, v56
                                        ; implicit-def: $vgpr57
	s_and_saveexec_b64 s[4:5], s[0:1]
	s_xor_b64 s[0:1], exec, s[4:5]
	s_cbranch_execz .LBB18_16
; %bb.11:
	scratch_load_dword v7, off, s33 offset:300 ; 4-byte Folded Reload
	v_cndmask_b32_e64 v6, 0, 1, vcc
                                        ; implicit-def: $sgpr6
	s_waitcnt vmcnt(0)
	v_sub_u32_e32 v6, v7, v6
	v_cmp_ge_u32_e32 vcc, v56, v6
	s_and_saveexec_b64 s[4:5], vcc
	s_xor_b64 s[4:5], exec, s[4:5]
; %bb.12:
	s_mov_b32 s6, 16
                                        ; implicit-def: $vgpr1
; %bb.13:
	s_or_saveexec_b64 s[4:5], s[4:5]
	v_mov_b32_e32 v57, s6
	s_xor_b64 exec, exec, s[4:5]
	s_cbranch_execz .LBB18_15
; %bb.14:
	scratch_load_dword v6, off, s33 offset:300 ; 4-byte Folded Reload
	s_waitcnt vmcnt(0)
	v_sub_u32_e32 v1, v6, v1
	v_cmp_ge_i32_e32 vcc, v56, v1
	s_nop 1
	v_cndmask_b32_e64 v1, 0, 1, vcc
	v_lshlrev_b32_e32 v57, 5, v1
.LBB18_15:
	s_or_b64 exec, exec, s[4:5]
.LBB18_16:
	s_andn2_saveexec_b64 s[0:1], s[0:1]
; %bb.17:
	v_mov_b32_e32 v57, 8
; %bb.18:
	s_or_b64 exec, exec, s[0:1]
.LBB18_19:
	s_or_b64 exec, exec, s[2:3]
	v_and_b32_e32 v1, 36, v57
	v_cmp_ne_u32_e32 vcc, 0, v1
	v_mov_b32_e32 v6, -1
	s_and_saveexec_b64 s[0:1], vcc
	s_cbranch_execz .LBB18_21
; %bb.20:
	s_trap 2
	ds_read_b32 v6, v0
.LBB18_21:
	s_or_b64 exec, exec, s[0:1]
	v_and_b32_e32 v1, 24, v57
	v_cmp_ne_u32_e64 s[0:1], 0, v1
	s_and_saveexec_b64 s[2:3], s[0:1]
	s_cbranch_execz .LBB18_23
; %bb.22:
	s_trap 2
	s_waitcnt lgkmcnt(0)
	ds_read_b32 v6, v0
.LBB18_23:
	s_or_b64 exec, exec, s[2:3]
	v_lshrrev_b64 v[8:9], 31, v[8:9]
	v_and_b32_e32 v1, 3, v8
	v_mov_b64_e32 v[8:9], 0
	v_accvgpr_write_b32 a17, v9
                                        ; implicit-def: $vgpr16_vgpr17
	v_accvgpr_write_b32 a16, v8
                                        ; kill: killed $vgpr16_vgpr17
                                        ; implicit-def: $vgpr54
                                        ; implicit-def: $vgpr16_vgpr17
	scratch_store_dwordx2 off, v[8:9], s33 offset:304 ; 8-byte Folded Spill
                                        ; implicit-def: $vgpr48_vgpr49
                                        ; implicit-def: $vgpr40_vgpr41
                                        ; implicit-def: $vgpr58_vgpr59
	s_and_saveexec_b64 s[0:1], vcc
	s_cbranch_execz .LBB18_33
; %bb.24:
	s_trap 2
	ds_read_b64 v[8:9], v0
	s_waitcnt lgkmcnt(1)
	v_ashrrev_i32_e32 v7, 31, v6
	s_movk_i32 s2, 0xa8
	s_waitcnt lgkmcnt(0)
	v_lshl_add_u64 v[8:9], v[6:7], 3, v[8:9]
	flat_load_dwordx2 v[8:9], v[8:9]
	v_and_b32_e32 v7, 0xffff, v1
	s_waitcnt vmcnt(0) lgkmcnt(0)
	v_mad_u64_u32 v[8:9], s[2:3], v7, s2, v[8:9]
	flat_load_dword v7, v[8:9] offset:640
	s_mov_b64 s[2:3], 0x1f8
	v_lshl_add_u64 v[18:19], v[8:9], 0, s[2:3]
                                        ; implicit-def: $vgpr8_vgpr9
                                        ; kill: killed $vgpr8_vgpr9
	s_waitcnt vmcnt(0) lgkmcnt(0)
	v_cmp_eq_u32_e32 vcc, 1, v7
	s_and_saveexec_b64 s[2:3], vcc
	s_cbranch_execz .LBB18_26
; %bb.25:
	flat_load_dwordx2 v[16:17], v[18:19] offset:144
	v_or_b32_e32 v57, 0x2000, v57
	s_waitcnt vmcnt(0) lgkmcnt(0)
	flat_load_dwordx2 v[8:9], v[16:17]
	s_trap 2
	scratch_store_dwordx2 off, v[16:17], s33 offset:320 ; 8-byte Folded Spill
	s_waitcnt vmcnt(0) lgkmcnt(0)
	ds_write_b64 v0, v[8:9]
	flat_load_dwordx2 v[8:9], v[16:17] offset:8
	s_waitcnt vmcnt(0) lgkmcnt(0)
	ds_write_b64 v0, v[8:9]
	flat_load_dwordx2 v[8:9], v[16:17] offset:16
	s_waitcnt vmcnt(0) lgkmcnt(0)
	ds_write_b64 v0, v[8:9]
.LBB18_26:
	s_or_b64 exec, exec, s[2:3]
	flat_load_dwordx2 v[8:9], v[18:19] offset:104
	v_and_b32_e32 v7, 32, v57
	v_cmp_ne_u32_e32 vcc, 0, v7
	scratch_store_dwordx2 off, v[18:19], s33 offset:304 ; 8-byte Folded Spill
                                        ; implicit-def: $vgpr58_vgpr59
	s_waitcnt vmcnt(0) lgkmcnt(0)
	v_lshl_add_u64 v[16:17], v[8:9], 0, 3
	v_and_b32_e32 v16, -4, v16
	s_and_saveexec_b64 s[2:3], vcc
	s_cbranch_execz .LBB18_28
; %bb.27:
	scratch_load_dwordx2 v[8:9], off, s33 offset:304 ; 8-byte Folded Reload
	s_waitcnt vmcnt(0)
	flat_load_dwordx2 v[58:59], v[8:9] offset:56
	s_waitcnt vmcnt(0) lgkmcnt(0)
	flat_store_dwordx2 v[58:59], v[16:17] sc0 sc1
.LBB18_28:
	s_or_b64 exec, exec, s[2:3]
	v_mov_b64_e32 v[8:9], 0
	v_and_b32_e32 v7, 4, v57
	v_accvgpr_write_b32 a17, v9
	v_cmp_ne_u32_e32 vcc, 0, v7
	v_accvgpr_write_b32 a16, v8
                                        ; implicit-def: $vgpr54
                                        ; implicit-def: $vgpr48_vgpr49
                                        ; implicit-def: $vgpr40_vgpr41
	s_and_saveexec_b64 s[2:3], vcc
	s_cbranch_execz .LBB18_32
; %bb.29:
	v_and_b32_e32 v7, 0x800, v57
	v_cmp_eq_u32_e32 vcc, 0, v7
	s_and_saveexec_b64 s[4:5], vcc
	s_cbranch_execz .LBB18_31
; %bb.30:
	s_trap 2
	scratch_load_dwordx2 v[8:9], off, s33 offset:304 ; 8-byte Folded Reload
	s_waitcnt vmcnt(0)
	ds_write_b64 v0, v[8:9]
.LBB18_31:
	s_or_b64 exec, exec, s[4:5]
	scratch_load_dwordx2 v[8:9], off, s33 offset:304 ; 8-byte Folded Reload
	s_waitcnt vmcnt(0)
	flat_load_dwordx2 v[58:59], v[8:9] offset:48
	s_waitcnt vmcnt(0) lgkmcnt(0)
	flat_load_dwordx2 v[40:41], v[58:59] sc0 sc1
	flat_load_dword v7, v[8:9] offset:72
	flat_load_dwordx2 v[18:19], v[8:9] offset:96
	flat_load_dwordx2 v[48:49], v[8:9] offset:16
	v_or_b32_e32 v8, 0x100, v57
	s_waitcnt vmcnt(0) lgkmcnt(0)
	v_ashrrev_i32_e32 v54, 1, v7
	v_accvgpr_write_b32 a16, v18
	v_cmp_eq_u64_e32 vcc, 0, v[18:19]
	v_accvgpr_write_b32 a17, v19
	s_nop 0
	v_cndmask_b32_e32 v57, v8, v57, vcc
.LBB18_32:
	s_or_b64 exec, exec, s[2:3]
.LBB18_33:
	s_or_b64 exec, exec, s[0:1]
	v_and_b32_e32 v7, 24, v57
	v_cmp_ne_u32_e32 vcc, 0, v7
                                        ; implicit-def: $vgpr52_vgpr53
	s_and_saveexec_b64 s[0:1], vcc
	s_cbranch_execz .LBB18_41
; %bb.34:
	s_trap 2
	ds_read_b64 v[8:9], v0
	s_waitcnt lgkmcnt(0)
	v_ashrrev_i32_e32 v7, 31, v6
	v_and_b32_e32 v1, 0xffff, v1
	s_movk_i32 s2, 0xa8
                                        ; implicit-def: $vgpr52_vgpr53
	v_lshl_add_u64 v[6:7], v[6:7], 3, v[8:9]
	flat_load_dwordx2 v[6:7], v[6:7]
	s_waitcnt vmcnt(0) lgkmcnt(0)
	v_mad_u64_u32 v[6:7], s[2:3], v1, s2, v[6:7]
	flat_load_dwordx4 v[16:19], v[6:7] offset:96
	v_or_b32_e32 v1, 0x100, v57
	s_waitcnt vmcnt(0) lgkmcnt(0)
	v_cmp_eq_u64_e32 vcc, 0, v[16:17]
	s_nop 1
	v_cndmask_b32_e32 v57, v1, v57, vcc
	v_accvgpr_write_b32 a16, v16
	v_and_b32_e32 v1, 16, v57
	v_accvgpr_write_b32 a17, v17
	v_accvgpr_write_b32 a18, v18
	;; [unrolled: 1-line block ×3, first 2 shown]
	v_cmp_ne_u32_e32 vcc, 0, v1
	s_and_saveexec_b64 s[2:3], vcc
	s_cbranch_execz .LBB18_36
; %bb.35:
	flat_load_dwordx2 v[52:53], v[6:7] offset:120
	flat_load_dwordx2 v[58:59], v[6:7] offset:48
	;; [unrolled: 1-line block ×3, first 2 shown]
.LBB18_36:
	s_or_b64 exec, exec, s[2:3]
	v_accvgpr_read_b32 v16, a16
	v_accvgpr_read_b32 v17, a17
	;; [unrolled: 1-line block ×4, first 2 shown]
	v_lshl_add_u64 v[16:17], v[18:19], 0, 3
	v_and_b32_e32 v1, 8, v57
	v_and_b32_e32 v16, -4, v16
	v_cmp_ne_u32_e32 vcc, 0, v1
	s_and_saveexec_b64 s[2:3], vcc
	s_cbranch_execz .LBB18_40
; %bb.37:
	v_and_b32_e32 v1, 0x800, v57
	v_cmp_eq_u32_e32 vcc, 0, v1
	s_and_saveexec_b64 s[4:5], vcc
	s_cbranch_execz .LBB18_39
; %bb.38:
	s_trap 2
	ds_write_b64 v0, v[6:7]
.LBB18_39:
	s_or_b64 exec, exec, s[4:5]
	s_waitcnt vmcnt(0) lgkmcnt(0)
	flat_load_dwordx2 v[58:59], v[6:7] offset:56
	s_waitcnt vmcnt(0) lgkmcnt(0)
	flat_load_dwordx2 v[40:41], v[58:59] sc0 sc1
	flat_load_dword v1, v[6:7] offset:72
	flat_load_dwordx2 v[48:49], v[6:7] offset:16
	s_waitcnt vmcnt(0) lgkmcnt(0)
	v_ashrrev_i32_e32 v54, 1, v1
.LBB18_40:
	s_or_b64 exec, exec, s[2:3]
	scratch_store_dwordx2 off, v[6:7], s33 offset:304 ; 8-byte Folded Spill
.LBB18_41:
	s_or_b64 exec, exec, s[0:1]
	v_cmp_eq_u32_e64 s[0:1], 0, v56
	s_and_saveexec_b64 s[2:3], s[0:1]
	s_cbranch_execz .LBB18_43
; %bb.42:
	s_waitcnt lgkmcnt(0)
	flat_load_dwordx2 v[6:7], v[2:3] offset:32
	v_mov_b32_e32 v8, v12
	v_mov_b32_e32 v9, v13
	ds_write2_b64 v0, v[8:9], v[10:11] offset1:1
	s_trap 2
	s_waitcnt vmcnt(0) lgkmcnt(0)
	ds_write_b64 v0, v[6:7]
	ds_write_b64 v0, v[4:5]
.LBB18_43:
	s_or_b64 exec, exec, s[2:3]
	s_waitcnt lgkmcnt(0)
	scratch_load_dwordx4 v[4:7], off, s33 offset:260 ; 16-byte Folded Reload
	s_mov_b64 s[36:37], 0
	v_mov_b64_e32 v[46:47], 0
	s_waitcnt vmcnt(0)
	v_cmp_lt_i64_e32 vcc, 0, v[4:5]
	s_mov_b64 s[34:35], exec
	scratch_load_dwordx2 v[4:5], off, s33 offset:304 ; 8-byte Folded Reload
	s_and_b64 s[2:3], s[34:35], vcc
	s_mov_b64 exec, s[2:3]
	s_cbranch_execz .LBB18_1208
; %bb.44:
	flat_load_dword v1, v[2:3] offset:4
	v_and_b32_e32 v38, 0x1fffff00, v0
	scratch_load_dword v2, off, s33 offset:300 ; 4-byte Folded Reload
	scratch_load_dword v0, off, s33 offset:312 ; 4-byte Folded Reload
	s_trap 2
	scratch_load_dword v3, off, s33 offset:316 ; 4-byte Folded Reload
	s_waitcnt vmcnt(0)
	v_mov_b32_e32 v4, 0xfffff800
	v_mov_b32_e32 v5, 0xfffff000
	v_mad_i64_i32 v[8:9], s[12:13], v38, s72, 0
	s_ashr_i32 s15, s14, 31
	s_mov_b64 s[16:17], 0x2000
	s_mov_b64 s[18:19], 0x800
	s_lshr_b32 s15, s15, 29
	s_add_i32 s20, s14, s15
	s_ashr_i32 s73, s72, 31
	s_ashr_i32 s21, s20, 4
	s_add_u32 s44, s72, -1
	s_addc_u32 s45, s73, -1
	s_add_i32 s77, s72, s72
	s_not_b32 s22, s72
	s_cmp_gt_i32 s72, 0
	s_cselect_b32 s22, s22, -1
	s_ashr_i32 s20, s20, 31
	s_lshr_b32 s20, s20, 28
	s_add_i32 s78, s22, s77
	s_add_i32 s21, s21, s20
	s_ashr_i32 s79, s78, 31
	s_ashr_i32 s80, s21, 4
	s_cmp_gt_i32 s72, 2
	s_mov_b64 s[22:23], 0x1000
	s_cselect_b64 s[46:47], -1, 0
	s_mov_b64 s[40:41], 0x400
	s_mov_b64 s[42:43], 0x80
	v_mov_b32_e32 v39, 0
	v_ashrrev_i32_e32 v35, 31, v54
	v_mov_b32_e32 v37, v39
	v_accvgpr_mov_b32 a10, a16
	v_accvgpr_write_b32 a22, v48
	v_accvgpr_write_b32 a24, v52
	s_movk_i32 s74, 0xfc00
	s_movk_i32 s75, 0xff80
	v_cmp_eq_u64_e64 s[6:7], 0, v[52:53]
	v_cmp_ne_u64_e64 s[10:11], 0, v[52:53]
	s_movk_i32 s76, 0xf000
	s_movk_i32 s84, 0x270e
	v_mov_b32_e32 v15, 1
	s_movk_i32 s85, 0x1000
	s_movk_i32 s86, 0x108
	s_mov_b64 s[52:53], 0x780
	s_movk_i32 s87, 0xf880
	s_movk_i32 s88, 0xf900
	;; [unrolled: 1-line block ×10, first 2 shown]
	v_accvgpr_mov_b32 a11, a17
	v_accvgpr_write_b32 a20, v54
	v_accvgpr_write_b32 a23, v49
	;; [unrolled: 1-line block ×4, first 2 shown]
	scratch_store_dwordx2 off, v[38:39], s33 offset:224 ; 8-byte Folded Spill
	scratch_store_dwordx2 off, v[58:59], s33 offset:232 ; 8-byte Folded Spill
	s_waitcnt lgkmcnt(0)
	v_and_b32_e32 v1, 1, v1
	v_cmp_eq_u32_e64 s[20:21], 1, v1
	v_cmp_ge_i32_e32 vcc, v56, v2
	v_cmp_eq_u32_e64 s[2:3], 64, v2
	v_cmp_ne_u32_e64 s[4:5], 64, v2
	v_cmp_ne_u32_sdwa s[38:39], v3, v2 src0_sel:WORD_0 src1_sel:DWORD
	v_lshrrev_b32_e32 v36, 6, v2
	v_ashrrev_i32_e32 v2, 31, v56
	v_mov_b32_e32 v3, 0xffffe000
	v_lshrrev_b32_e32 v6, 26, v2
	v_and_b32_e32 v0, 63, v0
	v_lshl_add_u32 v2, v36, 13, v3
	v_lshl_add_u32 v4, v36, 11, v4
	v_add_u32_e32 v6, v56, v6
	v_cmp_eq_u32_e64 s[12:13], 0, v0
	v_lshl_add_u32 v0, v36, 12, v5
	v_ashrrev_i32_e32 v3, 31, v2
	v_ashrrev_i32_e32 v5, 31, v4
	;; [unrolled: 1-line block ×3, first 2 shown]
	v_and_b32_e32 v6, 0xffffffc0, v6
	v_lshl_add_u64 v[30:31], v[2:3], 0, s[16:17]
	v_lshl_add_u64 v[12:13], v[4:5], 0, s[18:19]
	v_sub_u32_e32 v4, v56, v6
	v_lshlrev_b32_e32 v2, 13, v34
	v_cmp_gt_i32_e64 s[14:15], 1, v4
	v_cmp_lt_i32_e64 s[16:17], v4, v14
	v_lshl_add_u32 v22, v4, 4, v2
	scratch_store_dword off, v4, s33 offset:212 ; 4-byte Folded Spill
	v_cmp_le_i32_e64 s[18:19], v4, v14
	scratch_load_dwordx4 v[4:7], off, s33 offset:260 ; 16-byte Folded Reload
	v_ashrrev_i32_e32 v1, 31, v0
	v_lshl_add_u64 v[20:21], v[0:1], 0, s[22:23]
	s_xor_b64 s[48:49], s[20:21], -1
	s_add_i32 s22, s72, 1
	v_lshlrev_b32_e32 v50, 10, v36
	v_lshlrev_b32_e32 v28, 7, v36
	;; [unrolled: 1-line block ×3, first 2 shown]
	s_cmp_le_i32 s72, s22
	v_add_u32_e32 v10, 0xfffffc00, v50
	v_add_u32_e32 v26, 0xffffff80, v28
	v_sub_u32_e32 v18, v22, v3
	s_cselect_b32 s23, s72, 0
	v_ashrrev_i32_e32 v11, 31, v10
	v_ashrrev_i32_e32 v27, 31, v26
	;; [unrolled: 1-line block ×3, first 2 shown]
	s_sub_i32 s81, s22, s23
	s_mov_b64 s[22:23], 0xc00
	v_lshl_add_u64 v[32:33], v[10:11], 0, s[40:41]
	v_lshl_add_u64 v[24:25], v[26:27], 0, s[42:43]
	v_ashrrev_i32_e32 v23, 31, v22
	v_lshl_add_u64 v[0:1], v[18:19], 0, s[22:23]
	s_mov_b64 s[22:23], 0x1c00
	v_accvgpr_write_b32 a37, v11
	scratch_store_dwordx2 off, v[0:1], s33 offset:292 ; 8-byte Folded Spill
	v_lshl_add_u64 v[0:1], v[22:23], 0, s[22:23]
	v_mov_b64_e32 v[2:3], 0
	v_accvgpr_write_b32 a30, v36
	v_accvgpr_write_b32 a43, v31
	;; [unrolled: 1-line block ×7, first 2 shown]
	s_ashr_i32 s82, s81, 31
	s_add_i32 s83, s72, -2
	scratch_store_dwordx2 off, v[0:1], s33 offset:240 ; 8-byte Folded Spill
	s_xor_b64 s[50:51], vcc, -1
	v_mov_b64_e32 v[46:47], v[2:3]
	v_accvgpr_write_b32 a31, v37
	v_accvgpr_write_b32 a42, v30
	;; [unrolled: 1-line block ×6, first 2 shown]
	v_mov_b64_e32 v[10:11], v[16:17]
	v_mov_b32_e32 v16, v54
	scratch_store_dwordx2 off, v[8:9], s33 offset:284 ; 8-byte Folded Spill
	scratch_store_dword off, v50, s33 offset:208 ; 4-byte Folded Spill
	scratch_store_dword off, v28, s33 offset:204 ; 4-byte Folded Spill
	;; [unrolled: 1-line block ×3, first 2 shown]
	scratch_store_dwordx2 off, v[22:23], s33 offset:192 ; 8-byte Folded Spill
	scratch_store_dwordx2 off, v[20:21], s33 offset:184 ; 8-byte Folded Spill
	s_waitcnt vmcnt(8)
	v_mov_b64_e32 v[0:1], v[4:5]
	s_branch .LBB18_47
.LBB18_45:                              ;   in Loop: Header=BB18_47 Depth=1
	s_or_b64 exec, exec, s[26:27]
.LBB18_46:                              ;   in Loop: Header=BB18_47 Depth=1
	s_or_b64 exec, exec, s[24:25]
	scratch_load_dwordx2 v[8:9], off, s33 offset:284 ; 8-byte Folded Reload
	scratch_load_dwordx2 v[2:3], off, s33 offset:252 ; 8-byte Folded Reload
	scratch_load_dwordx4 v[4:7], off, s33 offset:260 ; 16-byte Folded Reload
	s_waitcnt vmcnt(0)
	v_lshl_add_u64 v[2:3], v[2:3], 0, v[8:9]
	v_mov_b64_e32 v[0:1], v[4:5]
	v_cmp_ge_i64_e32 vcc, v[2:3], v[0:1]
	s_or_b64 s[36:37], vcc, s[36:37]
	s_andn2_b64 exec, exec, s[36:37]
	s_cbranch_execz .LBB18_1207
.LBB18_47:                              ; =>This Loop Header: Depth=1
                                        ;     Child Loop BB18_57 Depth 2
                                        ;       Child Loop BB18_65 Depth 3
                                        ;       Child Loop BB18_89 Depth 3
	;; [unrolled: 1-line block ×9, first 2 shown]
                                        ;     Child Loop BB18_199 Depth 2
                                        ;       Child Loop BB18_205 Depth 3
                                        ;       Child Loop BB18_234 Depth 3
	;; [unrolled: 1-line block ×3, first 2 shown]
                                        ;     Child Loop BB18_271 Depth 2
                                        ;       Child Loop BB18_274 Depth 3
                                        ;         Child Loop BB18_282 Depth 4
                                        ;         Child Loop BB18_308 Depth 4
	;; [unrolled: 1-line block ×9, first 2 shown]
                                        ;       Child Loop BB18_418 Depth 3
                                        ;         Child Loop BB18_424 Depth 4
                                        ;         Child Loop BB18_462 Depth 4
	;; [unrolled: 1-line block ×3, first 2 shown]
                                        ;     Child Loop BB18_491 Depth 2
                                        ;       Child Loop BB18_499 Depth 3
                                        ;       Child Loop BB18_525 Depth 3
	;; [unrolled: 1-line block ×9, first 2 shown]
                                        ;         Child Loop BB18_572 Depth 4
                                        ;       Child Loop BB18_581 Depth 3
                                        ;       Child Loop BB18_586 Depth 3
                                        ;         Child Loop BB18_587 Depth 4
                                        ;       Child Loop BB18_628 Depth 3
                                        ;       Child Loop BB18_651 Depth 3
                                        ;     Child Loop BB18_669 Depth 2
                                        ;       Child Loop BB18_675 Depth 3
                                        ;       Child Loop BB18_705 Depth 3
	;; [unrolled: 1-line block ×3, first 2 shown]
                                        ;     Child Loop BB18_743 Depth 2
                                        ;       Child Loop BB18_746 Depth 3
                                        ;         Child Loop BB18_754 Depth 4
                                        ;         Child Loop BB18_780 Depth 4
	;; [unrolled: 1-line block ×9, first 2 shown]
                                        ;           Child Loop BB18_827 Depth 5
                                        ;         Child Loop BB18_836 Depth 4
                                        ;         Child Loop BB18_841 Depth 4
                                        ;           Child Loop BB18_842 Depth 5
                                        ;         Child Loop BB18_883 Depth 4
                                        ;         Child Loop BB18_906 Depth 4
                                        ;       Child Loop BB18_924 Depth 3
                                        ;         Child Loop BB18_930 Depth 4
                                        ;         Child Loop BB18_960 Depth 4
	;; [unrolled: 1-line block ×3, first 2 shown]
                                        ;     Child Loop BB18_1001 Depth 2
                                        ;       Child Loop BB18_1009 Depth 3
                                        ;       Child Loop BB18_1033 Depth 3
	;; [unrolled: 1-line block ×9, first 2 shown]
                                        ;     Child Loop BB18_1141 Depth 2
                                        ;       Child Loop BB18_1147 Depth 3
                                        ;       Child Loop BB18_1171 Depth 3
	;; [unrolled: 1-line block ×3, first 2 shown]
	v_sub_co_u32_e32 v0, vcc, v0, v2
	scratch_store_dwordx2 off, v[2:3], s33 offset:252 ; 8-byte Folded Spill
	s_nop 0
	v_subb_co_u32_e32 v1, vcc, v1, v3, vcc
	scratch_store_dwordx2 off, v[0:1], s33 offset:216 ; 8-byte Folded Spill
	v_cmp_lt_i64_e32 vcc, v[0:1], v[8:9]
	s_mov_b64 s[24:25], exec
	s_and_b64 s[22:23], s[24:25], vcc
	v_accvgpr_write_b32 a28, v16
	s_mov_b64 exec, s[22:23]
	s_cbranch_execz .LBB18_53
; %bb.48:                               ;   in Loop: Header=BB18_47 Depth=1
	scratch_load_dwordx2 v[0:1], off, s33 offset:216 ; 8-byte Folded Reload
                                        ; implicit-def: $vgpr6_vgpr7
	s_waitcnt vmcnt(0)
	v_lshl_add_u64 v[4:5], s[44:45], 0, v[0:1]
	v_or_b32_e32 v1, s73, v5
	v_mov_b32_e32 v0, v39
	v_cmp_ne_u64_e32 vcc, 0, v[0:1]
	s_and_saveexec_b64 s[22:23], vcc
	s_xor_b64 s[26:27], exec, s[22:23]
	s_cbranch_execz .LBB18_50
; %bb.49:                               ;   in Loop: Header=BB18_47 Depth=1
	s_add_u32 s22, s72, s73
	s_mov_b32 s28, s73
	s_mov_b32 s29, s73
	s_addc_u32 s23, s73, s73
	s_xor_b64 s[54:55], s[22:23], s[28:29]
	v_cvt_f32_u32_e32 v0, s54
	v_cvt_f32_u32_e32 v1, s55
	s_sub_u32 s22, 0, s54
	s_subb_u32 s23, 0, s55
	v_mov_b64_e32 v[16:17], v[10:11]
	v_fmac_f32_e32 v0, 0x4f800000, v1
	v_rcp_f32_e32 v0, v0
	s_nop 0
	v_mul_f32_e32 v0, 0x5f7ffffc, v0
	v_mul_f32_e32 v1, 0x2f800000, v0
	v_trunc_f32_e32 v1, v1
	v_fmac_f32_e32 v0, 0xcf800000, v1
	v_cvt_u32_f32_e32 v2, v1
	v_cvt_u32_f32_e32 v3, v0
	v_mul_lo_u32 v0, s22, v2
	v_mul_hi_u32 v6, s22, v3
	v_mul_lo_u32 v1, s23, v3
	v_add_u32_e32 v0, v6, v0
	v_mul_lo_u32 v7, s22, v3
	v_add_u32_e32 v6, v0, v1
	v_mul_hi_u32 v1, v3, v6
	v_mul_lo_u32 v0, v3, v6
	v_mul_hi_u32 v38, v3, v7
	v_lshl_add_u64 v[0:1], v[38:39], 0, v[0:1]
	v_mul_hi_u32 v9, v2, v7
	v_mul_lo_u32 v7, v2, v7
	v_add_co_u32_e32 v0, vcc, v0, v7
	v_mul_hi_u32 v8, v2, v6
	s_nop 0
	v_addc_co_u32_e32 v38, vcc, v1, v9, vcc
	v_mul_lo_u32 v0, v2, v6
	s_nop 0
	v_addc_co_u32_e32 v1, vcc, 0, v8, vcc
	v_lshl_add_u64 v[0:1], v[38:39], 0, v[0:1]
	v_add_co_u32_e32 v3, vcc, v3, v0
	v_mul_lo_u32 v8, s22, v3
	s_nop 0
	v_addc_co_u32_e32 v2, vcc, v2, v1, vcc
	v_mul_lo_u32 v0, s22, v2
	v_mul_hi_u32 v1, s22, v3
	v_add_u32_e32 v0, v1, v0
	v_mul_lo_u32 v1, s23, v3
	v_add_u32_e32 v6, v0, v1
	v_mul_hi_u32 v1, v3, v6
	v_mul_lo_u32 v0, v3, v6
	v_mul_hi_u32 v38, v3, v8
	v_mul_lo_u32 v10, v2, v8
	v_lshl_add_u64 v[0:1], v[38:39], 0, v[0:1]
	v_mul_hi_u32 v9, v2, v8
	v_add_co_u32_e32 v0, vcc, v0, v10
	v_mul_hi_u32 v7, v2, v6
	s_nop 0
	v_addc_co_u32_e32 v38, vcc, v1, v9, vcc
	v_mul_lo_u32 v0, v2, v6
	s_nop 0
	v_addc_co_u32_e32 v1, vcc, 0, v7, vcc
	v_lshl_add_u64 v[0:1], v[38:39], 0, v[0:1]
	v_ashrrev_i32_e32 v6, 31, v5
	v_add_co_u32_e32 v8, vcc, v3, v0
	v_mov_b32_e32 v7, v6
	s_nop 0
	v_addc_co_u32_e32 v2, vcc, v2, v1, vcc
	v_lshl_add_u64 v[0:1], v[4:5], 0, v[6:7]
	v_xor_b32_e32 v9, v0, v6
	v_xor_b32_e32 v7, v1, v6
	v_mad_u64_u32 v[0:1], s[22:23], v9, v2, 0
	v_mul_hi_u32 v38, v9, v8
	v_lshl_add_u64 v[0:1], v[38:39], 0, v[0:1]
	v_mad_u64_u32 v[4:5], s[22:23], v7, v8, 0
	v_add_co_u32_e32 v0, vcc, v0, v4
	v_mad_u64_u32 v[2:3], s[22:23], v7, v2, 0
	s_nop 0
	v_addc_co_u32_e32 v38, vcc, v1, v5, vcc
	s_nop 1
	v_addc_co_u32_e32 v3, vcc, 0, v3, vcc
	v_lshl_add_u64 v[0:1], v[38:39], 0, v[2:3]
	v_mul_lo_u32 v4, s55, v0
	v_mul_lo_u32 v5, s54, v1
	v_mad_u64_u32 v[2:3], s[22:23], s54, v0, 0
	v_add3_u32 v8, v3, v5, v4
	v_sub_u32_e32 v3, v7, v8
	v_mov_b32_e32 v4, s55
	v_sub_co_u32_e32 v9, vcc, v9, v2
	s_nop 1
	v_subb_co_u32_e64 v2, s[22:23], v3, v4, vcc
	v_subrev_co_u32_e64 v3, s[22:23], s54, v9
	s_nop 1
	v_subbrev_co_u32_e64 v2, s[22:23], 0, v2, s[22:23]
	v_cmp_le_u32_e64 s[22:23], s55, v2
	s_nop 1
	v_cndmask_b32_e64 v4, 0, -1, s[22:23]
	v_cmp_le_u32_e64 s[22:23], s54, v3
	s_nop 1
	v_cndmask_b32_e64 v3, 0, -1, s[22:23]
	v_cmp_eq_u32_e64 s[22:23], s55, v2
	s_nop 1
	v_cndmask_b32_e64 v10, v4, v3, s[22:23]
	v_lshl_add_u64 v[2:3], v[0:1], 0, 2
	v_lshl_add_u64 v[4:5], v[0:1], 0, 1
	v_cmp_ne_u32_e64 s[22:23], 0, v10
	v_mov_b64_e32 v[10:11], v[16:17]
	s_nop 0
	v_cndmask_b32_e64 v3, v5, v3, s[22:23]
	v_subb_co_u32_e32 v5, vcc, v7, v8, vcc
	v_cmp_le_u32_e32 vcc, s55, v5
	v_cndmask_b32_e64 v2, v4, v2, s[22:23]
	s_nop 0
	v_cndmask_b32_e64 v7, 0, -1, vcc
	v_cmp_le_u32_e32 vcc, s54, v9
	s_nop 1
	v_cndmask_b32_e64 v8, 0, -1, vcc
	v_cmp_eq_u32_e32 vcc, s55, v5
	s_nop 1
	v_cndmask_b32_e32 v5, v7, v8, vcc
	v_cmp_ne_u32_e32 vcc, 0, v5
                                        ; implicit-def: $vgpr4_vgpr5
	s_nop 1
	v_cndmask_b32_e32 v1, v1, v3, vcc
	v_cndmask_b32_e32 v0, v0, v2, vcc
	v_xor_b32_e32 v3, s28, v6
	v_xor_b32_e32 v2, s29, v6
	;; [unrolled: 1-line block ×4, first 2 shown]
	v_sub_co_u32_e32 v6, vcc, v0, v3
	s_nop 1
	v_subb_co_u32_e32 v7, vcc, v1, v2, vcc
.LBB18_50:                              ;   in Loop: Header=BB18_47 Depth=1
	s_andn2_saveexec_b64 s[22:23], s[26:27]
	s_cbranch_execz .LBB18_52
; %bb.51:                               ;   in Loop: Header=BB18_47 Depth=1
	v_cvt_f32_u32_e32 v0, s72
	s_sub_i32 s26, 0, s72
	v_rcp_iflag_f32_e32 v0, v0
	s_nop 0
	v_mul_f32_e32 v0, 0x4f7ffffe, v0
	v_cvt_u32_f32_e32 v0, v0
	v_mul_lo_u32 v1, s26, v0
	v_mul_hi_u32 v1, v0, v1
	v_add_u32_e32 v0, v0, v1
	v_mul_hi_u32 v0, v4, v0
	v_mul_lo_u32 v1, v0, s72
	v_sub_u32_e32 v1, v4, v1
	v_add_u32_e32 v2, 1, v0
	v_subrev_u32_e32 v3, s72, v1
	v_cmp_le_u32_e32 vcc, s72, v1
	s_nop 1
	v_cndmask_b32_e32 v1, v1, v3, vcc
	v_cndmask_b32_e32 v0, v0, v2, vcc
	v_add_u32_e32 v2, 1, v0
	v_cmp_le_u32_e32 vcc, s72, v1
	s_nop 1
	v_cndmask_b32_e32 v38, v0, v2, vcc
	v_mov_b64_e32 v[6:7], v[38:39]
.LBB18_52:                              ;   in Loop: Header=BB18_47 Depth=1
	s_or_b64 exec, exec, s[22:23]
	v_lshl_add_u64 v[0:1], v[6:7], 0, 7
	v_and_b32_e32 v0, -8, v0
	scratch_store_dwordx2 off, v[0:1], s33 offset:224 ; 8-byte Folded Spill
.LBB18_53:                              ;   in Loop: Header=BB18_47 Depth=1
	s_or_b64 exec, exec, s[24:25]
	scratch_load_dwordx2 v[4:5], off, s33 offset:224 ; 8-byte Folded Reload
	v_accvgpr_write_b32 a27, v11
	v_accvgpr_write_b32 a26, v10
	;; [unrolled: 1-line block ×4, first 2 shown]
	v_mov_b32_e32 v54, 0
	s_waitcnt vmcnt(0)
	v_mul_lo_u32 v0, v5, s78
	v_mul_lo_u32 v1, v4, s79
	v_mad_u64_u32 v[10:11], s[22:23], v4, s78, 0
	v_add3_u32 v11, v11, v1, v0
	scratch_load_dwordx2 v[0:1], off, s33 offset:276 ; 8-byte Folded Reload
	scratch_load_dwordx2 v[2:3], off, s33 offset:252 ; 8-byte Folded Reload
	s_waitcnt vmcnt(0)
	v_lshl_add_u64 v[0:1], v[2:3], 0, v[0:1]
	v_accvgpr_write_b32 a63, v1
	v_accvgpr_write_b32 a62, v0
	scratch_load_dwordx2 v[0:1], off, s33 offset:216 ; 8-byte Folded Reload
	s_waitcnt vmcnt(0)
	v_sub_co_u32_e32 v0, vcc, v0, v10
	s_nop 1
	v_subb_co_u32_e32 v1, vcc, v1, v11, vcc
	v_cmp_lt_i64_e32 vcc, v[4:5], v[0:1]
	s_nop 1
	v_cndmask_b32_e32 v0, v0, v4, vcc
	v_max_i32_e32 v16, 0, v0
	v_add_u32_e32 v1, 31, v16
	v_ashrrev_i32_e32 v2, 31, v1
	v_lshrrev_b32_e32 v2, 27, v2
	v_add_u32_e32 v1, v1, v2
	v_ashrrev_i32_e32 v1, 5, v1
	v_lshlrev_b32_e32 v1, 4, v1
	v_cmp_lt_i32_e32 vcc, 0, v0
	v_max_i32_e32 v26, s80, v1
	s_and_b64 s[22:23], s[50:51], vcc
	v_mov_b32_e32 v0, 0
	s_and_saveexec_b64 s[24:25], s[22:23]
	s_cbranch_execz .LBB18_195
; %bb.54:                               ;   in Loop: Header=BB18_47 Depth=1
	s_mov_b32 s70, 1
	s_mov_b64 s[28:29], -1
	s_mov_b64 s[26:27], 0
	v_mov_b32_e32 v54, 0
	s_branch .LBB18_57
.LBB18_55:                              ;   in Loop: Header=BB18_57 Depth=2
	s_or_b64 exec, exec, vcc
	v_accvgpr_read_b32 v0, a26
	v_accvgpr_read_b32 v1, a27
	v_lshl_add_u64 v[0:1], v[0:1], 0, 2
	v_accvgpr_write_b32 a27, v1
	v_accvgpr_write_b32 a26, v0
	flat_store_dwordx2 v[58:59], v[0:1] sc0 sc1
.LBB18_56:                              ;   in Loop: Header=BB18_57 Depth=2
	s_or_b64 exec, exec, s[22:23]
	v_add_u32_e32 v54, v26, v54
	v_cmp_ge_i32_e32 vcc, v54, v16
	s_xor_b64 s[22:23], s[28:29], -1
	s_or_b64 s[22:23], s[22:23], vcc
	s_and_b64 s[22:23], exec, s[22:23]
	s_or_b64 s[26:27], s[22:23], s[26:27]
	s_mov_b64 s[28:29], 0
	v_mov_b32_e32 v0, s70
	s_mov_b32 s70, 2
	s_andn2_b64 exec, exec, s[26:27]
	s_cbranch_execz .LBB18_194
.LBB18_57:                              ;   Parent Loop BB18_47 Depth=1
                                        ; =>  This Loop Header: Depth=2
                                        ;       Child Loop BB18_65 Depth 3
                                        ;       Child Loop BB18_89 Depth 3
	;; [unrolled: 1-line block ×9, first 2 shown]
	s_and_saveexec_b64 s[22:23], s[0:1]
	s_cbranch_execz .LBB18_59
; %bb.58:                               ;   in Loop: Header=BB18_57 Depth=2
	s_trap 2
	ds_read_b64 v[0:1], v0
	v_accvgpr_read_b32 v2, a62
	v_accvgpr_read_b32 v3, a63
	v_ashrrev_i32_e32 v55, 31, v54
	v_mov_b32_e32 v38, v39
	s_waitcnt lgkmcnt(0)
	v_lshl_add_u64 v[0:1], v[2:3], 1, v[0:1]
	v_lshl_add_u64 v[0:1], v[10:11], 1, v[0:1]
	;; [unrolled: 1-line block ×3, first 2 shown]
	ds_write_b64 v0, v[0:1]
	ds_write_b64 v0, v[38:39]
.LBB18_59:                              ;   in Loop: Header=BB18_57 Depth=2
	s_or_b64 exec, exec, s[22:23]
	v_and_b32_e32 v0, 8, v57
	v_cmp_ne_u32_e32 vcc, 0, v0
	s_mov_b64 s[54:55], -1
	s_and_saveexec_b64 s[22:23], vcc
	s_cbranch_execz .LBB18_71
; %bb.60:                               ;   in Loop: Header=BB18_57 Depth=2
	v_accvgpr_read_b32 v2, a26
	v_accvgpr_read_b32 v3, a27
	v_lshl_add_u64 v[0:1], v[40:41], 0, 8
	v_lshl_add_u64 v[4:5], v[2:3], 0, 2
	v_cmp_lt_u64_e32 vcc, v[0:1], v[4:5]
	v_mov_b32_e32 v0, 1
	s_and_saveexec_b64 s[54:55], vcc
	s_cbranch_execz .LBB18_70
; %bb.61:                               ;   in Loop: Header=BB18_57 Depth=2
	s_mov_b64 s[56:57], 0
	v_mov_b32_e32 v0, 0
                                        ; implicit-def: $sgpr58_sgpr59
	s_branch .LBB18_65
.LBB18_62:                              ;   in Loop: Header=BB18_65 Depth=3
	s_or_b64 exec, exec, s[66:67]
	v_mov_b32_e32 v1, 0
	s_orn2_b64 s[64:65], s[64:65], exec
.LBB18_63:                              ;   in Loop: Header=BB18_65 Depth=3
	s_or_b64 exec, exec, s[62:63]
	s_andn2_b64 vcc, s[58:59], exec
	s_and_b64 s[58:59], s[64:65], exec
	s_or_b64 s[58:59], vcc, s[58:59]
	v_mov_b32_e32 v0, v1
.LBB18_64:                              ;   in Loop: Header=BB18_65 Depth=3
	s_or_b64 exec, exec, s[60:61]
	s_waitcnt vmcnt(0) lgkmcnt(0)
	v_lshl_add_u64 v[2:3], v[40:41], 0, 8
	v_cmp_ge_u64_e32 vcc, v[2:3], v[4:5]
	s_xor_b64 s[60:61], s[58:59], -1
	s_or_b64 vcc, s[60:61], vcc
	s_and_b64 vcc, exec, vcc
	s_or_b64 s[56:57], vcc, s[56:57]
	s_andn2_b64 exec, exec, s[56:57]
	s_cbranch_execz .LBB18_69
.LBB18_65:                              ;   Parent Loop BB18_47 Depth=1
                                        ;     Parent Loop BB18_57 Depth=2
                                        ; =>    This Inner Loop Header: Depth=3
	s_sleep 1
	flat_load_dwordx2 v[40:41], v[58:59] sc0 sc1
	v_and_b32_e32 v1, 64, v57
	v_cmp_eq_u32_e32 vcc, 0, v1
	s_andn2_b64 s[58:59], s[58:59], exec
	s_and_saveexec_b64 s[60:61], vcc
	s_cbranch_execz .LBB18_64
; %bb.66:                               ;   in Loop: Header=BB18_65 Depth=3
	v_add_u32_e32 v1, 1, v0
	v_cmp_lt_i32_e32 vcc, s84, v0
	s_mov_b64 s[64:65], -1
	s_and_saveexec_b64 s[62:63], vcc
	s_cbranch_execz .LBB18_63
; %bb.67:                               ;   in Loop: Header=BB18_65 Depth=3
	s_trap 2
	ds_read_b64 v[0:1], v0
	s_waitcnt vmcnt(0) lgkmcnt(0)
	flat_load_dword v0, v[0:1] sc0 sc1
	s_waitcnt vmcnt(0) lgkmcnt(0)
	buffer_inv sc0 sc1
	v_cmp_ne_u32_e32 vcc, 0, v0
	s_and_saveexec_b64 s[66:67], vcc
	s_cbranch_execz .LBB18_62
; %bb.68:                               ;   in Loop: Header=BB18_65 Depth=3
	v_or_b32_e32 v57, 64, v57
	s_xor_b64 s[64:65], exec, -1
	ds_write_b32 v0, v0
	s_trap 2
	s_branch .LBB18_62
.LBB18_69:                              ;   in Loop: Header=BB18_57 Depth=2
	s_or_b64 exec, exec, s[56:57]
	v_and_b32_e32 v0, 8, v57
.LBB18_70:                              ;   in Loop: Header=BB18_57 Depth=2
	s_or_b64 exec, exec, s[54:55]
	v_cmp_eq_u32_e32 vcc, 0, v0
	s_orn2_b64 s[54:55], vcc, exec
	;;#ASMSTART
	s_wakeup
	;;#ASMEND
.LBB18_71:                              ;   in Loop: Header=BB18_57 Depth=2
	s_or_b64 exec, exec, s[22:23]
	v_sub_u32_e32 v0, v16, v54
	s_xor_b64 s[22:23], s[54:55], -1
	v_min_i32_e32 v26, v26, v0
	s_and_saveexec_b64 s[54:55], s[22:23]
	s_cbranch_execz .LBB18_81
; %bb.72:                               ;   in Loop: Header=BB18_57 Depth=2
	v_and_b32_e32 v0, 0x100, v57
	v_cmp_ne_u32_e32 vcc, 0, v0
	v_accvgpr_read_b32 v0, a26
	v_and_b32_e32 v0, 7, v0
	s_mov_b64 s[22:23], -1
	v_accvgpr_read_b32 v1, a27
                                        ; implicit-def: $vgpr4_vgpr5
	s_and_saveexec_b64 s[56:57], vcc
	s_cbranch_execz .LBB18_76
; %bb.73:                               ;   in Loop: Header=BB18_57 Depth=2
	v_accvgpr_read_b32 v2, a16
	v_accvgpr_read_b32 v3, a17
	v_mad_u64_u32 v[12:13], s[22:23], v0, 24, v[2:3]
	flat_load_dword v1, v[12:13]
	v_ashrrev_i32_e32 v27, 31, v26
	v_lshlrev_b64 v[2:3], 1, v[26:27]
	flat_store_dwordx2 v[12:13], v[2:3] offset:8
                                        ; implicit-def: $vgpr4_vgpr5
	s_waitcnt vmcnt(0) lgkmcnt(0)
	v_cmp_ne_u32_e32 vcc, 1, v1
	v_cmp_eq_u32_e64 s[22:23], 1, v1
	s_and_saveexec_b64 s[58:59], s[22:23]
	s_cbranch_execz .LBB18_75
; %bb.74:                               ;   in Loop: Header=BB18_57 Depth=2
	flat_load_dword v2, v[12:13] offset:4 sc0 sc1
	s_waitcnt vmcnt(0) lgkmcnt(0)
	v_ashrrev_i32_e32 v3, 31, v2
	v_lshrrev_b64 v[4:5], 1, v[2:3]
.LBB18_75:                              ;   in Loop: Header=BB18_57 Depth=2
	s_or_b64 exec, exec, s[58:59]
	v_accvgpr_read_b32 v12, a44
	s_orn2_b64 s[22:23], vcc, exec
	v_accvgpr_read_b32 v13, a45
.LBB18_76:                              ;   in Loop: Header=BB18_57 Depth=2
	s_or_b64 exec, exec, s[56:57]
	s_and_saveexec_b64 vcc, s[22:23]
; %bb.77:                               ;   in Loop: Header=BB18_57 Depth=2
	v_accvgpr_read_b32 v2, a28
	v_mad_i64_i32 v[4:5], s[22:23], v0, v2, 0
; %bb.78:                               ;   in Loop: Header=BB18_57 Depth=2
	s_or_b64 exec, exec, vcc
	v_lshl_add_u64 v[0:1], v[4:5], 1, v[48:49]
	ds_write_b64 v0, v[0:1] offset:784
	v_and_b32_e32 v0, 0x2000, v57
	v_cmp_ne_u32_e32 vcc, 0, v0
	s_and_saveexec_b64 s[22:23], vcc
	s_cbranch_execz .LBB18_80
; %bb.79:                               ;   in Loop: Header=BB18_57 Depth=2
	ds_read_b64 v[0:1], v0 offset:584
	s_waitcnt lgkmcnt(0)
	v_lshl_add_u64 v[0:1], v[0:1], 0, 1
	ds_write_b64 v0, v[0:1] offset:584
.LBB18_80:                              ;   in Loop: Header=BB18_57 Depth=2
	s_or_b64 exec, exec, s[22:23]
	v_accvgpr_read_b32 v0, a26
	v_accvgpr_read_b32 v1, a27
	v_lshl_add_u64 v[0:1], v[0:1], 0, 2
	v_accvgpr_write_b32 a27, v1
	v_accvgpr_write_b32 a26, v0
.LBB18_81:                              ;   in Loop: Header=BB18_57 Depth=2
	s_or_b64 exec, exec, s[54:55]
	s_and_saveexec_b64 s[22:23], s[4:5]
	s_cbranch_execz .LBB18_100
; %bb.82:                               ;   in Loop: Header=BB18_57 Depth=2
	s_and_saveexec_b64 vcc, s[38:39]
	s_xor_b64 s[54:55], exec, vcc
	s_cbranch_execz .LBB18_97
; %bb.83:                               ;   in Loop: Header=BB18_57 Depth=2
	s_and_saveexec_b64 s[56:57], s[12:13]
	s_cbranch_execz .LBB18_96
; %bb.84:                               ;   in Loop: Header=BB18_57 Depth=2
	s_mov_b64 s[60:61], exec
	v_mbcnt_lo_u32_b32 v0, s60, 0
	v_mbcnt_hi_u32_b32 v0, s61, v0
	v_cmp_eq_u32_e32 vcc, 0, v0
	s_waitcnt lgkmcnt(0)
	s_and_saveexec_b64 s[58:59], vcc
	s_cbranch_execz .LBB18_86
; %bb.85:                               ;   in Loop: Header=BB18_57 Depth=2
	s_bcnt1_i32_b64 vcc_lo, s[60:61]
	v_mov_b32_e32 v38, vcc_lo
	ds_add_u64 v0, v[38:39]
	s_trap 2
.LBB18_86:                              ;   in Loop: Header=BB18_57 Depth=2
	s_or_b64 exec, exec, s[58:59]
	s_trap 2
	ds_read_b64 v[0:1], v0
	v_lshl_add_u64 v[46:47], v[46:47], 0, v[36:37]
	s_waitcnt lgkmcnt(0)
	v_cmp_lt_u64_e32 vcc, v[0:1], v[46:47]
	s_and_saveexec_b64 s[58:59], vcc
	s_cbranch_execz .LBB18_95
; %bb.87:                               ;   in Loop: Header=BB18_57 Depth=2
	s_mov_b32 s71, 0
	s_mov_b64 s[60:61], 0
                                        ; implicit-def: $sgpr62_sgpr63
                                        ; implicit-def: $sgpr64_sgpr65
	s_branch .LBB18_89
.LBB18_88:                              ;   in Loop: Header=BB18_89 Depth=3
	s_or_b64 exec, exec, s[68:69]
	s_and_b64 vcc, exec, vcc
	s_or_b64 s[60:61], vcc, s[60:61]
	s_andn2_b64 vcc, s[62:63], exec
	s_and_b64 s[62:63], s[64:65], exec
	s_or_b64 s[62:63], vcc, s[62:63]
	s_andn2_b64 exec, exec, s[60:61]
	s_cbranch_execz .LBB18_93
.LBB18_89:                              ;   Parent Loop BB18_47 Depth=1
                                        ;     Parent Loop BB18_57 Depth=2
                                        ; =>    This Inner Loop Header: Depth=3
	s_add_i32 s71, s71, 1
	s_cmpk_lg_i32 s71, 0x2710
	s_cselect_b64 s[66:67], -1, 0
	s_and_b64 vcc, exec, s[66:67]
                                        ; implicit-def: $sgpr68_sgpr69
	s_cbranch_vccnz .LBB18_91
; %bb.90:                               ;   in Loop: Header=BB18_89 Depth=3
	s_trap 2
	ds_read_b64 v[0:1], v0
	s_andn2_b64 s[66:67], s[66:67], exec
	s_mov_b32 s71, 0
	s_mov_b64 s[68:69], -1
	s_waitcnt lgkmcnt(0)
	flat_load_dword v0, v[0:1] sc0 sc1
	s_waitcnt vmcnt(0) lgkmcnt(0)
	buffer_inv sc0 sc1
	v_cmp_eq_u32_e32 vcc, 0, v0
	s_and_b64 vcc, vcc, exec
	s_or_b64 s[66:67], s[66:67], vcc
.LBB18_91:                              ;   in Loop: Header=BB18_89 Depth=3
	s_andn2_b64 s[64:65], s[64:65], exec
	s_and_b64 s[68:69], s[68:69], exec
	s_mov_b64 vcc, -1
	s_or_b64 s[64:65], s[64:65], s[68:69]
	s_and_saveexec_b64 s[68:69], s[66:67]
	s_cbranch_execz .LBB18_88
; %bb.92:                               ;   in Loop: Header=BB18_89 Depth=3
	s_sleep 1
	s_trap 2
	ds_read_b64 v[0:1], v0
	s_andn2_b64 s[64:65], s[64:65], exec
	s_waitcnt lgkmcnt(0)
	v_cmp_ge_u64_e32 vcc, v[0:1], v[46:47]
	s_orn2_b64 vcc, vcc, exec
	s_branch .LBB18_88
.LBB18_93:                              ;   in Loop: Header=BB18_57 Depth=2
	s_or_b64 exec, exec, s[60:61]
	s_and_saveexec_b64 vcc, s[62:63]
	s_xor_b64 vcc, exec, vcc
	s_cbranch_execz .LBB18_95
; %bb.94:                               ;   in Loop: Header=BB18_57 Depth=2
	ds_write_b32 v0, v15
	s_trap 2
.LBB18_95:                              ;   in Loop: Header=BB18_57 Depth=2
	s_or_b64 exec, exec, s[58:59]
	;;#ASMSTART
	s_wakeup
	;;#ASMEND
.LBB18_96:                              ;   in Loop: Header=BB18_57 Depth=2
	s_or_b64 exec, exec, s[56:57]
.LBB18_97:                              ;   in Loop: Header=BB18_57 Depth=2
	s_andn2_saveexec_b64 vcc, s[54:55]
	s_cbranch_execz .LBB18_99
; %bb.98:                               ;   in Loop: Header=BB18_57 Depth=2
	s_waitcnt lgkmcnt(0)
	s_barrier
.LBB18_99:                              ;   in Loop: Header=BB18_57 Depth=2
	s_or_b64 exec, exec, vcc
.LBB18_100:                             ;   in Loop: Header=BB18_57 Depth=2
	s_or_b64 exec, exec, s[22:23]
	s_trap 2
	ds_read_b32 v1, v0
	v_and_b32_e32 v0, 0x4000, v57
	v_cmp_ne_u32_e32 vcc, 0, v0
	s_xor_b64 s[22:23], s[2:3], -1
	s_and_b64 vcc, s[22:23], vcc
	s_and_saveexec_b64 s[22:23], vcc
	s_cbranch_execz .LBB18_119
; %bb.101:                              ;   in Loop: Header=BB18_57 Depth=2
	s_and_saveexec_b64 vcc, s[38:39]
	s_xor_b64 s[54:55], exec, vcc
	s_cbranch_execz .LBB18_116
; %bb.102:                              ;   in Loop: Header=BB18_57 Depth=2
	s_and_saveexec_b64 s[56:57], s[12:13]
	s_cbranch_execz .LBB18_115
; %bb.103:                              ;   in Loop: Header=BB18_57 Depth=2
	s_mov_b64 s[60:61], exec
	v_mbcnt_lo_u32_b32 v0, s60, 0
	v_mbcnt_hi_u32_b32 v0, s61, v0
	v_cmp_eq_u32_e32 vcc, 0, v0
	s_waitcnt lgkmcnt(0)
	s_and_saveexec_b64 s[58:59], vcc
	s_cbranch_execz .LBB18_105
; %bb.104:                              ;   in Loop: Header=BB18_57 Depth=2
	s_bcnt1_i32_b64 vcc_lo, s[60:61]
	v_mov_b32_e32 v38, vcc_lo
	ds_add_u64 v0, v[38:39]
	s_trap 2
.LBB18_105:                             ;   in Loop: Header=BB18_57 Depth=2
	s_or_b64 exec, exec, s[58:59]
	s_trap 2
	ds_read_b64 v[2:3], v0
	v_lshl_add_u64 v[46:47], v[46:47], 0, v[36:37]
	s_waitcnt lgkmcnt(0)
	v_cmp_lt_u64_e32 vcc, v[2:3], v[46:47]
	s_and_saveexec_b64 s[58:59], vcc
	s_cbranch_execz .LBB18_114
; %bb.106:                              ;   in Loop: Header=BB18_57 Depth=2
	s_mov_b32 s71, 0
	s_mov_b64 s[60:61], 0
                                        ; implicit-def: $sgpr62_sgpr63
                                        ; implicit-def: $sgpr64_sgpr65
	s_branch .LBB18_108
.LBB18_107:                             ;   in Loop: Header=BB18_108 Depth=3
	s_or_b64 exec, exec, s[68:69]
	s_and_b64 vcc, exec, vcc
	s_or_b64 s[60:61], vcc, s[60:61]
	s_andn2_b64 vcc, s[62:63], exec
	s_and_b64 s[62:63], s[64:65], exec
	s_or_b64 s[62:63], vcc, s[62:63]
	s_andn2_b64 exec, exec, s[60:61]
	s_cbranch_execz .LBB18_112
.LBB18_108:                             ;   Parent Loop BB18_47 Depth=1
                                        ;     Parent Loop BB18_57 Depth=2
                                        ; =>    This Inner Loop Header: Depth=3
	s_add_i32 s71, s71, 1
	s_cmpk_lg_i32 s71, 0x2710
	s_cselect_b64 s[66:67], -1, 0
	s_and_b64 vcc, exec, s[66:67]
                                        ; implicit-def: $sgpr68_sgpr69
	s_cbranch_vccnz .LBB18_110
; %bb.109:                              ;   in Loop: Header=BB18_108 Depth=3
	s_trap 2
	ds_read_b64 v[2:3], v0
	s_andn2_b64 s[66:67], s[66:67], exec
	s_mov_b32 s71, 0
	s_mov_b64 s[68:69], -1
	s_waitcnt lgkmcnt(0)
	flat_load_dword v0, v[2:3] sc0 sc1
	s_waitcnt vmcnt(0) lgkmcnt(0)
	buffer_inv sc0 sc1
	v_cmp_eq_u32_e32 vcc, 0, v0
	s_and_b64 vcc, vcc, exec
	s_or_b64 s[66:67], s[66:67], vcc
.LBB18_110:                             ;   in Loop: Header=BB18_108 Depth=3
	s_andn2_b64 s[64:65], s[64:65], exec
	s_and_b64 s[68:69], s[68:69], exec
	s_mov_b64 vcc, -1
	s_or_b64 s[64:65], s[64:65], s[68:69]
	s_and_saveexec_b64 s[68:69], s[66:67]
	s_cbranch_execz .LBB18_107
; %bb.111:                              ;   in Loop: Header=BB18_108 Depth=3
	s_sleep 1
	s_trap 2
	ds_read_b64 v[2:3], v0
	s_andn2_b64 s[64:65], s[64:65], exec
	s_waitcnt lgkmcnt(0)
	v_cmp_ge_u64_e32 vcc, v[2:3], v[46:47]
	s_orn2_b64 vcc, vcc, exec
	s_branch .LBB18_107
.LBB18_112:                             ;   in Loop: Header=BB18_57 Depth=2
	s_or_b64 exec, exec, s[60:61]
	s_and_saveexec_b64 vcc, s[62:63]
	s_xor_b64 vcc, exec, vcc
	s_cbranch_execz .LBB18_114
; %bb.113:                              ;   in Loop: Header=BB18_57 Depth=2
	ds_write_b32 v0, v15
	s_trap 2
.LBB18_114:                             ;   in Loop: Header=BB18_57 Depth=2
	s_or_b64 exec, exec, s[58:59]
	;;#ASMSTART
	s_wakeup
	;;#ASMEND
.LBB18_115:                             ;   in Loop: Header=BB18_57 Depth=2
	s_or_b64 exec, exec, s[56:57]
.LBB18_116:                             ;   in Loop: Header=BB18_57 Depth=2
	s_andn2_saveexec_b64 vcc, s[54:55]
	s_cbranch_execz .LBB18_118
; %bb.117:                              ;   in Loop: Header=BB18_57 Depth=2
	s_waitcnt lgkmcnt(0)
	s_barrier
.LBB18_118:                             ;   in Loop: Header=BB18_57 Depth=2
	s_or_b64 exec, exec, vcc
.LBB18_119:                             ;   in Loop: Header=BB18_57 Depth=2
	s_or_b64 exec, exec, s[22:23]
	s_trap 2
	ds_read_b64 v[2:3], v0
	v_mov_b32_e32 v27, 0
	s_waitcnt lgkmcnt(0)
	v_readfirstlane_b32 s22, v2
	v_readfirstlane_b32 s23, v3
	s_cmp_eq_u64 s[22:23], 0
	s_cselect_b64 s[22:23], -1, 0
	s_or_b64 s[22:23], s[22:23], s[22:23]
	s_and_b64 vcc, exec, s[22:23]
	s_cbranch_vccnz .LBB18_126
; %bb.120:                              ;   in Loop: Header=BB18_57 Depth=2
	s_mov_b64 s[22:23], -1
	s_and_saveexec_b64 s[54:55], s[14:15]
	s_cbranch_execz .LBB18_122
; %bb.121:                              ;   in Loop: Header=BB18_57 Depth=2
	ds_read_b32 v0, v0 offset:720
	s_waitcnt lgkmcnt(0)
	v_and_b32_e32 v0, 15, v0
	v_cmp_eq_u32_e32 vcc, 0, v0
	s_orn2_b64 s[22:23], vcc, exec
.LBB18_122:                             ;   in Loop: Header=BB18_57 Depth=2
	s_or_b64 exec, exec, s[54:55]
	s_and_saveexec_b64 s[54:55], s[16:17]
	s_cbranch_execz .LBB18_124
; %bb.123:                              ;   in Loop: Header=BB18_57 Depth=2
	ds_read_b32 v0, v0 offset:784
	s_waitcnt lgkmcnt(0)
	v_and_b32_e32 v0, 15, v0
	v_cmp_eq_u32_e32 vcc, 0, v0
	s_and_b64 vcc, s[22:23], vcc
	s_andn2_b64 s[22:23], s[22:23], exec
	s_and_b64 vcc, vcc, exec
	s_or_b64 s[22:23], s[22:23], vcc
.LBB18_124:                             ;   in Loop: Header=BB18_57 Depth=2
	s_or_b64 exec, exec, s[54:55]
	v_cmp_eq_u32_e32 vcc, 0, v1
	s_xor_b64 s[22:23], s[22:23], -1
	v_cndmask_b32_e64 v1, 0, 1, s[22:23]
	v_cndmask_b32_e32 v27, 0, v26, vcc
	v_mov_b32_e32 v0, 0
	v_lshlrev_b32_e32 v2, 1, v27
	s_mov_b64 s[56:57], -1
	;;#ASMSTART
	;;#ASMEND
	s_nop 0
	v_cmp_ne_u32_e32 vcc, 0, v1
	s_cbranch_vccz .LBB18_132
; %bb.125:                              ;   in Loop: Header=BB18_57 Depth=2
	v_mov_b32_e32 v1, v56
	s_waitcnt vmcnt(0)
	v_mov_b32_e32 v12, v34
	s_and_saveexec_b64 s[22:23], s[56:57]
	s_cbranch_execnz .LBB18_145
	s_branch .LBB18_154
.LBB18_126:                             ;   in Loop: Header=BB18_57 Depth=2
	s_and_saveexec_b64 s[22:23], s[4:5]
	s_cbranch_execnz .LBB18_155
.LBB18_127:                             ;   in Loop: Header=BB18_57 Depth=2
	s_or_b64 exec, exec, s[22:23]
                                        ; implicit-def: $vgpr0
	s_and_saveexec_b64 s[22:23], s[20:21]
	s_xor_b64 s[54:55], exec, s[22:23]
	s_cbranch_execz .LBB18_173
.LBB18_128:                             ;   in Loop: Header=BB18_57 Depth=2
	v_and_b32_e32 v1, 16, v57
	v_cmp_lt_i32_e32 vcc, 0, v27
	v_cmp_ne_u32_e64 s[22:23], 0, v1
	v_and_b32_e32 v0, 16, v57
	s_and_b64 vcc, s[22:23], vcc
	s_and_saveexec_b64 s[22:23], vcc
	s_cbranch_execz .LBB18_130
; %bb.129:                              ;   in Loop: Header=BB18_57 Depth=2
	v_mov_b32_e32 v0, 1
	buffer_wbl2 sc1
	s_waitcnt vmcnt(0) lgkmcnt(0)
	buffer_inv sc1
.LBB18_130:                             ;   in Loop: Header=BB18_57 Depth=2
	s_or_b64 exec, exec, s[22:23]
	s_andn2_saveexec_b64 s[22:23], s[54:55]
	s_cbranch_execnz .LBB18_174
.LBB18_131:                             ;   in Loop: Header=BB18_57 Depth=2
	s_or_b64 exec, exec, s[22:23]
	v_cmp_ne_u32_e32 vcc, 0, v0
	s_and_saveexec_b64 s[22:23], vcc
	s_cbranch_execz .LBB18_56
	s_branch .LBB18_192
.LBB18_132:                             ;   in Loop: Header=BB18_57 Depth=2
	v_ashrrev_i32_e32 v0, 31, v2
	v_lshrrev_b32_e32 v0, 19, v0
	v_add_u32_e32 v0, v2, v0
	v_ashrrev_i32_e32 v0, 13, v0
	s_waitcnt vmcnt(0)
	v_sub_u32_e32 v14, v0, v34
	v_cmp_lt_i32_e32 vcc, 0, v14
	s_and_saveexec_b64 s[54:55], vcc
	s_cbranch_execz .LBB18_136
; %bb.133:                              ;   in Loop: Header=BB18_57 Depth=2
	s_trap 2
	ds_read_b64 v[4:5], v0
	v_accvgpr_write_b32 a14, v46
	v_accvgpr_write_b32 a4, v40
	v_mov_b32_e32 v1, v39
	v_accvgpr_write_b32 a15, v47
	v_accvgpr_write_b32 a5, v41
	s_mov_b64 s[56:57], 0
	s_waitcnt lgkmcnt(0)
	v_mov_b64_e32 v[12:13], v[4:5]
	v_mov_b64_e32 v[42:43], v[36:37]
	;; [unrolled: 1-line block ×3, first 2 shown]
.LBB18_134:                             ;   Parent Loop BB18_47 Depth=1
                                        ;     Parent Loop BB18_57 Depth=2
                                        ; =>    This Inner Loop Header: Depth=3
	s_waitcnt vmcnt(6)
	v_lshl_add_u64 v[6:7], v[22:23], 0, v[12:13]
	global_load_dwordx4 v[18:21], v[6:7], off nt
	global_load_dwordx4 v[22:25], v[6:7], off offset:1024 nt
	global_load_dwordx4 v[30:33], v[6:7], off offset:2048 nt
	;; [unrolled: 1-line block ×3, first 2 shown]
	v_add_co_u32_e32 v6, vcc, 0x1000, v6
	v_sub_u32_e32 v14, v14, v42
	s_nop 0
	v_addc_co_u32_e32 v7, vcc, 0, v7, vcc
	global_load_dwordx4 v[48:51], v[6:7], off nt
	global_load_dwordx4 v[38:41], v[6:7], off offset:1024 nt
	global_load_dwordx4 v[44:47], v[6:7], off offset:2048 nt
	s_nop 0
	global_load_dwordx4 v[6:9], v[6:7], off offset:3072 nt
	s_nop 0
	scratch_load_dwordx2 v[28:29], off, s33 offset:192 ; 8-byte Folded Reload
	v_cmp_gt_i32_e64 s[22:23], 1, v14
	v_lshl_add_u64 v[12:13], v[12:13], 0, v[60:61]
	s_or_b64 s[56:57], s[22:23], s[56:57]
	s_waitcnt vmcnt(0)
	v_lshl_add_u64 v[28:29], v[28:29], 0, v[4:5]
	global_store_dwordx4 v[28:29], v[18:21], off nt
	global_store_dwordx4 v[28:29], v[22:25], off offset:1024 nt
	scratch_load_dwordx2 v[22:23], off, s33 offset:192 ; 8-byte Folded Reload
	v_lshl_add_u64 v[4:5], v[4:5], 0, v[60:61]
	v_add_co_u32_e32 v52, vcc, 0x1000, v28
	s_nop 1
	v_addc_co_u32_e32 v53, vcc, 0, v29, vcc
	global_store_dwordx4 v[28:29], v[30:33], off offset:2048 nt
	global_store_dwordx4 v[28:29], v[34:37], off offset:3072 nt
	global_store_dwordx4 v[52:53], v[48:51], off nt
	global_store_dwordx4 v[52:53], v[38:41], off offset:1024 nt
	global_store_dwordx4 v[52:53], v[44:47], off offset:2048 nt
	;; [unrolled: 1-line block ×3, first 2 shown]
	s_andn2_b64 exec, exec, s[56:57]
	s_cbranch_execnz .LBB18_134
; %bb.135:                              ;   in Loop: Header=BB18_57 Depth=2
	s_or_b64 exec, exec, s[56:57]
	scratch_load_dword v50, off, s33 offset:208 ; 4-byte Folded Reload
	scratch_load_dword v28, off, s33 offset:204 ; 4-byte Folded Reload
	;; [unrolled: 1-line block ×3, first 2 shown]
	scratch_load_dwordx2 v[20:21], off, s33 offset:184 ; 8-byte Folded Reload
	v_accvgpr_mov_b32 a17, a11
	v_accvgpr_read_b32 v49, a23
	v_accvgpr_read_b32 v53, a25
	;; [unrolled: 1-line block ×7, first 2 shown]
	v_accvgpr_mov_b32 a16, a10
	v_accvgpr_read_b32 v48, a22
	v_accvgpr_read_b32 v52, a24
	;; [unrolled: 1-line block ×4, first 2 shown]
	v_mov_b32_e32 v39, v1
	v_accvgpr_read_b32 v35, a21
	v_mov_b64_e32 v[36:37], v[42:43]
	v_mov_b64_e32 v[30:31], v[60:61]
	v_accvgpr_read_b32 v33, a47
	v_accvgpr_read_b32 v25, a49
	;; [unrolled: 1-line block ×3, first 2 shown]
.LBB18_136:                             ;   in Loop: Header=BB18_57 Depth=2
	s_or_b64 exec, exec, s[54:55]
	v_lshlrev_b32_e32 v9, 13, v0
	v_cmp_ne_u32_e32 vcc, v2, v9
	s_mov_b64 s[56:57], 0
	v_mov_b32_e32 v0, 0
                                        ; implicit-def: $vgpr1
                                        ; implicit-def: $vgpr12
	s_and_saveexec_b64 s[54:55], vcc
	s_cbranch_execz .LBB18_144
; %bb.137:                              ;   in Loop: Header=BB18_57 Depth=2
	scratch_load_dword v1, off, s33 offset:212 ; 4-byte Folded Reload
	v_lshlrev_b32_e32 v0, 6, v14
	v_sub_u32_e32 v3, v2, v9
	v_ashrrev_i32_e32 v5, 31, v3
	v_lshrrev_b32_e32 v5, 22, v5
	v_add_u32_e32 v5, v3, v5
	v_and_b32_e32 v15, 0xfffffc00, v5
	v_sub_u32_e32 v18, v3, v15
	v_ashrrev_i32_e32 v6, 10, v5
	v_cmp_lt_i32_e32 vcc, 15, v18
	s_waitcnt vmcnt(0)
	v_sub_u32_e32 v0, v1, v0
	v_ashrrev_i32_e32 v1, 31, v0
	v_lshrrev_b32_e32 v1, 26, v1
	v_add_u32_e32 v1, v0, v1
	v_ashrrev_i32_e32 v4, 6, v1
	v_and_b32_e32 v1, 0xffffffc0, v1
	v_sub_u32_e32 v14, v0, v1
	v_lshlrev_b32_e32 v0, 4, v14
	v_lshl_add_u32 v1, v4, 10, v0
	v_sub_u32_e32 v0, v3, v1
	v_addc_co_u32_e64 v3, s[22:23], 0, v6, vcc
	v_sub_u32_e32 v17, v3, v4
	v_cmp_lt_i32_e64 s[22:23], 15, v0
	s_and_saveexec_b64 s[56:57], s[22:23]
	s_cbranch_execz .LBB18_141
; %bb.138:                              ;   in Loop: Header=BB18_57 Depth=2
	s_trap 2
	ds_read_b64 v[4:5], v0
	v_add_u32_e32 v12, v1, v9
	v_ashrrev_i32_e32 v13, 31, v12
	s_mov_b64 s[58:59], 0
.LBB18_139:                             ;   Parent Loop BB18_47 Depth=1
                                        ;     Parent Loop BB18_57 Depth=2
                                        ; =>    This Inner Loop Header: Depth=3
	s_waitcnt lgkmcnt(0)
	v_lshl_add_u64 v[6:7], v[4:5], 0, v[12:13]
	global_load_dwordx4 v[20:23], v[6:7], off nt
	v_sub_u32_e32 v0, v0, v50
	v_cmp_gt_i32_e64 s[22:23], 16, v0
	v_sub_u32_e32 v17, v17, v36
	v_lshl_add_u64 v[12:13], v[12:13], 0, v[32:33]
	s_or_b64 s[58:59], s[22:23], s[58:59]
	s_waitcnt vmcnt(0)
	global_store_dwordx4 v[6:7], v[20:23], off nt
	s_andn2_b64 exec, exec, s[58:59]
	s_cbranch_execnz .LBB18_139
; %bb.140:                              ;   in Loop: Header=BB18_57 Depth=2
	s_or_b64 exec, exec, s[58:59]
	scratch_load_dwordx2 v[22:23], off, s33 offset:192 ; 8-byte Folded Reload
	scratch_load_dwordx2 v[20:21], off, s33 offset:184 ; 8-byte Folded Reload
.LBB18_141:                             ;   in Loop: Header=BB18_57 Depth=2
	s_or_b64 exec, exec, s[56:57]
	v_and_b32_e32 v4, 14, v2
	v_cndmask_b32_e32 v2, v18, v4, vcc
	v_cmp_ne_u32_e64 s[22:23], 0, v2
	s_mov_b64 s[56:57], 0
	v_mov_b32_e32 v0, 0
                                        ; implicit-def: $vgpr1
                                        ; implicit-def: $vgpr12
	s_and_saveexec_b64 s[58:59], s[22:23]
	s_cbranch_execz .LBB18_143
; %bb.142:                              ;   in Loop: Header=BB18_57 Depth=2
	v_sub_u32_e32 v0, v18, v4
	v_cndmask_b32_e32 v0, 0, v0, vcc
	v_cmp_lt_i32_e32 vcc, 0, v17
	s_mov_b64 s[56:57], exec
	v_add3_u32 v0, v15, v9, v0
	v_cndmask_b32_e32 v1, 0, v36, vcc
	v_sub_u32_e32 v1, v1, v17
	v_lshl_add_u32 v1, v1, 6, v14
	v_ashrrev_i32_e32 v3, 31, v1
	v_lshrrev_b32_e32 v3, 26, v3
	v_add_u32_e32 v3, v1, v3
	v_ashrrev_i32_e32 v12, 6, v3
.LBB18_143:                             ;   in Loop: Header=BB18_57 Depth=2
	s_or_b64 exec, exec, s[58:59]
	v_accvgpr_read_b32 v18, a50
	s_and_b64 s[56:57], s[56:57], exec
	v_accvgpr_read_b32 v19, a51
	v_mov_b32_e32 v15, 1
.LBB18_144:                             ;   in Loop: Header=BB18_57 Depth=2
	s_or_b64 exec, exec, s[54:55]
	s_and_saveexec_b64 s[22:23], s[56:57]
	s_cbranch_execz .LBB18_154
.LBB18_145:                             ;   in Loop: Header=BB18_57 Depth=2
	v_ashrrev_i32_e32 v3, 31, v2
	v_lshrrev_b32_e32 v3, 21, v3
	v_add_u32_e32 v3, v2, v3
	v_ashrrev_i32_e32 v18, 11, v3
	v_sub_u32_e32 v9, v18, v12
	v_ashrrev_i32_e32 v3, 31, v1
	v_cmp_lt_i32_e32 vcc, 0, v9
	v_lshrrev_b32_e32 v17, 26, v3
	s_and_saveexec_b64 s[54:55], vcc
	s_cbranch_execz .LBB18_149
; %bb.146:                              ;   in Loop: Header=BB18_57 Depth=2
	s_trap 2
	ds_read_b64 v[4:5], v0
	v_add_u32_e32 v3, v1, v17
	v_and_b32_e32 v3, 0x7fffffc0, v3
	v_sub_u32_e32 v3, v1, v3
	v_lshlrev_b32_e32 v3, 1, v3
	v_lshlrev_b32_e32 v6, 11, v12
	v_add3_u32 v12, v3, v0, v6
	v_accvgpr_read_b32 v42, a44
	v_ashrrev_i32_e32 v13, 31, v12
	s_mov_b64 s[56:57], 0
	s_waitcnt lgkmcnt(0)
	v_mov_b64_e32 v[14:15], v[4:5]
	v_accvgpr_read_b32 v43, a45
.LBB18_147:                             ;   Parent Loop BB18_47 Depth=1
                                        ;     Parent Loop BB18_57 Depth=2
                                        ; =>    This Inner Loop Header: Depth=3
	v_lshl_add_u64 v[6:7], v[12:13], 0, v[14:15]
	flat_load_ushort v3, v[6:7] nt
	flat_load_ushort v8, v[6:7] offset:128 nt
	flat_load_ushort v19, v[6:7] offset:256 nt
	s_waitcnt vmcnt(0)
	flat_load_ushort v20, v[6:7] offset:384 nt
	flat_load_ushort v21, v[6:7] offset:512 nt
	;; [unrolled: 1-line block ×13, first 2 shown]
	v_sub_u32_e32 v9, v9, v36
	v_cmp_gt_i32_e32 vcc, 1, v9
	v_lshl_add_u64 v[6:7], v[12:13], 0, v[4:5]
	v_lshl_add_u64 v[14:15], v[14:15], 0, v[42:43]
	;; [unrolled: 1-line block ×3, first 2 shown]
	s_or_b64 s[56:57], vcc, s[56:57]
	s_waitcnt lgkmcnt(0)
	flat_store_short v[6:7], v3 nt
	flat_store_short v[6:7], v8 offset:128 nt
	flat_store_short v[6:7], v19 offset:256 nt
	s_waitcnt vmcnt(0)
	flat_store_short v[6:7], v20 offset:384 nt
	flat_store_short v[6:7], v21 offset:512 nt
	flat_store_short v[6:7], v22 offset:640 nt
	flat_store_short v[6:7], v23 offset:768 nt
	flat_store_short v[6:7], v24 offset:896 nt
	flat_store_short v[6:7], v25 offset:1024 nt
	flat_store_short v[6:7], v28 offset:1152 nt
	flat_store_short v[6:7], v29 offset:1280 nt
	flat_store_short v[6:7], v30 offset:1408 nt
	flat_store_short v[6:7], v31 offset:1536 nt
	flat_store_short v[6:7], v32 offset:1664 nt
	flat_store_short v[6:7], v33 offset:1792 nt
	flat_store_short v[6:7], v34 offset:1920 nt
	s_andn2_b64 exec, exec, s[56:57]
	s_cbranch_execnz .LBB18_147
; %bb.148:                              ;   in Loop: Header=BB18_57 Depth=2
	s_or_b64 exec, exec, s[56:57]
	scratch_load_dword v28, off, s33 offset:204 ; 4-byte Folded Reload
	scratch_load_dword v34, off, s33 offset:200 ; 4-byte Folded Reload
	scratch_load_dwordx2 v[22:23], off, s33 offset:192 ; 8-byte Folded Reload
	scratch_load_dwordx2 v[20:21], off, s33 offset:184 ; 8-byte Folded Reload
	v_accvgpr_read_b32 v30, a42
	v_accvgpr_read_b32 v32, a46
	;; [unrolled: 1-line block ×6, first 2 shown]
	v_mov_b32_e32 v15, 1
.LBB18_149:                             ;   in Loop: Header=BB18_57 Depth=2
	s_or_b64 exec, exec, s[54:55]
	v_lshlrev_b32_e32 v4, 11, v18
	v_cmp_ne_u32_e32 vcc, v2, v4
	s_and_saveexec_b64 s[54:55], vcc
	s_cbranch_execz .LBB18_153
; %bb.150:                              ;   in Loop: Header=BB18_57 Depth=2
	v_add_u32_e32 v3, v1, v17
	v_and_b32_e32 v3, 0xffffffc0, v3
	v_sub_u32_e32 v1, v1, v3
	v_lshlrev_b32_e32 v3, 6, v9
	v_sub_u32_e32 v1, v1, v3
	v_ashrrev_i32_e32 v3, 31, v1
	v_lshrrev_b32_e32 v3, 26, v3
	v_add_u32_e32 v3, v1, v3
	v_and_b32_e32 v5, 0x7fffffc0, v3
	v_sub_u32_e32 v1, v1, v5
	v_lshlrev_b32_e32 v3, 1, v3
	v_and_b32_e32 v3, 0xffffff80, v3
	v_lshlrev_b32_e32 v1, 1, v1
	v_add3_u32 v9, v3, v1, v4
	v_sub_u32_e32 v1, v2, v9
	v_cmp_lt_i32_e32 vcc, 1, v1
	s_and_b64 exec, exec, vcc
	s_cbranch_execz .LBB18_153
; %bb.151:                              ;   in Loop: Header=BB18_57 Depth=2
	s_trap 2
	ds_read_b64 v[4:5], v0
	v_add_u32_e32 v12, v9, v0
	v_ashrrev_i32_e32 v13, 31, v12
	s_mov_b64 s[56:57], 0
.LBB18_152:                             ;   Parent Loop BB18_47 Depth=1
                                        ;     Parent Loop BB18_57 Depth=2
                                        ; =>    This Inner Loop Header: Depth=3
	s_waitcnt lgkmcnt(0)
	v_lshl_add_u64 v[2:3], v[4:5], 0, v[12:13]
	flat_load_ushort v0, v[2:3] nt
	s_waitcnt vmcnt(0)
	v_sub_u32_e32 v1, v1, v28
	v_cmp_gt_i32_e32 vcc, 2, v1
	v_lshl_add_u64 v[12:13], v[12:13], 0, v[24:25]
	s_or_b64 s[56:57], vcc, s[56:57]
	s_waitcnt lgkmcnt(0)
	flat_store_short v[2:3], v0 nt
	s_andn2_b64 exec, exec, s[56:57]
	s_cbranch_execnz .LBB18_152
.LBB18_153:                             ;   in Loop: Header=BB18_57 Depth=2
	s_or_b64 exec, exec, s[54:55]
	v_accvgpr_read_b32 v18, a50
	v_accvgpr_read_b32 v19, a51
.LBB18_154:                             ;   in Loop: Header=BB18_57 Depth=2
	s_or_b64 exec, exec, s[22:23]
	v_accvgpr_read_b32 v12, a44
	v_accvgpr_read_b32 v13, a45
	s_and_saveexec_b64 s[22:23], s[4:5]
	s_cbranch_execz .LBB18_127
.LBB18_155:                             ;   in Loop: Header=BB18_57 Depth=2
	s_and_saveexec_b64 vcc, s[38:39]
	s_xor_b64 s[54:55], exec, vcc
	s_cbranch_execz .LBB18_170
; %bb.156:                              ;   in Loop: Header=BB18_57 Depth=2
	s_and_saveexec_b64 s[56:57], s[12:13]
	s_cbranch_execz .LBB18_169
; %bb.157:                              ;   in Loop: Header=BB18_57 Depth=2
	s_mov_b64 s[60:61], exec
	v_mbcnt_lo_u32_b32 v0, s60, 0
	v_mbcnt_hi_u32_b32 v0, s61, v0
	v_cmp_eq_u32_e32 vcc, 0, v0
	s_waitcnt lgkmcnt(0)
	s_and_saveexec_b64 s[58:59], vcc
	s_cbranch_execz .LBB18_159
; %bb.158:                              ;   in Loop: Header=BB18_57 Depth=2
	s_bcnt1_i32_b64 vcc_lo, s[60:61]
	v_mov_b32_e32 v38, vcc_lo
	ds_add_u64 v0, v[38:39]
	s_trap 2
.LBB18_159:                             ;   in Loop: Header=BB18_57 Depth=2
	s_or_b64 exec, exec, s[58:59]
	s_trap 2
	ds_read_b64 v[0:1], v0
	v_lshl_add_u64 v[46:47], v[46:47], 0, v[36:37]
	s_waitcnt lgkmcnt(0)
	v_cmp_lt_u64_e32 vcc, v[0:1], v[46:47]
	s_and_saveexec_b64 s[58:59], vcc
	s_cbranch_execz .LBB18_168
; %bb.160:                              ;   in Loop: Header=BB18_57 Depth=2
	s_mov_b32 s71, 0
	s_mov_b64 s[60:61], 0
                                        ; implicit-def: $sgpr62_sgpr63
                                        ; implicit-def: $sgpr64_sgpr65
	s_branch .LBB18_162
.LBB18_161:                             ;   in Loop: Header=BB18_162 Depth=3
	s_or_b64 exec, exec, s[68:69]
	s_and_b64 vcc, exec, vcc
	s_or_b64 s[60:61], vcc, s[60:61]
	s_andn2_b64 vcc, s[62:63], exec
	s_and_b64 s[62:63], s[64:65], exec
	s_or_b64 s[62:63], vcc, s[62:63]
	s_andn2_b64 exec, exec, s[60:61]
	s_cbranch_execz .LBB18_166
.LBB18_162:                             ;   Parent Loop BB18_47 Depth=1
                                        ;     Parent Loop BB18_57 Depth=2
                                        ; =>    This Inner Loop Header: Depth=3
	s_add_i32 s71, s71, 1
	s_cmpk_lg_i32 s71, 0x2710
	s_cselect_b64 s[66:67], -1, 0
	s_and_b64 vcc, exec, s[66:67]
                                        ; implicit-def: $sgpr68_sgpr69
	s_cbranch_vccnz .LBB18_164
; %bb.163:                              ;   in Loop: Header=BB18_162 Depth=3
	s_trap 2
	ds_read_b64 v[0:1], v0
	s_andn2_b64 s[66:67], s[66:67], exec
	s_mov_b32 s71, 0
	s_mov_b64 s[68:69], -1
	s_waitcnt vmcnt(0) lgkmcnt(0)
	flat_load_dword v0, v[0:1] sc0 sc1
	s_waitcnt vmcnt(0) lgkmcnt(0)
	buffer_inv sc0 sc1
	v_cmp_eq_u32_e32 vcc, 0, v0
	s_and_b64 vcc, vcc, exec
	s_or_b64 s[66:67], s[66:67], vcc
.LBB18_164:                             ;   in Loop: Header=BB18_162 Depth=3
	s_andn2_b64 s[64:65], s[64:65], exec
	s_and_b64 s[68:69], s[68:69], exec
	s_mov_b64 vcc, -1
	s_or_b64 s[64:65], s[64:65], s[68:69]
	s_and_saveexec_b64 s[68:69], s[66:67]
	s_cbranch_execz .LBB18_161
; %bb.165:                              ;   in Loop: Header=BB18_162 Depth=3
	s_sleep 1
	s_trap 2
	ds_read_b64 v[0:1], v0
	s_andn2_b64 s[64:65], s[64:65], exec
	s_waitcnt lgkmcnt(0)
	v_cmp_ge_u64_e32 vcc, v[0:1], v[46:47]
	s_orn2_b64 vcc, vcc, exec
	s_branch .LBB18_161
.LBB18_166:                             ;   in Loop: Header=BB18_57 Depth=2
	s_or_b64 exec, exec, s[60:61]
	s_and_saveexec_b64 vcc, s[62:63]
	s_xor_b64 vcc, exec, vcc
	s_cbranch_execz .LBB18_168
; %bb.167:                              ;   in Loop: Header=BB18_57 Depth=2
	ds_write_b32 v0, v15
	s_trap 2
.LBB18_168:                             ;   in Loop: Header=BB18_57 Depth=2
	s_or_b64 exec, exec, s[58:59]
	;;#ASMSTART
	s_wakeup
	;;#ASMEND
.LBB18_169:                             ;   in Loop: Header=BB18_57 Depth=2
	s_or_b64 exec, exec, s[56:57]
.LBB18_170:                             ;   in Loop: Header=BB18_57 Depth=2
	s_andn2_saveexec_b64 vcc, s[54:55]
	s_cbranch_execz .LBB18_172
; %bb.171:                              ;   in Loop: Header=BB18_57 Depth=2
	s_waitcnt lgkmcnt(0)
	s_barrier
.LBB18_172:                             ;   in Loop: Header=BB18_57 Depth=2
	s_or_b64 exec, exec, vcc
	s_or_b64 exec, exec, s[22:23]
                                        ; implicit-def: $vgpr0
	s_and_saveexec_b64 s[22:23], s[20:21]
	s_xor_b64 s[54:55], exec, s[22:23]
	s_cbranch_execnz .LBB18_128
.LBB18_173:                             ;   in Loop: Header=BB18_57 Depth=2
	s_andn2_saveexec_b64 s[22:23], s[54:55]
	s_cbranch_execz .LBB18_131
.LBB18_174:                             ;   in Loop: Header=BB18_57 Depth=2
	s_and_saveexec_b64 vcc, s[38:39]
	s_xor_b64 s[54:55], exec, vcc
	s_cbranch_execz .LBB18_189
; %bb.175:                              ;   in Loop: Header=BB18_57 Depth=2
	s_and_saveexec_b64 s[56:57], s[12:13]
	s_cbranch_execz .LBB18_188
; %bb.176:                              ;   in Loop: Header=BB18_57 Depth=2
	s_mov_b64 s[60:61], exec
	v_mbcnt_lo_u32_b32 v0, s60, 0
	v_mbcnt_hi_u32_b32 v0, s61, v0
	v_cmp_eq_u32_e32 vcc, 0, v0
	;;#ASMSTART
	s_waitcnt lgkmcnt(0) vmcnt(0)
	;;#ASMEND
	s_and_saveexec_b64 s[58:59], vcc
	s_cbranch_execz .LBB18_178
; %bb.177:                              ;   in Loop: Header=BB18_57 Depth=2
	s_bcnt1_i32_b64 vcc_lo, s[60:61]
	v_mov_b32_e32 v38, vcc_lo
	ds_add_u64 v0, v[38:39]
	s_trap 2
.LBB18_178:                             ;   in Loop: Header=BB18_57 Depth=2
	s_or_b64 exec, exec, s[58:59]
	s_trap 2
	ds_read_b64 v[0:1], v0
	v_lshl_add_u64 v[46:47], v[46:47], 0, v[36:37]
	s_waitcnt lgkmcnt(0)
	v_cmp_lt_u64_e32 vcc, v[0:1], v[46:47]
	s_and_saveexec_b64 s[58:59], vcc
	s_cbranch_execz .LBB18_187
; %bb.179:                              ;   in Loop: Header=BB18_57 Depth=2
	s_mov_b32 s71, 0
	s_mov_b64 s[60:61], 0
                                        ; implicit-def: $sgpr62_sgpr63
                                        ; implicit-def: $sgpr64_sgpr65
	s_branch .LBB18_181
.LBB18_180:                             ;   in Loop: Header=BB18_181 Depth=3
	s_or_b64 exec, exec, s[68:69]
	s_and_b64 vcc, exec, vcc
	s_or_b64 s[60:61], vcc, s[60:61]
	s_andn2_b64 vcc, s[62:63], exec
	s_and_b64 s[62:63], s[64:65], exec
	s_or_b64 s[62:63], vcc, s[62:63]
	s_andn2_b64 exec, exec, s[60:61]
	s_cbranch_execz .LBB18_185
.LBB18_181:                             ;   Parent Loop BB18_47 Depth=1
                                        ;     Parent Loop BB18_57 Depth=2
                                        ; =>    This Inner Loop Header: Depth=3
	s_add_i32 s71, s71, 1
	s_cmpk_lg_i32 s71, 0x2710
	s_cselect_b64 s[66:67], -1, 0
	s_and_b64 vcc, exec, s[66:67]
                                        ; implicit-def: $sgpr68_sgpr69
	s_cbranch_vccnz .LBB18_183
; %bb.182:                              ;   in Loop: Header=BB18_181 Depth=3
	s_trap 2
	ds_read_b64 v[0:1], v0
	s_andn2_b64 s[66:67], s[66:67], exec
	s_mov_b32 s71, 0
	s_mov_b64 s[68:69], -1
	s_waitcnt vmcnt(0) lgkmcnt(0)
	flat_load_dword v0, v[0:1] sc0 sc1
	s_waitcnt vmcnt(0) lgkmcnt(0)
	buffer_inv sc0 sc1
	v_cmp_eq_u32_e32 vcc, 0, v0
	s_and_b64 vcc, vcc, exec
	s_or_b64 s[66:67], s[66:67], vcc
.LBB18_183:                             ;   in Loop: Header=BB18_181 Depth=3
	s_andn2_b64 s[64:65], s[64:65], exec
	s_and_b64 s[68:69], s[68:69], exec
	s_mov_b64 vcc, -1
	s_or_b64 s[64:65], s[64:65], s[68:69]
	s_and_saveexec_b64 s[68:69], s[66:67]
	s_cbranch_execz .LBB18_180
; %bb.184:                              ;   in Loop: Header=BB18_181 Depth=3
	s_sleep 1
	s_trap 2
	ds_read_b64 v[0:1], v0
	s_andn2_b64 s[64:65], s[64:65], exec
	s_waitcnt lgkmcnt(0)
	v_cmp_ge_u64_e32 vcc, v[0:1], v[46:47]
	s_orn2_b64 vcc, vcc, exec
	s_branch .LBB18_180
.LBB18_185:                             ;   in Loop: Header=BB18_57 Depth=2
	s_or_b64 exec, exec, s[60:61]
	s_and_saveexec_b64 vcc, s[62:63]
	s_xor_b64 vcc, exec, vcc
	s_cbranch_execz .LBB18_187
; %bb.186:                              ;   in Loop: Header=BB18_57 Depth=2
	ds_write_b32 v0, v15
	s_trap 2
.LBB18_187:                             ;   in Loop: Header=BB18_57 Depth=2
	s_or_b64 exec, exec, s[58:59]
	;;#ASMSTART
	s_wakeup
	;;#ASMEND
.LBB18_188:                             ;   in Loop: Header=BB18_57 Depth=2
	s_or_b64 exec, exec, s[56:57]
.LBB18_189:                             ;   in Loop: Header=BB18_57 Depth=2
	s_andn2_saveexec_b64 vcc, s[54:55]
	s_cbranch_execz .LBB18_191
; %bb.190:                              ;   in Loop: Header=BB18_57 Depth=2
	;;#ASMSTART
	s_waitcnt lgkmcnt(0) vmcnt(0)
	;;#ASMEND
	s_barrier
.LBB18_191:                             ;   in Loop: Header=BB18_57 Depth=2
	s_or_b64 exec, exec, vcc
	v_and_b32_e32 v0, 16, v57
	s_or_b64 exec, exec, s[22:23]
	v_cmp_ne_u32_e32 vcc, 0, v0
	s_and_saveexec_b64 s[22:23], vcc
	s_cbranch_execz .LBB18_56
.LBB18_192:                             ;   in Loop: Header=BB18_57 Depth=2
	s_and_saveexec_b64 vcc, s[10:11]
	s_cbranch_execz .LBB18_55
; %bb.193:                              ;   in Loop: Header=BB18_57 Depth=2
	flat_store_dword v[52:53], v15 sc0 sc1
	s_branch .LBB18_55
.LBB18_194:                             ;   in Loop: Header=BB18_47 Depth=1
	s_or_b64 exec, exec, s[26:27]
.LBB18_195:                             ;   in Loop: Header=BB18_47 Depth=1
	s_or_b64 exec, exec, s[24:25]
	v_cmp_gt_i32_e32 vcc, 2, v0
	s_mov_b64 s[24:25], exec
	v_accvgpr_read_b32 v10, a26
	s_and_b64 s[22:23], s[24:25], vcc
	v_accvgpr_read_b32 v11, a27
	s_mov_b64 exec, s[22:23]
	s_cbranch_execz .LBB18_267
; %bb.196:                              ;   in Loop: Header=BB18_47 Depth=1
	v_cmp_eq_u32_e64 s[22:23], 0, v0
	s_mov_b64 s[26:27], 0
	s_branch .LBB18_199
.LBB18_197:                             ;   in Loop: Header=BB18_199 Depth=2
	s_or_b64 exec, exec, s[28:29]
	v_lshl_add_u64 v[10:11], v[10:11], 0, 2
	flat_store_dwordx2 v[58:59], v[10:11] sc0 sc1
.LBB18_198:                             ;   in Loop: Header=BB18_199 Depth=2
	s_or_b64 exec, exec, s[22:23]
	v_add_u32_e32 v54, v26, v54
	s_mov_b64 s[22:23], 0
	s_andn2_b64 exec, exec, s[26:27]
	s_cbranch_execz .LBB18_266
.LBB18_199:                             ;   Parent Loop BB18_47 Depth=1
                                        ; =>  This Loop Header: Depth=2
                                        ;       Child Loop BB18_205 Depth 3
                                        ;       Child Loop BB18_234 Depth 3
	;; [unrolled: 1-line block ×3, first 2 shown]
	v_and_b32_e32 v0, 8, v57
	s_mov_b64 s[54:55], -1
	v_cmp_ne_u32_e32 vcc, 0, v0
	s_and_saveexec_b64 s[28:29], vcc
	s_cbranch_execz .LBB18_211
; %bb.200:                              ;   in Loop: Header=BB18_199 Depth=2
	v_lshl_add_u64 v[0:1], v[40:41], 0, 8
	v_lshl_add_u64 v[4:5], v[10:11], 0, 2
	v_cmp_lt_u64_e32 vcc, v[0:1], v[4:5]
	v_mov_b32_e32 v0, 1
	s_and_saveexec_b64 s[54:55], vcc
	s_cbranch_execz .LBB18_210
; %bb.201:                              ;   in Loop: Header=BB18_199 Depth=2
	s_mov_b64 s[56:57], 0
	v_mov_b32_e32 v0, 0
                                        ; implicit-def: $sgpr58_sgpr59
	s_branch .LBB18_205
.LBB18_202:                             ;   in Loop: Header=BB18_205 Depth=3
	s_or_b64 exec, exec, s[66:67]
	v_mov_b32_e32 v1, 0
	s_orn2_b64 s[64:65], s[64:65], exec
.LBB18_203:                             ;   in Loop: Header=BB18_205 Depth=3
	s_or_b64 exec, exec, s[62:63]
	s_andn2_b64 vcc, s[58:59], exec
	s_and_b64 s[58:59], s[64:65], exec
	s_or_b64 s[58:59], vcc, s[58:59]
	v_mov_b32_e32 v0, v1
.LBB18_204:                             ;   in Loop: Header=BB18_205 Depth=3
	s_or_b64 exec, exec, s[60:61]
	s_waitcnt vmcnt(0) lgkmcnt(0)
	v_lshl_add_u64 v[2:3], v[40:41], 0, 8
	v_cmp_ge_u64_e32 vcc, v[2:3], v[4:5]
	s_xor_b64 s[60:61], s[58:59], -1
	s_or_b64 vcc, s[60:61], vcc
	s_and_b64 vcc, exec, vcc
	s_or_b64 s[56:57], vcc, s[56:57]
	s_andn2_b64 exec, exec, s[56:57]
	s_cbranch_execz .LBB18_209
.LBB18_205:                             ;   Parent Loop BB18_47 Depth=1
                                        ;     Parent Loop BB18_199 Depth=2
                                        ; =>    This Inner Loop Header: Depth=3
	s_sleep 1
	flat_load_dwordx2 v[40:41], v[58:59] sc0 sc1
	v_and_b32_e32 v1, 64, v57
	v_cmp_eq_u32_e32 vcc, 0, v1
	s_andn2_b64 s[58:59], s[58:59], exec
	s_and_saveexec_b64 s[60:61], vcc
	s_cbranch_execz .LBB18_204
; %bb.206:                              ;   in Loop: Header=BB18_205 Depth=3
	v_add_u32_e32 v1, 1, v0
	v_cmp_lt_i32_e32 vcc, s84, v0
	s_mov_b64 s[64:65], -1
	s_and_saveexec_b64 s[62:63], vcc
	s_cbranch_execz .LBB18_203
; %bb.207:                              ;   in Loop: Header=BB18_205 Depth=3
	s_trap 2
	ds_read_b64 v[0:1], v0
	s_waitcnt vmcnt(0) lgkmcnt(0)
	flat_load_dword v0, v[0:1] sc0 sc1
	s_waitcnt vmcnt(0) lgkmcnt(0)
	buffer_inv sc0 sc1
	v_cmp_ne_u32_e32 vcc, 0, v0
	s_and_saveexec_b64 s[66:67], vcc
	s_cbranch_execz .LBB18_202
; %bb.208:                              ;   in Loop: Header=BB18_205 Depth=3
	v_or_b32_e32 v57, 64, v57
	s_xor_b64 s[64:65], exec, -1
	ds_write_b32 v0, v0
	s_trap 2
	s_branch .LBB18_202
.LBB18_209:                             ;   in Loop: Header=BB18_199 Depth=2
	s_or_b64 exec, exec, s[56:57]
	v_and_b32_e32 v0, 8, v57
.LBB18_210:                             ;   in Loop: Header=BB18_199 Depth=2
	s_or_b64 exec, exec, s[54:55]
	v_cmp_eq_u32_e32 vcc, 0, v0
	s_orn2_b64 s[54:55], vcc, exec
	;;#ASMSTART
	s_wakeup
	;;#ASMEND
.LBB18_211:                             ;   in Loop: Header=BB18_199 Depth=2
	s_or_b64 exec, exec, s[28:29]
	s_xor_b64 s[22:23], s[22:23], -1
	s_and_b64 s[22:23], exec, s[22:23]
	s_or_b64 s[26:27], s[22:23], s[26:27]
	v_sub_u32_e32 v0, v16, v54
	s_xor_b64 s[22:23], s[54:55], -1
	v_min_i32_e32 v26, v26, v0
	s_and_saveexec_b64 s[28:29], s[22:23]
	s_cbranch_execz .LBB18_226
; %bb.212:                              ;   in Loop: Header=BB18_199 Depth=2
	v_and_b32_e32 v0, 0x100, v57
	v_cmp_ne_u32_e32 vcc, 0, v0
	v_and_b32_e32 v0, 7, v10
	s_mov_b64 s[22:23], -1
                                        ; implicit-def: $vgpr4_vgpr5
	s_and_saveexec_b64 s[54:55], vcc
	s_cbranch_execz .LBB18_216
; %bb.213:                              ;   in Loop: Header=BB18_199 Depth=2
	v_accvgpr_read_b32 v2, a16
	v_accvgpr_read_b32 v3, a17
	v_mov_b64_e32 v[6:7], v[10:11]
	v_mad_u64_u32 v[10:11], s[22:23], v0, 24, v[2:3]
	flat_load_dword v1, v[10:11]
	v_ashrrev_i32_e32 v27, 31, v26
	v_lshlrev_b64 v[2:3], 1, v[26:27]
	flat_store_dwordx2 v[10:11], v[2:3] offset:8
                                        ; implicit-def: $vgpr4_vgpr5
	s_waitcnt vmcnt(0) lgkmcnt(0)
	v_cmp_ne_u32_e32 vcc, 1, v1
	v_cmp_eq_u32_e64 s[22:23], 1, v1
	s_and_saveexec_b64 s[56:57], s[22:23]
	s_cbranch_execz .LBB18_215
; %bb.214:                              ;   in Loop: Header=BB18_199 Depth=2
	flat_load_dword v2, v[10:11] offset:4 sc0 sc1
	s_waitcnt vmcnt(0) lgkmcnt(0)
	v_ashrrev_i32_e32 v3, 31, v2
	v_lshrrev_b64 v[4:5], 1, v[2:3]
.LBB18_215:                             ;   in Loop: Header=BB18_199 Depth=2
	s_or_b64 exec, exec, s[56:57]
	s_orn2_b64 s[22:23], vcc, exec
	v_mov_b64_e32 v[10:11], v[6:7]
.LBB18_216:                             ;   in Loop: Header=BB18_199 Depth=2
	s_or_b64 exec, exec, s[54:55]
	s_and_saveexec_b64 vcc, s[22:23]
; %bb.217:                              ;   in Loop: Header=BB18_199 Depth=2
	v_accvgpr_read_b32 v2, a28
	v_mad_i64_i32 v[4:5], s[22:23], v0, v2, 0
; %bb.218:                              ;   in Loop: Header=BB18_199 Depth=2
	s_or_b64 exec, exec, vcc
	v_lshl_add_u64 v[0:1], v[4:5], 1, v[48:49]
	ds_write_b64 v0, v[0:1] offset:784
	v_and_b32_e32 v0, 0x2000, v57
	v_cmp_ne_u32_e32 vcc, 0, v0
	s_and_saveexec_b64 s[22:23], vcc
	s_cbranch_execz .LBB18_220
; %bb.219:                              ;   in Loop: Header=BB18_199 Depth=2
	ds_read_b64 v[0:1], v0 offset:584
	s_waitcnt lgkmcnt(0)
	v_lshl_add_u64 v[0:1], v[0:1], 0, 1
	ds_write_b64 v0, v[0:1] offset:584
.LBB18_220:                             ;   in Loop: Header=BB18_199 Depth=2
	s_or_b64 exec, exec, s[22:23]
	v_lshl_add_u64 v[10:11], v[10:11], 0, 2
	s_or_b64 exec, exec, s[28:29]
	s_and_saveexec_b64 s[22:23], s[4:5]
	s_cbranch_execnz .LBB18_227
.LBB18_221:                             ;   in Loop: Header=BB18_199 Depth=2
	s_or_b64 exec, exec, s[22:23]
                                        ; implicit-def: $vgpr0
	s_and_saveexec_b64 s[22:23], s[20:21]
	s_xor_b64 s[22:23], exec, s[22:23]
	s_cbranch_execz .LBB18_245
.LBB18_222:                             ;   in Loop: Header=BB18_199 Depth=2
	s_trap 2
	ds_read_b32 v1, v0
	v_cmp_lt_i32_e32 vcc, 0, v26
	v_and_b32_e32 v2, 16, v57
	v_and_b32_e32 v0, 16, v57
	s_waitcnt lgkmcnt(0)
	v_readfirstlane_b32 s28, v1
	s_cmp_eq_u32 s28, 0
	s_cselect_b64 s[28:29], -1, 0
	s_and_b64 s[28:29], vcc, s[28:29]
	v_cmp_ne_u32_e32 vcc, 0, v2
	s_and_b64 vcc, vcc, s[28:29]
	s_and_saveexec_b64 s[28:29], vcc
	s_cbranch_execz .LBB18_224
; %bb.223:                              ;   in Loop: Header=BB18_199 Depth=2
	v_mov_b32_e32 v0, 1
	buffer_wbl2 sc1
	s_waitcnt vmcnt(0)
	buffer_inv sc1
.LBB18_224:                             ;   in Loop: Header=BB18_199 Depth=2
	s_or_b64 exec, exec, s[28:29]
	s_andn2_saveexec_b64 s[22:23], s[22:23]
	s_cbranch_execnz .LBB18_246
.LBB18_225:                             ;   in Loop: Header=BB18_199 Depth=2
	s_or_b64 exec, exec, s[22:23]
	v_cmp_ne_u32_e32 vcc, 0, v0
	s_and_saveexec_b64 s[22:23], vcc
	s_cbranch_execz .LBB18_198
	s_branch .LBB18_264
.LBB18_226:                             ;   in Loop: Header=BB18_199 Depth=2
	s_or_b64 exec, exec, s[28:29]
	s_and_saveexec_b64 s[22:23], s[4:5]
	s_cbranch_execz .LBB18_221
.LBB18_227:                             ;   in Loop: Header=BB18_199 Depth=2
	s_and_saveexec_b64 s[28:29], s[38:39]
	s_xor_b64 s[28:29], exec, s[28:29]
	s_cbranch_execz .LBB18_242
; %bb.228:                              ;   in Loop: Header=BB18_199 Depth=2
	s_and_saveexec_b64 s[54:55], s[12:13]
	s_cbranch_execz .LBB18_241
; %bb.229:                              ;   in Loop: Header=BB18_199 Depth=2
	s_mov_b64 s[58:59], exec
	v_mbcnt_lo_u32_b32 v0, s58, 0
	v_mbcnt_hi_u32_b32 v0, s59, v0
	v_cmp_eq_u32_e32 vcc, 0, v0
	s_waitcnt lgkmcnt(0)
	s_and_saveexec_b64 s[56:57], vcc
	s_cbranch_execz .LBB18_231
; %bb.230:                              ;   in Loop: Header=BB18_199 Depth=2
	s_bcnt1_i32_b64 vcc_lo, s[58:59]
	v_mov_b32_e32 v38, vcc_lo
	ds_add_u64 v0, v[38:39]
	s_trap 2
.LBB18_231:                             ;   in Loop: Header=BB18_199 Depth=2
	s_or_b64 exec, exec, s[56:57]
	s_trap 2
	ds_read_b64 v[0:1], v0
	v_lshl_add_u64 v[46:47], v[46:47], 0, v[36:37]
	s_waitcnt lgkmcnt(0)
	v_cmp_lt_u64_e32 vcc, v[0:1], v[46:47]
	s_and_saveexec_b64 s[56:57], vcc
	s_cbranch_execz .LBB18_240
; %bb.232:                              ;   in Loop: Header=BB18_199 Depth=2
	s_mov_b32 s68, 0
	s_mov_b64 s[58:59], 0
                                        ; implicit-def: $sgpr60_sgpr61
                                        ; implicit-def: $sgpr62_sgpr63
	s_branch .LBB18_234
.LBB18_233:                             ;   in Loop: Header=BB18_234 Depth=3
	s_or_b64 exec, exec, s[66:67]
	s_and_b64 vcc, exec, vcc
	s_or_b64 s[58:59], vcc, s[58:59]
	s_andn2_b64 vcc, s[60:61], exec
	s_and_b64 s[60:61], s[62:63], exec
	s_or_b64 s[60:61], vcc, s[60:61]
	s_andn2_b64 exec, exec, s[58:59]
	s_cbranch_execz .LBB18_238
.LBB18_234:                             ;   Parent Loop BB18_47 Depth=1
                                        ;     Parent Loop BB18_199 Depth=2
                                        ; =>    This Inner Loop Header: Depth=3
	s_add_i32 s68, s68, 1
	s_cmpk_lg_i32 s68, 0x2710
	s_cselect_b64 s[64:65], -1, 0
	s_and_b64 vcc, exec, s[64:65]
                                        ; implicit-def: $sgpr66_sgpr67
	s_cbranch_vccnz .LBB18_236
; %bb.235:                              ;   in Loop: Header=BB18_234 Depth=3
	s_trap 2
	ds_read_b64 v[0:1], v0
	s_andn2_b64 s[64:65], s[64:65], exec
	s_mov_b32 s68, 0
	s_mov_b64 s[66:67], -1
	s_waitcnt vmcnt(0) lgkmcnt(0)
	flat_load_dword v0, v[0:1] sc0 sc1
	s_waitcnt vmcnt(0) lgkmcnt(0)
	buffer_inv sc0 sc1
	v_cmp_eq_u32_e32 vcc, 0, v0
	s_and_b64 vcc, vcc, exec
	s_or_b64 s[64:65], s[64:65], vcc
.LBB18_236:                             ;   in Loop: Header=BB18_234 Depth=3
	s_andn2_b64 s[62:63], s[62:63], exec
	s_and_b64 s[66:67], s[66:67], exec
	s_mov_b64 vcc, -1
	s_or_b64 s[62:63], s[62:63], s[66:67]
	s_and_saveexec_b64 s[66:67], s[64:65]
	s_cbranch_execz .LBB18_233
; %bb.237:                              ;   in Loop: Header=BB18_234 Depth=3
	s_sleep 1
	s_trap 2
	ds_read_b64 v[0:1], v0
	s_andn2_b64 s[62:63], s[62:63], exec
	s_waitcnt lgkmcnt(0)
	v_cmp_ge_u64_e32 vcc, v[0:1], v[46:47]
	s_orn2_b64 vcc, vcc, exec
	s_branch .LBB18_233
.LBB18_238:                             ;   in Loop: Header=BB18_199 Depth=2
	s_or_b64 exec, exec, s[58:59]
	s_and_saveexec_b64 vcc, s[60:61]
	s_xor_b64 vcc, exec, vcc
	s_cbranch_execz .LBB18_240
; %bb.239:                              ;   in Loop: Header=BB18_199 Depth=2
	ds_write_b32 v0, v15
	s_trap 2
.LBB18_240:                             ;   in Loop: Header=BB18_199 Depth=2
	s_or_b64 exec, exec, s[56:57]
	;;#ASMSTART
	s_wakeup
	;;#ASMEND
.LBB18_241:                             ;   in Loop: Header=BB18_199 Depth=2
	s_or_b64 exec, exec, s[54:55]
.LBB18_242:                             ;   in Loop: Header=BB18_199 Depth=2
	s_andn2_saveexec_b64 s[28:29], s[28:29]
	s_cbranch_execz .LBB18_244
; %bb.243:                              ;   in Loop: Header=BB18_199 Depth=2
	s_waitcnt lgkmcnt(0)
	s_barrier
.LBB18_244:                             ;   in Loop: Header=BB18_199 Depth=2
	s_or_b64 exec, exec, s[28:29]
	s_or_b64 exec, exec, s[22:23]
                                        ; implicit-def: $vgpr0
	s_and_saveexec_b64 s[22:23], s[20:21]
	s_xor_b64 s[22:23], exec, s[22:23]
	s_cbranch_execnz .LBB18_222
.LBB18_245:                             ;   in Loop: Header=BB18_199 Depth=2
	s_andn2_saveexec_b64 s[22:23], s[22:23]
	s_cbranch_execz .LBB18_225
.LBB18_246:                             ;   in Loop: Header=BB18_199 Depth=2
	s_and_saveexec_b64 s[28:29], s[38:39]
	s_xor_b64 s[28:29], exec, s[28:29]
	s_cbranch_execz .LBB18_261
; %bb.247:                              ;   in Loop: Header=BB18_199 Depth=2
	s_and_saveexec_b64 s[54:55], s[12:13]
	s_cbranch_execz .LBB18_260
; %bb.248:                              ;   in Loop: Header=BB18_199 Depth=2
	s_mov_b64 s[58:59], exec
	v_mbcnt_lo_u32_b32 v0, s58, 0
	v_mbcnt_hi_u32_b32 v0, s59, v0
	v_cmp_eq_u32_e32 vcc, 0, v0
	;;#ASMSTART
	s_waitcnt lgkmcnt(0) vmcnt(0)
	;;#ASMEND
	s_and_saveexec_b64 s[56:57], vcc
	s_cbranch_execz .LBB18_250
; %bb.249:                              ;   in Loop: Header=BB18_199 Depth=2
	s_bcnt1_i32_b64 vcc_lo, s[58:59]
	v_mov_b32_e32 v38, vcc_lo
	ds_add_u64 v0, v[38:39]
	s_trap 2
.LBB18_250:                             ;   in Loop: Header=BB18_199 Depth=2
	s_or_b64 exec, exec, s[56:57]
	s_trap 2
	ds_read_b64 v[0:1], v0
	v_lshl_add_u64 v[46:47], v[46:47], 0, v[36:37]
	s_waitcnt lgkmcnt(0)
	v_cmp_lt_u64_e32 vcc, v[0:1], v[46:47]
	s_and_saveexec_b64 s[56:57], vcc
	s_cbranch_execz .LBB18_259
; %bb.251:                              ;   in Loop: Header=BB18_199 Depth=2
	s_mov_b32 s68, 0
	s_mov_b64 s[58:59], 0
                                        ; implicit-def: $sgpr60_sgpr61
                                        ; implicit-def: $sgpr62_sgpr63
	s_branch .LBB18_253
.LBB18_252:                             ;   in Loop: Header=BB18_253 Depth=3
	s_or_b64 exec, exec, s[66:67]
	s_and_b64 vcc, exec, vcc
	s_or_b64 s[58:59], vcc, s[58:59]
	s_andn2_b64 vcc, s[60:61], exec
	s_and_b64 s[60:61], s[62:63], exec
	s_or_b64 s[60:61], vcc, s[60:61]
	s_andn2_b64 exec, exec, s[58:59]
	s_cbranch_execz .LBB18_257
.LBB18_253:                             ;   Parent Loop BB18_47 Depth=1
                                        ;     Parent Loop BB18_199 Depth=2
                                        ; =>    This Inner Loop Header: Depth=3
	s_add_i32 s68, s68, 1
	s_cmpk_lg_i32 s68, 0x2710
	s_cselect_b64 s[64:65], -1, 0
	s_and_b64 vcc, exec, s[64:65]
                                        ; implicit-def: $sgpr66_sgpr67
	s_cbranch_vccnz .LBB18_255
; %bb.254:                              ;   in Loop: Header=BB18_253 Depth=3
	s_trap 2
	ds_read_b64 v[0:1], v0
	s_andn2_b64 s[64:65], s[64:65], exec
	s_mov_b32 s68, 0
	s_mov_b64 s[66:67], -1
	s_waitcnt vmcnt(0) lgkmcnt(0)
	flat_load_dword v0, v[0:1] sc0 sc1
	s_waitcnt vmcnt(0) lgkmcnt(0)
	buffer_inv sc0 sc1
	v_cmp_eq_u32_e32 vcc, 0, v0
	s_and_b64 vcc, vcc, exec
	s_or_b64 s[64:65], s[64:65], vcc
.LBB18_255:                             ;   in Loop: Header=BB18_253 Depth=3
	s_andn2_b64 s[62:63], s[62:63], exec
	s_and_b64 s[66:67], s[66:67], exec
	s_mov_b64 vcc, -1
	s_or_b64 s[62:63], s[62:63], s[66:67]
	s_and_saveexec_b64 s[66:67], s[64:65]
	s_cbranch_execz .LBB18_252
; %bb.256:                              ;   in Loop: Header=BB18_253 Depth=3
	s_sleep 1
	s_trap 2
	ds_read_b64 v[0:1], v0
	s_andn2_b64 s[62:63], s[62:63], exec
	s_waitcnt lgkmcnt(0)
	v_cmp_ge_u64_e32 vcc, v[0:1], v[46:47]
	s_orn2_b64 vcc, vcc, exec
	s_branch .LBB18_252
.LBB18_257:                             ;   in Loop: Header=BB18_199 Depth=2
	s_or_b64 exec, exec, s[58:59]
	s_and_saveexec_b64 vcc, s[60:61]
	s_xor_b64 vcc, exec, vcc
	s_cbranch_execz .LBB18_259
; %bb.258:                              ;   in Loop: Header=BB18_199 Depth=2
	ds_write_b32 v0, v15
	s_trap 2
.LBB18_259:                             ;   in Loop: Header=BB18_199 Depth=2
	s_or_b64 exec, exec, s[56:57]
	;;#ASMSTART
	s_wakeup
	;;#ASMEND
.LBB18_260:                             ;   in Loop: Header=BB18_199 Depth=2
	s_or_b64 exec, exec, s[54:55]
.LBB18_261:                             ;   in Loop: Header=BB18_199 Depth=2
	s_andn2_saveexec_b64 s[28:29], s[28:29]
	s_cbranch_execz .LBB18_263
; %bb.262:                              ;   in Loop: Header=BB18_199 Depth=2
	;;#ASMSTART
	s_waitcnt lgkmcnt(0) vmcnt(0)
	;;#ASMEND
	s_barrier
.LBB18_263:                             ;   in Loop: Header=BB18_199 Depth=2
	s_or_b64 exec, exec, s[28:29]
	v_and_b32_e32 v0, 16, v57
	s_or_b64 exec, exec, s[22:23]
	v_cmp_ne_u32_e32 vcc, 0, v0
	s_and_saveexec_b64 s[22:23], vcc
	s_cbranch_execz .LBB18_198
.LBB18_264:                             ;   in Loop: Header=BB18_199 Depth=2
	s_and_saveexec_b64 s[28:29], s[10:11]
	s_cbranch_execz .LBB18_197
; %bb.265:                              ;   in Loop: Header=BB18_199 Depth=2
	flat_store_dword v[52:53], v15 sc0 sc1
	s_branch .LBB18_197
.LBB18_266:                             ;   in Loop: Header=BB18_47 Depth=1
	s_or_b64 exec, exec, s[26:27]
.LBB18_267:                             ;   in Loop: Header=BB18_47 Depth=1
	s_or_b64 exec, exec, s[24:25]
	v_cndmask_b32_e64 v0, 0, 1, s[46:47]
	v_accvgpr_read_b32 v26, a38
	v_cmp_ne_u32_e64 s[22:23], 1, v0
	s_andn2_b64 vcc, exec, s[46:47]
	v_accvgpr_read_b32 v27, a39
	v_accvgpr_read_b32 v16, a28
	s_cbranch_vccnz .LBB18_488
; %bb.268:                              ;   in Loop: Header=BB18_47 Depth=1
	s_mov_b32 s97, 2
	s_branch .LBB18_271
.LBB18_269:                             ;   in Loop: Header=BB18_271 Depth=2
	s_or_b64 exec, exec, s[28:29]
.LBB18_270:                             ;   in Loop: Header=BB18_271 Depth=2
	s_or_b64 exec, exec, s[26:27]
	s_add_i32 s97, s97, 1
	s_cmp_eq_u32 s97, s72
	s_cbranch_scc1 .LBB18_488
.LBB18_271:                             ;   Parent Loop BB18_47 Depth=1
                                        ; =>  This Loop Header: Depth=2
                                        ;       Child Loop BB18_274 Depth 3
                                        ;         Child Loop BB18_282 Depth 4
                                        ;         Child Loop BB18_308 Depth 4
	;; [unrolled: 1-line block ×9, first 2 shown]
                                        ;       Child Loop BB18_418 Depth 3
                                        ;         Child Loop BB18_424 Depth 4
                                        ;         Child Loop BB18_462 Depth 4
	;; [unrolled: 1-line block ×3, first 2 shown]
	scratch_load_dwordx2 v[2:3], off, s33 offset:224 ; 8-byte Folded Reload
	s_sub_i32 s24, s77, s97
	s_cmp_le_i32 s72, s24
	s_cselect_b32 s25, s72, 0
	s_sub_i32 s24, s24, s25
	s_ashr_i32 s25, s24, 31
	v_mov_b32_e32 v54, 0
	s_waitcnt vmcnt(0)
	v_mul_lo_u32 v0, v2, s25
	v_mul_lo_u32 v1, v3, s24
	v_mad_u64_u32 v[44:45], s[24:25], v2, s24, 0
	v_add3_u32 v45, v45, v0, v1
	scratch_load_dwordx2 v[0:1], off, s33 offset:216 ; 8-byte Folded Reload
	s_waitcnt vmcnt(0)
	v_sub_co_u32_e32 v0, vcc, v0, v44
	s_nop 1
	v_subb_co_u32_e32 v1, vcc, v1, v45, vcc
	v_cmp_lt_i64_e32 vcc, v[2:3], v[0:1]
	s_nop 1
	v_cndmask_b32_e32 v0, v0, v2, vcc
	v_max_i32_e32 v29, 0, v0
	v_add_u32_e32 v1, 31, v29
	v_ashrrev_i32_e32 v2, 31, v1
	v_lshrrev_b32_e32 v2, 27, v2
	v_add_u32_e32 v1, v1, v2
	v_ashrrev_i32_e32 v1, 5, v1
	v_lshlrev_b32_e32 v1, 4, v1
	v_cmp_lt_i32_e32 vcc, 0, v0
	v_max_i32_e32 v6, s80, v1
	s_and_b64 s[24:25], s[50:51], vcc
	v_mov_b32_e32 v0, 0
	s_and_saveexec_b64 s[26:27], s[24:25]
	s_cbranch_execz .LBB18_415
; %bb.272:                              ;   in Loop: Header=BB18_271 Depth=2
	s_mov_b32 s98, 1
	s_mov_b64 s[54:55], -1
	s_mov_b64 s[28:29], 0
	v_mov_b32_e32 v54, 0
	s_branch .LBB18_274
.LBB18_273:                             ;   in Loop: Header=BB18_274 Depth=3
	s_or_b64 exec, exec, s[24:25]
	v_add_u32_e32 v54, v6, v54
	v_cmp_ge_i32_e32 vcc, v54, v29
	s_xor_b64 s[24:25], s[54:55], -1
	s_or_b64 s[24:25], s[24:25], vcc
	s_and_b64 s[24:25], exec, s[24:25]
	s_or_b64 s[28:29], s[24:25], s[28:29]
	s_mov_b64 s[54:55], 0
	v_mov_b32_e32 v0, s98
	s_mov_b32 s98, 2
	s_andn2_b64 exec, exec, s[28:29]
	s_cbranch_execz .LBB18_414
.LBB18_274:                             ;   Parent Loop BB18_47 Depth=1
                                        ;     Parent Loop BB18_271 Depth=2
                                        ; =>    This Loop Header: Depth=3
                                        ;         Child Loop BB18_282 Depth 4
                                        ;         Child Loop BB18_308 Depth 4
	;; [unrolled: 1-line block ×9, first 2 shown]
	s_and_saveexec_b64 s[24:25], s[0:1]
	s_cbranch_execz .LBB18_276
; %bb.275:                              ;   in Loop: Header=BB18_274 Depth=3
	s_trap 2
	ds_read_b64 v[0:1], v0
	v_accvgpr_read_b32 v2, a62
	v_accvgpr_read_b32 v3, a63
	v_ashrrev_i32_e32 v55, 31, v54
	v_mov_b32_e32 v38, v39
	s_waitcnt lgkmcnt(0)
	v_lshl_add_u64 v[0:1], v[2:3], 1, v[0:1]
	v_lshl_add_u64 v[0:1], v[44:45], 1, v[0:1]
	;; [unrolled: 1-line block ×3, first 2 shown]
	ds_write_b64 v0, v[0:1]
	ds_write_b64 v0, v[38:39]
.LBB18_276:                             ;   in Loop: Header=BB18_274 Depth=3
	s_or_b64 exec, exec, s[24:25]
	v_and_b32_e32 v0, 12, v57
	v_cmp_ne_u32_e32 vcc, 0, v0
	s_mov_b64 s[56:57], -1
	s_and_saveexec_b64 s[24:25], vcc
	s_cbranch_execz .LBB18_288
; %bb.277:                              ;   in Loop: Header=BB18_274 Depth=3
	v_and_b32_e32 v38, 8, v57
	v_lshl_add_u64 v[0:1], v[40:41], 0, v[38:39]
	v_lshl_add_u64 v[4:5], v[10:11], 0, 2
	v_cmp_lt_u64_e32 vcc, v[0:1], v[4:5]
	v_mov_b32_e32 v0, 1
	s_and_saveexec_b64 s[56:57], vcc
	s_cbranch_execz .LBB18_287
; %bb.278:                              ;   in Loop: Header=BB18_274 Depth=3
	s_mov_b64 s[58:59], 0
	v_mov_b32_e32 v0, 0
                                        ; implicit-def: $sgpr60_sgpr61
	s_branch .LBB18_282
.LBB18_279:                             ;   in Loop: Header=BB18_282 Depth=4
	s_or_b64 exec, exec, s[68:69]
	v_mov_b32_e32 v1, 0
	s_orn2_b64 s[66:67], s[66:67], exec
.LBB18_280:                             ;   in Loop: Header=BB18_282 Depth=4
	s_or_b64 exec, exec, s[64:65]
	s_andn2_b64 vcc, s[60:61], exec
	s_and_b64 s[60:61], s[66:67], exec
	s_or_b64 s[60:61], vcc, s[60:61]
	v_mov_b32_e32 v0, v1
.LBB18_281:                             ;   in Loop: Header=BB18_282 Depth=4
	s_or_b64 exec, exec, s[62:63]
	s_waitcnt vmcnt(0) lgkmcnt(0)
	v_lshl_add_u64 v[2:3], v[40:41], 0, v[38:39]
	v_cmp_ge_u64_e32 vcc, v[2:3], v[4:5]
	s_xor_b64 s[62:63], s[60:61], -1
	s_or_b64 vcc, s[62:63], vcc
	s_and_b64 vcc, exec, vcc
	s_or_b64 s[58:59], vcc, s[58:59]
	s_andn2_b64 exec, exec, s[58:59]
	s_cbranch_execz .LBB18_286
.LBB18_282:                             ;   Parent Loop BB18_47 Depth=1
                                        ;     Parent Loop BB18_271 Depth=2
                                        ;       Parent Loop BB18_274 Depth=3
                                        ; =>      This Inner Loop Header: Depth=4
	s_sleep 1
	flat_load_dwordx2 v[40:41], v[58:59] sc0 sc1
	v_and_b32_e32 v1, 64, v57
	v_cmp_eq_u32_e32 vcc, 0, v1
	s_andn2_b64 s[60:61], s[60:61], exec
	s_and_saveexec_b64 s[62:63], vcc
	s_cbranch_execz .LBB18_281
; %bb.283:                              ;   in Loop: Header=BB18_282 Depth=4
	v_add_u32_e32 v1, 1, v0
	v_cmp_lt_i32_e32 vcc, s84, v0
	s_mov_b64 s[66:67], -1
	s_and_saveexec_b64 s[64:65], vcc
	s_cbranch_execz .LBB18_280
; %bb.284:                              ;   in Loop: Header=BB18_282 Depth=4
	s_trap 2
	ds_read_b64 v[0:1], v0
	s_waitcnt vmcnt(0) lgkmcnt(0)
	flat_load_dword v0, v[0:1] sc0 sc1
	s_waitcnt vmcnt(0) lgkmcnt(0)
	buffer_inv sc0 sc1
	v_cmp_ne_u32_e32 vcc, 0, v0
	s_and_saveexec_b64 s[68:69], vcc
	s_cbranch_execz .LBB18_279
; %bb.285:                              ;   in Loop: Header=BB18_282 Depth=4
	v_or_b32_e32 v57, 64, v57
	s_xor_b64 s[66:67], exec, -1
	ds_write_b32 v0, v0
	s_trap 2
	s_branch .LBB18_279
.LBB18_286:                             ;   in Loop: Header=BB18_274 Depth=3
	s_or_b64 exec, exec, s[58:59]
	v_and_b32_e32 v0, 12, v57
.LBB18_287:                             ;   in Loop: Header=BB18_274 Depth=3
	s_or_b64 exec, exec, s[56:57]
	v_cmp_eq_u32_e32 vcc, 0, v0
	s_orn2_b64 s[56:57], vcc, exec
	;;#ASMSTART
	s_wakeup
	;;#ASMEND
.LBB18_288:                             ;   in Loop: Header=BB18_274 Depth=3
	s_or_b64 exec, exec, s[24:25]
	v_sub_u32_e32 v0, v29, v54
	s_xor_b64 s[24:25], s[56:57], -1
	v_min_i32_e32 v6, v6, v0
	s_and_saveexec_b64 s[56:57], s[24:25]
	s_cbranch_execz .LBB18_300
; %bb.289:                              ;   in Loop: Header=BB18_274 Depth=3
	v_and_b32_e32 v0, 0x108, v57
	v_cmp_ne_u32_e32 vcc, s86, v0
	v_and_b32_e32 v2, 7, v10
	s_and_saveexec_b64 s[24:25], vcc
	s_xor_b64 s[24:25], exec, s[24:25]
	s_andn2_saveexec_b64 s[24:25], s[24:25]
	s_cbranch_execz .LBB18_291
; %bb.290:                              ;   in Loop: Header=BB18_274 Depth=3
	v_accvgpr_read_b32 v0, a16
	v_accvgpr_read_b32 v1, a17
	v_ashrrev_i32_e32 v7, 31, v6
	v_mad_u64_u32 v[0:1], vcc, v2, 24, v[0:1]
	v_lshlrev_b64 v[4:5], 1, v[6:7]
	flat_store_dwordx2 v[0:1], v[4:5] offset:8
.LBB18_291:                             ;   in Loop: Header=BB18_274 Depth=3
	s_or_b64 exec, exec, s[24:25]
	v_and_b32_e32 v0, 0x100, v57
	v_cmp_ne_u32_e32 vcc, 0, v0
	s_mov_b64 s[24:25], -1
                                        ; implicit-def: $vgpr4_vgpr5
	s_and_saveexec_b64 s[58:59], vcc
	s_cbranch_execz .LBB18_295
; %bb.292:                              ;   in Loop: Header=BB18_274 Depth=3
	v_accvgpr_read_b32 v0, a16
	v_accvgpr_read_b32 v1, a17
	v_mad_u64_u32 v[8:9], s[24:25], v2, 24, v[0:1]
	v_mov_b32_e32 v0, v9
	v_mad_u64_u32 v[0:1], s[24:25], v39, 24, v[0:1]
	v_mov_b32_e32 v9, v0
	flat_load_dword v0, v[8:9]
                                        ; implicit-def: $vgpr4_vgpr5
	s_waitcnt vmcnt(0) lgkmcnt(0)
	v_cmp_ne_u32_e32 vcc, 1, v0
	v_cmp_eq_u32_e64 s[24:25], 1, v0
	s_and_saveexec_b64 s[60:61], s[24:25]
	s_cbranch_execz .LBB18_294
; %bb.293:                              ;   in Loop: Header=BB18_274 Depth=3
	flat_load_dword v0, v[8:9] offset:4 sc0 sc1
	s_waitcnt vmcnt(0) lgkmcnt(0)
	v_ashrrev_i32_e32 v1, 31, v0
	v_lshrrev_b64 v[4:5], 1, v[0:1]
.LBB18_294:                             ;   in Loop: Header=BB18_274 Depth=3
	s_or_b64 exec, exec, s[60:61]
	s_orn2_b64 s[24:25], vcc, exec
.LBB18_295:                             ;   in Loop: Header=BB18_274 Depth=3
	s_or_b64 exec, exec, s[58:59]
	s_and_saveexec_b64 vcc, s[24:25]
; %bb.296:                              ;   in Loop: Header=BB18_274 Depth=3
	v_mul_lo_u32 v0, v39, v16
	v_mul_lo_u32 v1, v2, v35
	v_mad_u64_u32 v[4:5], s[24:25], v2, v16, 0
	v_add3_u32 v5, v5, v1, v0
; %bb.297:                              ;   in Loop: Header=BB18_274 Depth=3
	s_or_b64 exec, exec, vcc
	v_lshl_add_u64 v[0:1], v[4:5], 1, v[48:49]
	s_trap 2
	ds_write_b64 v0, v[0:1]
	v_and_b32_e32 v0, 0x2000, v57
	v_cmp_ne_u32_e32 vcc, 0, v0
	s_and_saveexec_b64 s[24:25], vcc
	s_cbranch_execz .LBB18_299
; %bb.298:                              ;   in Loop: Header=BB18_274 Depth=3
	ds_read_b64 v[0:1], v0 offset:584
	s_waitcnt lgkmcnt(0)
	v_lshl_add_u64 v[0:1], v[0:1], 0, 1
	ds_write_b64 v0, v[0:1] offset:584
.LBB18_299:                             ;   in Loop: Header=BB18_274 Depth=3
	s_or_b64 exec, exec, s[24:25]
	v_lshl_add_u64 v[10:11], v[10:11], 0, 2
.LBB18_300:                             ;   in Loop: Header=BB18_274 Depth=3
	s_or_b64 exec, exec, s[56:57]
	s_and_saveexec_b64 s[24:25], s[4:5]
	s_cbranch_execz .LBB18_319
; %bb.301:                              ;   in Loop: Header=BB18_274 Depth=3
	s_and_saveexec_b64 vcc, s[38:39]
	s_xor_b64 s[56:57], exec, vcc
	s_cbranch_execz .LBB18_316
; %bb.302:                              ;   in Loop: Header=BB18_274 Depth=3
	s_and_saveexec_b64 s[58:59], s[12:13]
	s_cbranch_execz .LBB18_315
; %bb.303:                              ;   in Loop: Header=BB18_274 Depth=3
	s_mov_b64 s[62:63], exec
	v_mbcnt_lo_u32_b32 v0, s62, 0
	v_mbcnt_hi_u32_b32 v0, s63, v0
	v_cmp_eq_u32_e32 vcc, 0, v0
	s_waitcnt lgkmcnt(0)
	s_and_saveexec_b64 s[60:61], vcc
	s_cbranch_execz .LBB18_305
; %bb.304:                              ;   in Loop: Header=BB18_274 Depth=3
	s_bcnt1_i32_b64 vcc_lo, s[62:63]
	v_mov_b32_e32 v38, vcc_lo
	ds_add_u64 v0, v[38:39]
	s_trap 2
.LBB18_305:                             ;   in Loop: Header=BB18_274 Depth=3
	s_or_b64 exec, exec, s[60:61]
	s_trap 2
	ds_read_b64 v[0:1], v0
	v_lshl_add_u64 v[46:47], v[46:47], 0, v[36:37]
	s_waitcnt lgkmcnt(0)
	v_cmp_lt_u64_e32 vcc, v[0:1], v[46:47]
	s_and_saveexec_b64 s[60:61], vcc
	s_cbranch_execz .LBB18_314
; %bb.306:                              ;   in Loop: Header=BB18_274 Depth=3
	s_mov_b32 s99, 0
	s_mov_b64 s[62:63], 0
                                        ; implicit-def: $sgpr64_sgpr65
                                        ; implicit-def: $sgpr66_sgpr67
	s_branch .LBB18_308
.LBB18_307:                             ;   in Loop: Header=BB18_308 Depth=4
	s_or_b64 exec, exec, s[70:71]
	s_and_b64 vcc, exec, vcc
	s_or_b64 s[62:63], vcc, s[62:63]
	s_andn2_b64 vcc, s[64:65], exec
	s_and_b64 s[64:65], s[66:67], exec
	s_or_b64 s[64:65], vcc, s[64:65]
	s_andn2_b64 exec, exec, s[62:63]
	s_cbranch_execz .LBB18_312
.LBB18_308:                             ;   Parent Loop BB18_47 Depth=1
                                        ;     Parent Loop BB18_271 Depth=2
                                        ;       Parent Loop BB18_274 Depth=3
                                        ; =>      This Inner Loop Header: Depth=4
	s_add_i32 s99, s99, 1
	s_cmpk_lg_i32 s99, 0x2710
	s_cselect_b64 s[68:69], -1, 0
	s_and_b64 vcc, exec, s[68:69]
                                        ; implicit-def: $sgpr70_sgpr71
	s_cbranch_vccnz .LBB18_310
; %bb.309:                              ;   in Loop: Header=BB18_308 Depth=4
	s_trap 2
	ds_read_b64 v[0:1], v0
	s_andn2_b64 s[68:69], s[68:69], exec
	s_mov_b32 s99, 0
	s_mov_b64 s[70:71], -1
	s_waitcnt vmcnt(0) lgkmcnt(0)
	flat_load_dword v0, v[0:1] sc0 sc1
	s_waitcnt vmcnt(0) lgkmcnt(0)
	buffer_inv sc0 sc1
	v_cmp_eq_u32_e32 vcc, 0, v0
	s_and_b64 vcc, vcc, exec
	s_or_b64 s[68:69], s[68:69], vcc
.LBB18_310:                             ;   in Loop: Header=BB18_308 Depth=4
	s_andn2_b64 s[66:67], s[66:67], exec
	s_and_b64 s[70:71], s[70:71], exec
	s_mov_b64 vcc, -1
	s_or_b64 s[66:67], s[66:67], s[70:71]
	s_and_saveexec_b64 s[70:71], s[68:69]
	s_cbranch_execz .LBB18_307
; %bb.311:                              ;   in Loop: Header=BB18_308 Depth=4
	s_sleep 1
	s_trap 2
	ds_read_b64 v[0:1], v0
	s_andn2_b64 s[66:67], s[66:67], exec
	s_waitcnt lgkmcnt(0)
	v_cmp_ge_u64_e32 vcc, v[0:1], v[46:47]
	s_orn2_b64 vcc, vcc, exec
	s_branch .LBB18_307
.LBB18_312:                             ;   in Loop: Header=BB18_274 Depth=3
	s_or_b64 exec, exec, s[62:63]
	s_and_saveexec_b64 vcc, s[64:65]
	s_xor_b64 vcc, exec, vcc
	s_cbranch_execz .LBB18_314
; %bb.313:                              ;   in Loop: Header=BB18_274 Depth=3
	ds_write_b32 v0, v15
	s_trap 2
.LBB18_314:                             ;   in Loop: Header=BB18_274 Depth=3
	s_or_b64 exec, exec, s[60:61]
	;;#ASMSTART
	s_wakeup
	;;#ASMEND
.LBB18_315:                             ;   in Loop: Header=BB18_274 Depth=3
	s_or_b64 exec, exec, s[58:59]
.LBB18_316:                             ;   in Loop: Header=BB18_274 Depth=3
	s_andn2_saveexec_b64 vcc, s[56:57]
	s_cbranch_execz .LBB18_318
; %bb.317:                              ;   in Loop: Header=BB18_274 Depth=3
	s_waitcnt lgkmcnt(0)
	s_barrier
.LBB18_318:                             ;   in Loop: Header=BB18_274 Depth=3
	s_or_b64 exec, exec, vcc
.LBB18_319:                             ;   in Loop: Header=BB18_274 Depth=3
	s_or_b64 exec, exec, s[24:25]
	s_trap 2
	ds_read_b32 v0, v0
	v_and_b32_e32 v1, 0x4000, v57
	v_cmp_ne_u32_e32 vcc, 0, v1
	s_xor_b64 s[24:25], s[2:3], -1
	s_and_b64 vcc, s[24:25], vcc
	s_and_saveexec_b64 s[24:25], vcc
	s_cbranch_execz .LBB18_338
; %bb.320:                              ;   in Loop: Header=BB18_274 Depth=3
	s_and_saveexec_b64 vcc, s[38:39]
	s_xor_b64 s[56:57], exec, vcc
	s_cbranch_execz .LBB18_335
; %bb.321:                              ;   in Loop: Header=BB18_274 Depth=3
	s_and_saveexec_b64 s[58:59], s[12:13]
	s_cbranch_execz .LBB18_334
; %bb.322:                              ;   in Loop: Header=BB18_274 Depth=3
	s_mov_b64 s[62:63], exec
	v_mbcnt_lo_u32_b32 v1, s62, 0
	v_mbcnt_hi_u32_b32 v1, s63, v1
	v_cmp_eq_u32_e32 vcc, 0, v1
	s_waitcnt lgkmcnt(0)
	s_and_saveexec_b64 s[60:61], vcc
	s_cbranch_execz .LBB18_324
; %bb.323:                              ;   in Loop: Header=BB18_274 Depth=3
	s_bcnt1_i32_b64 vcc_lo, s[62:63]
	v_mov_b32_e32 v38, vcc_lo
	ds_add_u64 v0, v[38:39]
	s_trap 2
.LBB18_324:                             ;   in Loop: Header=BB18_274 Depth=3
	s_or_b64 exec, exec, s[60:61]
	s_trap 2
	ds_read_b64 v[2:3], v0
	v_lshl_add_u64 v[46:47], v[46:47], 0, v[36:37]
	s_waitcnt lgkmcnt(0)
	v_cmp_lt_u64_e32 vcc, v[2:3], v[46:47]
	s_and_saveexec_b64 s[60:61], vcc
	s_cbranch_execz .LBB18_333
; %bb.325:                              ;   in Loop: Header=BB18_274 Depth=3
	s_mov_b32 s99, 0
	s_mov_b64 s[62:63], 0
                                        ; implicit-def: $sgpr64_sgpr65
                                        ; implicit-def: $sgpr66_sgpr67
	s_branch .LBB18_327
.LBB18_326:                             ;   in Loop: Header=BB18_327 Depth=4
	s_or_b64 exec, exec, s[70:71]
	s_and_b64 vcc, exec, vcc
	s_or_b64 s[62:63], vcc, s[62:63]
	s_andn2_b64 vcc, s[64:65], exec
	s_and_b64 s[64:65], s[66:67], exec
	s_or_b64 s[64:65], vcc, s[64:65]
	s_andn2_b64 exec, exec, s[62:63]
	s_cbranch_execz .LBB18_331
.LBB18_327:                             ;   Parent Loop BB18_47 Depth=1
                                        ;     Parent Loop BB18_271 Depth=2
                                        ;       Parent Loop BB18_274 Depth=3
                                        ; =>      This Inner Loop Header: Depth=4
	s_add_i32 s99, s99, 1
	s_cmpk_lg_i32 s99, 0x2710
	s_cselect_b64 s[68:69], -1, 0
	s_and_b64 vcc, exec, s[68:69]
                                        ; implicit-def: $sgpr70_sgpr71
	s_cbranch_vccnz .LBB18_329
; %bb.328:                              ;   in Loop: Header=BB18_327 Depth=4
	s_trap 2
	ds_read_b64 v[2:3], v0
	s_andn2_b64 s[68:69], s[68:69], exec
	s_mov_b32 s99, 0
	s_mov_b64 s[70:71], -1
	s_waitcnt vmcnt(0) lgkmcnt(0)
	flat_load_dword v1, v[2:3] sc0 sc1
	s_waitcnt vmcnt(0) lgkmcnt(0)
	buffer_inv sc0 sc1
	v_cmp_eq_u32_e32 vcc, 0, v1
	s_and_b64 vcc, vcc, exec
	s_or_b64 s[68:69], s[68:69], vcc
.LBB18_329:                             ;   in Loop: Header=BB18_327 Depth=4
	s_andn2_b64 s[66:67], s[66:67], exec
	s_and_b64 s[70:71], s[70:71], exec
	s_mov_b64 vcc, -1
	s_or_b64 s[66:67], s[66:67], s[70:71]
	s_and_saveexec_b64 s[70:71], s[68:69]
	s_cbranch_execz .LBB18_326
; %bb.330:                              ;   in Loop: Header=BB18_327 Depth=4
	s_sleep 1
	s_trap 2
	ds_read_b64 v[2:3], v0
	s_andn2_b64 s[66:67], s[66:67], exec
	s_waitcnt lgkmcnt(0)
	v_cmp_ge_u64_e32 vcc, v[2:3], v[46:47]
	s_orn2_b64 vcc, vcc, exec
	s_branch .LBB18_326
.LBB18_331:                             ;   in Loop: Header=BB18_274 Depth=3
	s_or_b64 exec, exec, s[62:63]
	s_and_saveexec_b64 vcc, s[64:65]
	s_xor_b64 vcc, exec, vcc
	s_cbranch_execz .LBB18_333
; %bb.332:                              ;   in Loop: Header=BB18_274 Depth=3
	ds_write_b32 v0, v15
	s_trap 2
.LBB18_333:                             ;   in Loop: Header=BB18_274 Depth=3
	s_or_b64 exec, exec, s[60:61]
	;;#ASMSTART
	s_wakeup
	;;#ASMEND
.LBB18_334:                             ;   in Loop: Header=BB18_274 Depth=3
	s_or_b64 exec, exec, s[58:59]
.LBB18_335:                             ;   in Loop: Header=BB18_274 Depth=3
	s_andn2_saveexec_b64 vcc, s[56:57]
	s_cbranch_execz .LBB18_337
; %bb.336:                              ;   in Loop: Header=BB18_274 Depth=3
	s_waitcnt lgkmcnt(0)
	s_barrier
.LBB18_337:                             ;   in Loop: Header=BB18_274 Depth=3
	s_or_b64 exec, exec, vcc
.LBB18_338:                             ;   in Loop: Header=BB18_274 Depth=3
	s_or_b64 exec, exec, s[24:25]
	s_trap 2
	s_waitcnt lgkmcnt(0)
	ds_read_b64 v[2:3], v0
	v_mov_b32_e32 v7, 0
	s_waitcnt lgkmcnt(0)
	v_readfirstlane_b32 s24, v2
	v_readfirstlane_b32 s25, v3
	s_cmp_eq_u64 s[24:25], 0
	s_cselect_b64 s[24:25], -1, 0
	s_or_b64 s[24:25], s[24:25], s[24:25]
	s_and_b64 vcc, exec, s[24:25]
	s_cbranch_vccnz .LBB18_358
; %bb.339:                              ;   in Loop: Header=BB18_274 Depth=3
	s_mov_b64 s[24:25], -1
	s_and_saveexec_b64 s[56:57], s[18:19]
	s_cbranch_execz .LBB18_341
; %bb.340:                              ;   in Loop: Header=BB18_274 Depth=3
	ds_read_b32 v1, v0 offset:720
	s_waitcnt lgkmcnt(0)
	v_and_b32_e32 v1, 15, v1
	v_cmp_eq_u32_e32 vcc, 0, v1
	s_orn2_b64 s[24:25], vcc, exec
.LBB18_341:                             ;   in Loop: Header=BB18_274 Depth=3
	s_or_b64 exec, exec, s[56:57]
	s_and_saveexec_b64 s[56:57], s[16:17]
	s_cbranch_execz .LBB18_343
; %bb.342:                              ;   in Loop: Header=BB18_274 Depth=3
	ds_read_b32 v1, v0 offset:784
	s_waitcnt lgkmcnt(0)
	v_and_b32_e32 v1, 15, v1
	v_cmp_eq_u32_e32 vcc, 0, v1
	s_and_b64 vcc, s[24:25], vcc
	s_andn2_b64 s[24:25], s[24:25], exec
	s_and_b64 vcc, vcc, exec
	s_or_b64 s[24:25], s[24:25], vcc
.LBB18_343:                             ;   in Loop: Header=BB18_274 Depth=3
	s_or_b64 exec, exec, s[56:57]
	v_cmp_eq_u32_e32 vcc, 0, v0
	s_xor_b64 s[24:25], s[24:25], -1
	v_cndmask_b32_e64 v0, 0, 1, s[24:25]
	v_cndmask_b32_e32 v7, 0, v6, vcc
	v_mov_b32_e32 v4, 0
	v_lshlrev_b32_e32 v2, 1, v7
	s_mov_b64 s[58:59], -1
	;;#ASMSTART
	;;#ASMEND
	s_nop 0
	v_cmp_ne_u32_e32 vcc, 0, v0
	s_cbranch_vccz .LBB18_359
; %bb.344:                              ;   in Loop: Header=BB18_274 Depth=3
	v_mov_b32_e32 v5, v56
	s_waitcnt vmcnt(0)
	v_mov_b32_e32 v8, v34
	s_and_saveexec_b64 s[24:25], s[58:59]
	s_cbranch_execz .LBB18_372
.LBB18_345:                             ;   in Loop: Header=BB18_274 Depth=3
	v_ashrrev_i32_e32 v0, 31, v2
	v_lshrrev_b32_e32 v0, 21, v0
	v_add_u32_e32 v0, v2, v0
	v_accvgpr_write_b32 a26, v16
	v_ashrrev_i32_e32 v16, 11, v0
	v_accvgpr_write_b32 a15, v11
	v_sub_u32_e32 v14, v16, v8
	v_ashrrev_i32_e32 v0, 31, v5
	v_accvgpr_write_b32 a14, v10
	v_cmp_lt_i32_e32 vcc, 0, v14
	v_lshrrev_b32_e32 v15, 26, v0
	s_and_saveexec_b64 s[56:57], vcc
	s_cbranch_execz .LBB18_349
; %bb.346:                              ;   in Loop: Header=BB18_274 Depth=3
	v_add_u32_e32 v0, v5, v15
	v_and_b32_e32 v0, 0x7fffffc0, v0
	v_sub_u32_e32 v0, v5, v0
	s_trap 2
	v_lshlrev_b32_e32 v3, 1, v0
	v_mov_b64_e32 v[42:43], v[12:13]
	ds_read_b128 v[10:13], v0
	ds_read_b64 v[0:1], v0
	v_lshlrev_b32_e32 v8, 11, v8
	v_add3_u32 v18, v3, v4, v8
	v_accvgpr_write_b32 a4, v40
	v_ashrrev_i32_e32 v19, 31, v18
	s_waitcnt lgkmcnt(0)
	v_lshl_add_u64 v[0:1], v[0:1], 0, s[52:53]
	v_accvgpr_write_b32 a3, v39
	v_accvgpr_write_b32 a5, v41
	v_lshl_add_u64 v[8:9], v[10:11], 0, v[18:19]
	v_lshl_add_u64 v[10:11], v[12:13], 0, v[18:19]
	;; [unrolled: 1-line block ×3, first 2 shown]
	s_mov_b64 s[58:59], 0
.LBB18_347:                             ;   Parent Loop BB18_47 Depth=1
                                        ;     Parent Loop BB18_271 Depth=2
                                        ;       Parent Loop BB18_274 Depth=3
                                        ; =>      This Inner Loop Header: Depth=4
	flat_load_ushort v0, v[8:9] nt
	flat_load_ushort v1, v[8:9] offset:128 nt
	flat_load_ushort v3, v[8:9] offset:256 nt
	flat_load_ushort v17, v[8:9] offset:384 nt
	flat_load_ushort v18, v[8:9] offset:512 nt
	flat_load_ushort v19, v[8:9] offset:640 nt
	s_waitcnt vmcnt(0)
	flat_load_ushort v20, v[8:9] offset:768 nt
	flat_load_ushort v21, v[8:9] offset:896 nt
	;; [unrolled: 1-line block ×10, first 2 shown]
	flat_load_ushort v23, v[10:11] nt
	flat_load_ushort v32, v[10:11] offset:128 nt
	flat_load_ushort v33, v[10:11] offset:256 nt
	;; [unrolled: 1-line block ×15, first 2 shown]
	v_lshl_add_u64 v[8:9], v[8:9], 0, v[42:43]
	v_lshl_add_u64 v[10:11], v[10:11], 0, v[42:43]
	s_waitcnt vmcnt(0) lgkmcnt(0)
	v_mul_f16_e32 v40, v0, v23
	v_mul_f16_e32 v32, v1, v32
	;; [unrolled: 1-line block ×10, first 2 shown]
	v_add_co_u32_e32 v24, vcc, s87, v12
	v_mul_f16_e32 v20, v25, v49
	s_nop 0
	v_addc_co_u32_e32 v25, vcc, -1, v13, vcc
	flat_store_short v[24:25], v40 nt
	v_add_co_u32_e32 v24, vcc, s88, v12
	v_mul_f16_e32 v19, v26, v50
	s_nop 0
	v_addc_co_u32_e32 v25, vcc, -1, v13, vcc
	flat_store_short v[24:25], v32 nt
	;; [unrolled: 5-line block ×6, first 2 shown]
	v_add_co_u32_e32 v24, vcc, s93, v12
	s_nop 1
	v_addc_co_u32_e32 v25, vcc, -1, v13, vcc
	flat_store_short v[24:25], v36 nt
	v_add_co_u32_e32 v24, vcc, s74, v12
	v_accvgpr_read_b32 v37, a31
	s_nop 0
	v_addc_co_u32_e32 v25, vcc, -1, v13, vcc
	flat_store_short v[24:25], v23 nt
	v_add_co_u32_e32 v24, vcc, s94, v12
	v_accvgpr_read_b32 v36, a30
	s_nop 0
	v_addc_co_u32_e32 v25, vcc, -1, v13, vcc
	flat_store_short v[24:25], v22 nt
	v_add_co_u32_e32 v22, vcc, s95, v12
	v_sub_u32_e32 v14, v14, v36
	s_nop 0
	v_addc_co_u32_e32 v23, vcc, -1, v13, vcc
	flat_store_short v[22:23], v21 nt
	v_add_co_u32_e32 v22, vcc, s96, v12
	s_nop 1
	v_addc_co_u32_e32 v23, vcc, -1, v13, vcc
	flat_store_short v[22:23], v20 nt
	v_add_co_u32_e32 v20, vcc, 0xfffffe00, v12
	;; [unrolled: 4-line block ×5, first 2 shown]
	s_nop 1
	v_addc_co_u32_e32 v19, vcc, -1, v13, vcc
	v_cmp_gt_i32_e32 vcc, 1, v14
	flat_store_short v[18:19], v0 nt
	flat_store_short v[12:13], v1 nt
	v_lshl_add_u64 v[12:13], v[12:13], 0, v[42:43]
	s_or_b64 s[58:59], vcc, s[58:59]
	s_andn2_b64 exec, exec, s[58:59]
	s_cbranch_execnz .LBB18_347
; %bb.348:                              ;   in Loop: Header=BB18_274 Depth=3
	s_or_b64 exec, exec, s[58:59]
	scratch_load_dword v50, off, s33 offset:208 ; 4-byte Folded Reload
	scratch_load_dword v28, off, s33 offset:204 ; 4-byte Folded Reload
	;; [unrolled: 1-line block ×3, first 2 shown]
	scratch_load_dwordx2 v[22:23], off, s33 offset:192 ; 8-byte Folded Reload
	scratch_load_dwordx2 v[20:21], off, s33 offset:184 ; 8-byte Folded Reload
	v_accvgpr_read_b32 v49, a23
	v_accvgpr_read_b32 v53, a25
	;; [unrolled: 1-line block ×15, first 2 shown]
	v_mov_b64_e32 v[12:13], v[42:43]
	v_accvgpr_read_b32 v33, a47
	v_accvgpr_read_b32 v25, a49
	;; [unrolled: 1-line block ×3, first 2 shown]
.LBB18_349:                             ;   in Loop: Header=BB18_274 Depth=3
	s_or_b64 exec, exec, s[56:57]
	v_lshlrev_b32_e32 v0, 11, v16
	v_cmp_ne_u32_e32 vcc, v2, v0
	s_and_saveexec_b64 s[56:57], vcc
	s_cbranch_execz .LBB18_353
; %bb.350:                              ;   in Loop: Header=BB18_274 Depth=3
	v_add_u32_e32 v1, v5, v15
	v_and_b32_e32 v1, 0xffffffc0, v1
	v_sub_u32_e32 v1, v5, v1
	v_lshlrev_b32_e32 v3, 6, v14
	v_sub_u32_e32 v1, v1, v3
	v_ashrrev_i32_e32 v3, 31, v1
	v_lshrrev_b32_e32 v3, 26, v3
	v_add_u32_e32 v3, v1, v3
	v_and_b32_e32 v5, 0x7fffffc0, v3
	v_sub_u32_e32 v1, v1, v5
	v_lshlrev_b32_e32 v3, 1, v3
	v_and_b32_e32 v3, 0xffffff80, v3
	v_lshlrev_b32_e32 v1, 1, v1
	v_add3_u32 v1, v3, v1, v0
	v_sub_u32_e32 v0, v2, v1
	v_cmp_lt_i32_e32 vcc, 1, v0
	s_and_b64 exec, exec, vcc
	s_cbranch_execz .LBB18_353
; %bb.351:                              ;   in Loop: Header=BB18_274 Depth=3
	s_trap 2
	ds_read_b128 v[8:11], v0
	ds_read_b64 v[2:3], v0
	v_add_u32_e32 v12, v1, v4
	v_ashrrev_i32_e32 v13, 31, v12
	s_mov_b64 s[58:59], 0
	s_waitcnt lgkmcnt(0)
	v_lshl_add_u64 v[4:5], v[8:9], 0, v[12:13]
	v_lshl_add_u64 v[8:9], v[10:11], 0, v[12:13]
	;; [unrolled: 1-line block ×3, first 2 shown]
	v_accvgpr_read_b32 v12, a44
	v_accvgpr_read_b32 v13, a45
.LBB18_352:                             ;   Parent Loop BB18_47 Depth=1
                                        ;     Parent Loop BB18_271 Depth=2
                                        ;       Parent Loop BB18_274 Depth=3
                                        ; =>      This Inner Loop Header: Depth=4
	flat_load_ushort v1, v[4:5] nt
	flat_load_ushort v2, v[8:9] nt
	s_waitcnt vmcnt(0)
	v_sub_u32_e32 v0, v0, v28
	v_cmp_gt_i32_e32 vcc, 2, v0
	v_lshl_add_u64 v[4:5], v[4:5], 0, v[24:25]
	v_lshl_add_u64 v[8:9], v[8:9], 0, v[24:25]
	s_or_b64 s[58:59], vcc, s[58:59]
	s_waitcnt lgkmcnt(0)
	v_mul_f16_e32 v1, v1, v2
	flat_store_short v[10:11], v1 nt
	v_lshl_add_u64 v[10:11], v[10:11], 0, v[24:25]
	s_andn2_b64 exec, exec, s[58:59]
	s_cbranch_execnz .LBB18_352
.LBB18_353:                             ;   in Loop: Header=BB18_274 Depth=3
	s_or_b64 exec, exec, s[56:57]
	v_accvgpr_read_b32 v10, a14
	v_mov_b32_e32 v15, 1
	v_accvgpr_read_b32 v11, a15
	v_accvgpr_read_b32 v16, a26
	s_or_b64 exec, exec, s[24:25]
	s_and_saveexec_b64 s[24:25], s[4:5]
	s_cbranch_execnz .LBB18_373
.LBB18_354:                             ;   in Loop: Header=BB18_274 Depth=3
	s_or_b64 exec, exec, s[24:25]
                                        ; implicit-def: $vgpr0
	s_and_saveexec_b64 s[24:25], s[20:21]
	s_xor_b64 s[56:57], exec, s[24:25]
	s_cbranch_execz .LBB18_391
.LBB18_355:                             ;   in Loop: Header=BB18_274 Depth=3
	v_and_b32_e32 v1, 16, v57
	v_cmp_lt_i32_e32 vcc, 0, v7
	v_cmp_ne_u32_e64 s[24:25], 0, v1
	v_and_b32_e32 v0, 16, v57
	s_and_b64 vcc, s[24:25], vcc
	s_and_saveexec_b64 s[24:25], vcc
	s_cbranch_execz .LBB18_357
; %bb.356:                              ;   in Loop: Header=BB18_274 Depth=3
	v_mov_b32_e32 v0, 1
	buffer_wbl2 sc1
	s_waitcnt vmcnt(0) lgkmcnt(0)
	buffer_inv sc1
.LBB18_357:                             ;   in Loop: Header=BB18_274 Depth=3
	s_or_b64 exec, exec, s[24:25]
	s_andn2_saveexec_b64 s[24:25], s[56:57]
	s_cbranch_execz .LBB18_410
	s_branch .LBB18_392
.LBB18_358:                             ;   in Loop: Header=BB18_274 Depth=3
	s_and_saveexec_b64 s[24:25], s[4:5]
	s_cbranch_execnz .LBB18_373
	s_branch .LBB18_354
.LBB18_359:                             ;   in Loop: Header=BB18_274 Depth=3
	v_ashrrev_i32_e32 v0, 31, v2
	v_lshrrev_b32_e32 v0, 20, v0
	v_add_u32_e32 v0, v2, v0
	v_ashrrev_i32_e32 v1, 12, v0
	s_waitcnt vmcnt(0)
	v_sub_u32_e32 v0, v1, v34
	v_cmp_lt_i32_e32 vcc, 0, v0
	s_and_saveexec_b64 s[24:25], vcc
	s_cbranch_execz .LBB18_363
; %bb.360:                              ;   in Loop: Header=BB18_274 Depth=3
	v_accvgpr_write_b32 a15, v11
	v_accvgpr_write_b32 a14, v10
	s_trap 2
	ds_read_b128 v[8:11], v0
	ds_read_b64 v[12:13], v0
	v_accvgpr_write_b32 a26, v44
	v_accvgpr_write_b32 a4, v40
	;; [unrolled: 1-line block ×5, first 2 shown]
	s_waitcnt lgkmcnt(0)
	v_lshl_add_u64 v[4:5], v[8:9], 0, v[18:19]
	v_lshl_add_u64 v[44:45], v[10:11], 0, v[18:19]
	;; [unrolled: 1-line block ×3, first 2 shown]
	s_mov_b64 s[56:57], 0
	v_mov_b64_e32 v[60:61], v[36:37]
.LBB18_361:                             ;   Parent Loop BB18_47 Depth=1
                                        ;     Parent Loop BB18_271 Depth=2
                                        ;       Parent Loop BB18_274 Depth=3
                                        ; =>      This Inner Loop Header: Depth=4
	global_load_dwordx4 v[36:39], v[44:45], off nt
	global_load_dwordx4 v[48:51], v[4:5], off nt
	global_load_dwordx4 v[24:27], v[4:5], off offset:1024 nt
	global_load_dwordx4 v[32:35], v[44:45], off offset:1024 nt
	;; [unrolled: 1-line block ×6, first 2 shown]
	scratch_load_dwordx2 v[52:53], off, s33 offset:184 ; 8-byte Folded Reload
	v_sub_u32_e32 v0, v0, v60
	v_cmp_gt_i32_e32 vcc, 1, v0
	s_or_b64 s[56:57], vcc, s[56:57]
	s_waitcnt vmcnt(0)
	v_mul_f16_e32 v3, v48, v36
	v_mul_f16_sdwa v28, v48, v36 dst_sel:WORD_1 dst_unused:UNUSED_PAD src0_sel:WORD_1 src1_sel:WORD_1
	v_mul_f16_e32 v36, v49, v37
	v_mul_f16_sdwa v37, v49, v37 dst_sel:WORD_1 dst_unused:UNUSED_PAD src0_sel:WORD_1 src1_sel:WORD_1
	;; [unrolled: 2-line block ×3, first 2 shown]
	v_mul_f16_e32 v49, v51, v39
	v_lshl_add_u64 v[4:5], v[4:5], 0, v[52:53]
	scratch_load_dwordx2 v[52:53], off, s33 offset:184 ; 8-byte Folded Reload
	v_mul_f16_sdwa v39, v51, v39 dst_sel:WORD_1 dst_unused:UNUSED_PAD src0_sel:WORD_1 src1_sel:WORD_1
	v_mul_f16_e32 v50, v24, v32
	v_mul_f16_sdwa v24, v24, v32 dst_sel:WORD_1 dst_unused:UNUSED_PAD src0_sel:WORD_1 src1_sel:WORD_1
	v_mul_f16_e32 v32, v25, v33
	;; [unrolled: 2-line block ×11, first 2 shown]
	v_mul_f16_sdwa v42, v11, v15 dst_sel:WORD_1 dst_unused:UNUSED_PAD src0_sel:WORD_1 src1_sel:WORD_1
	v_or_b32_e32 v8, v28, v3
	v_or_b32_e32 v11, v39, v49
	;; [unrolled: 1-line block ×13, first 2 shown]
	s_waitcnt vmcnt(0)
	v_lshl_add_u64 v[44:45], v[44:45], 0, v[52:53]
	v_mul_f16_e32 v52, v9, v13
	v_mul_f16_sdwa v53, v9, v13 dst_sel:WORD_1 dst_unused:UNUSED_PAD src0_sel:WORD_1 src1_sel:WORD_1
	v_or_b32_e32 v9, v37, v36
	v_or_b32_e32 v13, v25, v32
	;; [unrolled: 1-line block ×3, first 2 shown]
	global_store_dwordx4 v[30:31], v[8:11], off nt
	global_store_dwordx4 v[30:31], v[12:15], off offset:1024 nt
	global_store_dwordx4 v[30:31], v[16:19], off offset:2048 nt
	global_store_dwordx4 v[30:31], v[20:23], off offset:3072 nt
	scratch_load_dwordx2 v[20:21], off, s33 offset:184 ; 8-byte Folded Reload
	s_waitcnt vmcnt(0)
	v_lshl_add_u64 v[30:31], v[30:31], 0, v[20:21]
	s_andn2_b64 exec, exec, s[56:57]
	s_cbranch_execnz .LBB18_361
; %bb.362:                              ;   in Loop: Header=BB18_274 Depth=3
	s_or_b64 exec, exec, s[56:57]
	scratch_load_dword v50, off, s33 offset:208 ; 4-byte Folded Reload
	scratch_load_dword v28, off, s33 offset:204 ; 4-byte Folded Reload
	;; [unrolled: 1-line block ×3, first 2 shown]
	scratch_load_dwordx2 v[22:23], off, s33 offset:192 ; 8-byte Folded Reload
	v_accvgpr_mov_b32 a17, a11
	v_accvgpr_read_b32 v49, a23
	v_accvgpr_read_b32 v53, a25
	;; [unrolled: 1-line block ×11, first 2 shown]
	v_accvgpr_mov_b32 a16, a10
	v_accvgpr_read_b32 v16, a20
	v_accvgpr_read_b32 v48, a22
	;; [unrolled: 1-line block ×6, first 2 shown]
	v_mov_b64_e32 v[36:37], v[60:61]
	v_accvgpr_read_b32 v27, a39
	v_accvgpr_read_b32 v31, a43
	;; [unrolled: 1-line block ×6, first 2 shown]
	v_mov_b32_e32 v15, 1
	v_accvgpr_read_b32 v11, a15
	v_accvgpr_read_b32 v44, a26
.LBB18_363:                             ;   in Loop: Header=BB18_274 Depth=3
	s_or_b64 exec, exec, s[24:25]
	v_lshlrev_b32_e32 v1, 12, v1
	v_cmp_ne_u32_e32 vcc, v2, v1
	s_mov_b64 s[58:59], 0
	v_mov_b32_e32 v4, 0
                                        ; implicit-def: $vgpr5
                                        ; implicit-def: $vgpr8
	s_and_saveexec_b64 s[56:57], vcc
	s_cbranch_execz .LBB18_371
; %bb.364:                              ;   in Loop: Header=BB18_274 Depth=3
	scratch_load_dword v4, off, s33 offset:212 ; 4-byte Folded Reload
	v_lshlrev_b32_e32 v0, 6, v0
	v_sub_u32_e32 v3, v2, v1
	v_ashrrev_i32_e32 v8, 31, v3
	v_lshrrev_b32_e32 v8, 22, v8
	v_add_u32_e32 v8, v3, v8
	v_and_b32_e32 v12, 0xfffffc00, v8
	v_sub_u32_e32 v14, v3, v12
	v_ashrrev_i32_e32 v9, 10, v8
	v_cmp_lt_i32_e32 vcc, 15, v14
	s_waitcnt vmcnt(0)
	v_sub_u32_e32 v0, v4, v0
	v_ashrrev_i32_e32 v4, 31, v0
	v_lshrrev_b32_e32 v4, 26, v4
	v_add_u32_e32 v4, v0, v4
	v_ashrrev_i32_e32 v5, 6, v4
	v_and_b32_e32 v4, 0xffffffc0, v4
	v_sub_u32_e32 v0, v0, v4
	v_lshlrev_b32_e32 v4, 4, v0
	v_lshl_add_u32 v4, v5, 10, v4
	v_sub_u32_e32 v15, v3, v4
	v_addc_co_u32_e64 v3, s[24:25], 0, v9, vcc
	v_sub_u32_e32 v13, v3, v5
	v_cmp_lt_i32_e64 s[24:25], 15, v15
	s_and_saveexec_b64 s[58:59], s[24:25]
	s_cbranch_execz .LBB18_368
; %bb.365:                              ;   in Loop: Header=BB18_274 Depth=3
	v_accvgpr_write_b32 a4, v10
	v_mov_b32_e32 v38, v16
	v_accvgpr_write_b32 a5, v11
	s_trap 2
	ds_read_b128 v[8:11], v0
	ds_read_b64 v[16:17], v0
	v_add_u32_e32 v18, v4, v1
	v_ashrrev_i32_e32 v19, 31, v18
	s_mov_b64 s[60:61], 0
	s_waitcnt lgkmcnt(1)
	v_lshl_add_u64 v[4:5], v[8:9], 0, v[18:19]
	v_lshl_add_u64 v[8:9], v[10:11], 0, v[18:19]
	s_waitcnt lgkmcnt(0)
	v_lshl_add_u64 v[10:11], v[16:17], 0, v[18:19]
.LBB18_366:                             ;   Parent Loop BB18_47 Depth=1
                                        ;     Parent Loop BB18_271 Depth=2
                                        ;       Parent Loop BB18_274 Depth=3
                                        ; =>      This Inner Loop Header: Depth=4
	global_load_dwordx4 v[16:19], v[4:5], off nt
	global_load_dwordx4 v[20:23], v[8:9], off nt
	v_sub_u32_e32 v15, v15, v50
	v_cmp_gt_i32_e64 s[24:25], 16, v15
	v_lshl_add_u64 v[4:5], v[4:5], 0, v[32:33]
	v_lshl_add_u64 v[8:9], v[8:9], 0, v[32:33]
	v_sub_u32_e32 v13, v13, v36
	s_or_b64 s[60:61], s[24:25], s[60:61]
	s_waitcnt vmcnt(0)
	v_mul_f16_e32 v3, v16, v20
	v_mul_f16_sdwa v16, v16, v20 dst_sel:WORD_1 dst_unused:UNUSED_PAD src0_sel:WORD_1 src1_sel:WORD_1
	v_mul_f16_e32 v20, v17, v21
	v_mul_f16_sdwa v17, v17, v21 dst_sel:WORD_1 dst_unused:UNUSED_PAD src0_sel:WORD_1 src1_sel:WORD_1
	;; [unrolled: 2-line block ×4, first 2 shown]
	v_or_b32_e32 v17, v17, v20
	v_or_b32_e32 v16, v16, v3
	;; [unrolled: 1-line block ×4, first 2 shown]
	global_store_dwordx4 v[10:11], v[16:19], off nt
	v_lshl_add_u64 v[10:11], v[10:11], 0, v[32:33]
	s_andn2_b64 exec, exec, s[60:61]
	s_cbranch_execnz .LBB18_366
; %bb.367:                              ;   in Loop: Header=BB18_274 Depth=3
	s_or_b64 exec, exec, s[60:61]
	scratch_load_dwordx2 v[22:23], off, s33 offset:192 ; 8-byte Folded Reload
	scratch_load_dwordx2 v[20:21], off, s33 offset:184 ; 8-byte Folded Reload
	v_accvgpr_read_b32 v18, a50
	v_accvgpr_read_b32 v11, a5
	;; [unrolled: 1-line block ×4, first 2 shown]
	v_mov_b32_e32 v16, v38
.LBB18_368:                             ;   in Loop: Header=BB18_274 Depth=3
	s_or_b64 exec, exec, s[58:59]
	v_and_b32_e32 v9, 14, v2
	v_cndmask_b32_e32 v2, v14, v9, vcc
	s_mov_b64 s[58:59], 0
	v_mov_b32_e32 v4, 0
	v_cmp_ne_u32_e64 s[24:25], 0, v2
                                        ; implicit-def: $vgpr5
                                        ; implicit-def: $vgpr8
	s_mov_b64 s[60:61], exec
	s_and_b64 s[24:25], s[60:61], s[24:25]
	v_mov_b32_e32 v15, 1
	s_mov_b64 exec, s[24:25]
	s_cbranch_execz .LBB18_370
; %bb.369:                              ;   in Loop: Header=BB18_274 Depth=3
	v_sub_u32_e32 v3, v14, v9
	v_cndmask_b32_e32 v3, 0, v3, vcc
	v_cmp_lt_i32_e32 vcc, 0, v13
	v_add3_u32 v4, v12, v1, v3
	s_mov_b64 s[58:59], exec
	v_cndmask_b32_e32 v1, 0, v36, vcc
	v_sub_u32_e32 v1, v1, v13
	v_lshl_add_u32 v5, v1, 6, v0
	v_ashrrev_i32_e32 v0, 31, v5
	v_lshrrev_b32_e32 v0, 26, v0
	v_add_u32_e32 v0, v5, v0
	v_ashrrev_i32_e32 v8, 6, v0
.LBB18_370:                             ;   in Loop: Header=BB18_274 Depth=3
	s_or_b64 exec, exec, s[60:61]
	v_accvgpr_read_b32 v12, a44
	s_and_b64 s[58:59], s[58:59], exec
	v_accvgpr_read_b32 v13, a45
.LBB18_371:                             ;   in Loop: Header=BB18_274 Depth=3
	s_or_b64 exec, exec, s[56:57]
	s_and_saveexec_b64 s[24:25], s[58:59]
	s_cbranch_execnz .LBB18_345
.LBB18_372:                             ;   in Loop: Header=BB18_274 Depth=3
	s_or_b64 exec, exec, s[24:25]
	s_and_saveexec_b64 s[24:25], s[4:5]
	s_cbranch_execz .LBB18_354
.LBB18_373:                             ;   in Loop: Header=BB18_274 Depth=3
	s_and_saveexec_b64 vcc, s[38:39]
	s_xor_b64 s[56:57], exec, vcc
	s_cbranch_execz .LBB18_388
; %bb.374:                              ;   in Loop: Header=BB18_274 Depth=3
	s_and_saveexec_b64 s[58:59], s[12:13]
	s_cbranch_execz .LBB18_387
; %bb.375:                              ;   in Loop: Header=BB18_274 Depth=3
	s_mov_b64 s[62:63], exec
	v_mbcnt_lo_u32_b32 v0, s62, 0
	v_mbcnt_hi_u32_b32 v0, s63, v0
	v_cmp_eq_u32_e32 vcc, 0, v0
	s_waitcnt lgkmcnt(0)
	s_and_saveexec_b64 s[60:61], vcc
	s_cbranch_execz .LBB18_377
; %bb.376:                              ;   in Loop: Header=BB18_274 Depth=3
	s_bcnt1_i32_b64 vcc_lo, s[62:63]
	v_mov_b32_e32 v38, vcc_lo
	ds_add_u64 v0, v[38:39]
	s_trap 2
.LBB18_377:                             ;   in Loop: Header=BB18_274 Depth=3
	s_or_b64 exec, exec, s[60:61]
	s_trap 2
	ds_read_b64 v[0:1], v0
	v_lshl_add_u64 v[46:47], v[46:47], 0, v[36:37]
	s_waitcnt lgkmcnt(0)
	v_cmp_lt_u64_e32 vcc, v[0:1], v[46:47]
	s_and_saveexec_b64 s[60:61], vcc
	s_cbranch_execz .LBB18_386
; %bb.378:                              ;   in Loop: Header=BB18_274 Depth=3
	s_mov_b32 s99, 0
	s_mov_b64 s[62:63], 0
                                        ; implicit-def: $sgpr64_sgpr65
                                        ; implicit-def: $sgpr66_sgpr67
	s_branch .LBB18_380
.LBB18_379:                             ;   in Loop: Header=BB18_380 Depth=4
	s_or_b64 exec, exec, s[70:71]
	s_and_b64 vcc, exec, vcc
	s_or_b64 s[62:63], vcc, s[62:63]
	s_andn2_b64 vcc, s[64:65], exec
	s_and_b64 s[64:65], s[66:67], exec
	s_or_b64 s[64:65], vcc, s[64:65]
	s_andn2_b64 exec, exec, s[62:63]
	s_cbranch_execz .LBB18_384
.LBB18_380:                             ;   Parent Loop BB18_47 Depth=1
                                        ;     Parent Loop BB18_271 Depth=2
                                        ;       Parent Loop BB18_274 Depth=3
                                        ; =>      This Inner Loop Header: Depth=4
	s_add_i32 s99, s99, 1
	s_cmpk_lg_i32 s99, 0x2710
	s_cselect_b64 s[68:69], -1, 0
	s_and_b64 vcc, exec, s[68:69]
                                        ; implicit-def: $sgpr70_sgpr71
	s_cbranch_vccnz .LBB18_382
; %bb.381:                              ;   in Loop: Header=BB18_380 Depth=4
	s_trap 2
	ds_read_b64 v[0:1], v0
	s_andn2_b64 s[68:69], s[68:69], exec
	s_mov_b32 s99, 0
	s_mov_b64 s[70:71], -1
	s_waitcnt vmcnt(0) lgkmcnt(0)
	flat_load_dword v0, v[0:1] sc0 sc1
	s_waitcnt vmcnt(0) lgkmcnt(0)
	buffer_inv sc0 sc1
	v_cmp_eq_u32_e32 vcc, 0, v0
	s_and_b64 vcc, vcc, exec
	s_or_b64 s[68:69], s[68:69], vcc
.LBB18_382:                             ;   in Loop: Header=BB18_380 Depth=4
	s_andn2_b64 s[66:67], s[66:67], exec
	s_and_b64 s[70:71], s[70:71], exec
	s_mov_b64 vcc, -1
	s_or_b64 s[66:67], s[66:67], s[70:71]
	s_and_saveexec_b64 s[70:71], s[68:69]
	s_cbranch_execz .LBB18_379
; %bb.383:                              ;   in Loop: Header=BB18_380 Depth=4
	s_sleep 1
	s_trap 2
	ds_read_b64 v[0:1], v0
	s_andn2_b64 s[66:67], s[66:67], exec
	s_waitcnt lgkmcnt(0)
	v_cmp_ge_u64_e32 vcc, v[0:1], v[46:47]
	s_orn2_b64 vcc, vcc, exec
	s_branch .LBB18_379
.LBB18_384:                             ;   in Loop: Header=BB18_274 Depth=3
	s_or_b64 exec, exec, s[62:63]
	s_and_saveexec_b64 vcc, s[64:65]
	s_xor_b64 vcc, exec, vcc
	s_cbranch_execz .LBB18_386
; %bb.385:                              ;   in Loop: Header=BB18_274 Depth=3
	ds_write_b32 v0, v15
	s_trap 2
.LBB18_386:                             ;   in Loop: Header=BB18_274 Depth=3
	s_or_b64 exec, exec, s[60:61]
	;;#ASMSTART
	s_wakeup
	;;#ASMEND
.LBB18_387:                             ;   in Loop: Header=BB18_274 Depth=3
	s_or_b64 exec, exec, s[58:59]
.LBB18_388:                             ;   in Loop: Header=BB18_274 Depth=3
	s_andn2_saveexec_b64 vcc, s[56:57]
	s_cbranch_execz .LBB18_390
; %bb.389:                              ;   in Loop: Header=BB18_274 Depth=3
	s_waitcnt lgkmcnt(0)
	s_barrier
.LBB18_390:                             ;   in Loop: Header=BB18_274 Depth=3
	s_or_b64 exec, exec, vcc
	s_or_b64 exec, exec, s[24:25]
                                        ; implicit-def: $vgpr0
	s_and_saveexec_b64 s[24:25], s[20:21]
	s_xor_b64 s[56:57], exec, s[24:25]
	s_cbranch_execnz .LBB18_355
.LBB18_391:                             ;   in Loop: Header=BB18_274 Depth=3
	s_andn2_saveexec_b64 s[24:25], s[56:57]
	s_cbranch_execz .LBB18_410
.LBB18_392:                             ;   in Loop: Header=BB18_274 Depth=3
	s_and_saveexec_b64 vcc, s[38:39]
	s_xor_b64 s[56:57], exec, vcc
	s_cbranch_execz .LBB18_407
; %bb.393:                              ;   in Loop: Header=BB18_274 Depth=3
	s_and_saveexec_b64 s[58:59], s[12:13]
	s_cbranch_execz .LBB18_406
; %bb.394:                              ;   in Loop: Header=BB18_274 Depth=3
	s_mov_b64 s[62:63], exec
	v_mbcnt_lo_u32_b32 v0, s62, 0
	v_mbcnt_hi_u32_b32 v0, s63, v0
	v_cmp_eq_u32_e32 vcc, 0, v0
	;;#ASMSTART
	s_waitcnt lgkmcnt(0) vmcnt(0)
	;;#ASMEND
	s_and_saveexec_b64 s[60:61], vcc
	s_cbranch_execz .LBB18_396
; %bb.395:                              ;   in Loop: Header=BB18_274 Depth=3
	s_bcnt1_i32_b64 vcc_lo, s[62:63]
	v_mov_b32_e32 v38, vcc_lo
	ds_add_u64 v0, v[38:39]
	s_trap 2
.LBB18_396:                             ;   in Loop: Header=BB18_274 Depth=3
	s_or_b64 exec, exec, s[60:61]
	s_trap 2
	ds_read_b64 v[0:1], v0
	v_lshl_add_u64 v[46:47], v[46:47], 0, v[36:37]
	s_waitcnt lgkmcnt(0)
	v_cmp_lt_u64_e32 vcc, v[0:1], v[46:47]
	s_and_saveexec_b64 s[60:61], vcc
	s_cbranch_execz .LBB18_405
; %bb.397:                              ;   in Loop: Header=BB18_274 Depth=3
	s_mov_b32 s99, 0
	s_mov_b64 s[62:63], 0
                                        ; implicit-def: $sgpr64_sgpr65
                                        ; implicit-def: $sgpr66_sgpr67
	s_branch .LBB18_399
.LBB18_398:                             ;   in Loop: Header=BB18_399 Depth=4
	s_or_b64 exec, exec, s[70:71]
	s_and_b64 vcc, exec, vcc
	s_or_b64 s[62:63], vcc, s[62:63]
	s_andn2_b64 vcc, s[64:65], exec
	s_and_b64 s[64:65], s[66:67], exec
	s_or_b64 s[64:65], vcc, s[64:65]
	s_andn2_b64 exec, exec, s[62:63]
	s_cbranch_execz .LBB18_403
.LBB18_399:                             ;   Parent Loop BB18_47 Depth=1
                                        ;     Parent Loop BB18_271 Depth=2
                                        ;       Parent Loop BB18_274 Depth=3
                                        ; =>      This Inner Loop Header: Depth=4
	s_add_i32 s99, s99, 1
	s_cmpk_lg_i32 s99, 0x2710
	s_cselect_b64 s[68:69], -1, 0
	s_and_b64 vcc, exec, s[68:69]
                                        ; implicit-def: $sgpr70_sgpr71
	s_cbranch_vccnz .LBB18_401
; %bb.400:                              ;   in Loop: Header=BB18_399 Depth=4
	s_trap 2
	ds_read_b64 v[0:1], v0
	s_andn2_b64 s[68:69], s[68:69], exec
	s_mov_b32 s99, 0
	s_mov_b64 s[70:71], -1
	s_waitcnt vmcnt(0) lgkmcnt(0)
	flat_load_dword v0, v[0:1] sc0 sc1
	s_waitcnt vmcnt(0) lgkmcnt(0)
	buffer_inv sc0 sc1
	v_cmp_eq_u32_e32 vcc, 0, v0
	s_and_b64 vcc, vcc, exec
	s_or_b64 s[68:69], s[68:69], vcc
.LBB18_401:                             ;   in Loop: Header=BB18_399 Depth=4
	s_andn2_b64 s[66:67], s[66:67], exec
	s_and_b64 s[70:71], s[70:71], exec
	s_mov_b64 vcc, -1
	s_or_b64 s[66:67], s[66:67], s[70:71]
	s_and_saveexec_b64 s[70:71], s[68:69]
	s_cbranch_execz .LBB18_398
; %bb.402:                              ;   in Loop: Header=BB18_399 Depth=4
	s_sleep 1
	s_trap 2
	ds_read_b64 v[0:1], v0
	s_andn2_b64 s[66:67], s[66:67], exec
	s_waitcnt lgkmcnt(0)
	v_cmp_ge_u64_e32 vcc, v[0:1], v[46:47]
	s_orn2_b64 vcc, vcc, exec
	s_branch .LBB18_398
.LBB18_403:                             ;   in Loop: Header=BB18_274 Depth=3
	s_or_b64 exec, exec, s[62:63]
	s_and_saveexec_b64 vcc, s[64:65]
	s_xor_b64 vcc, exec, vcc
	s_cbranch_execz .LBB18_405
; %bb.404:                              ;   in Loop: Header=BB18_274 Depth=3
	ds_write_b32 v0, v15
	s_trap 2
.LBB18_405:                             ;   in Loop: Header=BB18_274 Depth=3
	s_or_b64 exec, exec, s[60:61]
	;;#ASMSTART
	s_wakeup
	;;#ASMEND
.LBB18_406:                             ;   in Loop: Header=BB18_274 Depth=3
	s_or_b64 exec, exec, s[58:59]
.LBB18_407:                             ;   in Loop: Header=BB18_274 Depth=3
	s_andn2_saveexec_b64 vcc, s[56:57]
	s_cbranch_execz .LBB18_409
; %bb.408:                              ;   in Loop: Header=BB18_274 Depth=3
	;;#ASMSTART
	s_waitcnt lgkmcnt(0) vmcnt(0)
	;;#ASMEND
	s_barrier
.LBB18_409:                             ;   in Loop: Header=BB18_274 Depth=3
	s_or_b64 exec, exec, vcc
	v_and_b32_e32 v0, 16, v57
.LBB18_410:                             ;   in Loop: Header=BB18_274 Depth=3
	s_or_b64 exec, exec, s[24:25]
	v_cmp_ne_u32_e32 vcc, 0, v0
	s_xor_b64 s[24:25], s[6:7], -1
	s_and_b64 vcc, vcc, s[24:25]
	s_and_saveexec_b64 s[24:25], vcc
	s_cbranch_execz .LBB18_412
; %bb.411:                              ;   in Loop: Header=BB18_274 Depth=3
	flat_store_dword v[52:53], v15 sc0 sc1
.LBB18_412:                             ;   in Loop: Header=BB18_274 Depth=3
	s_or_b64 exec, exec, s[24:25]
	v_and_b32_e32 v0, 48, v57
	v_cmp_ne_u32_e32 vcc, 0, v0
	s_and_saveexec_b64 s[24:25], vcc
	s_cbranch_execz .LBB18_273
; %bb.413:                              ;   in Loop: Header=BB18_274 Depth=3
	v_lshl_add_u64 v[10:11], v[10:11], 0, 2
	flat_store_dwordx2 v[58:59], v[10:11] sc0 sc1
	s_branch .LBB18_273
.LBB18_414:                             ;   in Loop: Header=BB18_271 Depth=2
	s_or_b64 exec, exec, s[28:29]
.LBB18_415:                             ;   in Loop: Header=BB18_271 Depth=2
	s_or_b64 exec, exec, s[26:27]
	v_cmp_gt_i32_e32 vcc, 2, v0
	s_and_saveexec_b64 s[26:27], vcc
	s_cbranch_execz .LBB18_270
; %bb.416:                              ;   in Loop: Header=BB18_271 Depth=2
	v_cmp_eq_u32_e64 s[24:25], 0, v0
	s_mov_b64 s[28:29], 0
	s_branch .LBB18_418
.LBB18_417:                             ;   in Loop: Header=BB18_418 Depth=3
	s_or_b64 exec, exec, s[24:25]
	v_add_u32_e32 v54, v6, v54
	s_mov_b64 s[24:25], 0
	s_andn2_b64 exec, exec, s[28:29]
	s_cbranch_execz .LBB18_269
.LBB18_418:                             ;   Parent Loop BB18_47 Depth=1
                                        ;     Parent Loop BB18_271 Depth=2
                                        ; =>    This Loop Header: Depth=3
                                        ;         Child Loop BB18_424 Depth 4
                                        ;         Child Loop BB18_462 Depth 4
	;; [unrolled: 1-line block ×3, first 2 shown]
	v_and_b32_e32 v0, 12, v57
	s_mov_b64 s[56:57], -1
	v_cmp_ne_u32_e32 vcc, 0, v0
	s_and_saveexec_b64 s[54:55], vcc
	s_cbranch_execz .LBB18_430
; %bb.419:                              ;   in Loop: Header=BB18_418 Depth=3
	v_and_b32_e32 v38, 8, v57
	v_lshl_add_u64 v[0:1], v[40:41], 0, v[38:39]
	v_lshl_add_u64 v[4:5], v[10:11], 0, 2
	v_cmp_lt_u64_e32 vcc, v[0:1], v[4:5]
	v_mov_b32_e32 v0, 1
	s_and_saveexec_b64 s[56:57], vcc
	s_cbranch_execz .LBB18_429
; %bb.420:                              ;   in Loop: Header=BB18_418 Depth=3
	s_mov_b64 s[58:59], 0
	v_mov_b32_e32 v0, 0
                                        ; implicit-def: $sgpr60_sgpr61
	s_branch .LBB18_424
.LBB18_421:                             ;   in Loop: Header=BB18_424 Depth=4
	s_or_b64 exec, exec, s[68:69]
	v_mov_b32_e32 v1, 0
	s_orn2_b64 s[66:67], s[66:67], exec
.LBB18_422:                             ;   in Loop: Header=BB18_424 Depth=4
	s_or_b64 exec, exec, s[64:65]
	s_andn2_b64 vcc, s[60:61], exec
	s_and_b64 s[60:61], s[66:67], exec
	s_or_b64 s[60:61], vcc, s[60:61]
	v_mov_b32_e32 v0, v1
.LBB18_423:                             ;   in Loop: Header=BB18_424 Depth=4
	s_or_b64 exec, exec, s[62:63]
	s_waitcnt vmcnt(0) lgkmcnt(0)
	v_lshl_add_u64 v[2:3], v[40:41], 0, v[38:39]
	v_cmp_ge_u64_e32 vcc, v[2:3], v[4:5]
	s_xor_b64 s[62:63], s[60:61], -1
	s_or_b64 vcc, s[62:63], vcc
	s_and_b64 vcc, exec, vcc
	s_or_b64 s[58:59], vcc, s[58:59]
	s_andn2_b64 exec, exec, s[58:59]
	s_cbranch_execz .LBB18_428
.LBB18_424:                             ;   Parent Loop BB18_47 Depth=1
                                        ;     Parent Loop BB18_271 Depth=2
                                        ;       Parent Loop BB18_418 Depth=3
                                        ; =>      This Inner Loop Header: Depth=4
	s_sleep 1
	flat_load_dwordx2 v[40:41], v[58:59] sc0 sc1
	v_and_b32_e32 v1, 64, v57
	v_cmp_eq_u32_e32 vcc, 0, v1
	s_andn2_b64 s[60:61], s[60:61], exec
	s_and_saveexec_b64 s[62:63], vcc
	s_cbranch_execz .LBB18_423
; %bb.425:                              ;   in Loop: Header=BB18_424 Depth=4
	v_add_u32_e32 v1, 1, v0
	v_cmp_lt_i32_e32 vcc, s84, v0
	s_mov_b64 s[66:67], -1
	s_and_saveexec_b64 s[64:65], vcc
	s_cbranch_execz .LBB18_422
; %bb.426:                              ;   in Loop: Header=BB18_424 Depth=4
	s_trap 2
	ds_read_b64 v[0:1], v0
	s_waitcnt vmcnt(0) lgkmcnt(0)
	flat_load_dword v0, v[0:1] sc0 sc1
	s_waitcnt vmcnt(0) lgkmcnt(0)
	buffer_inv sc0 sc1
	v_cmp_ne_u32_e32 vcc, 0, v0
	s_and_saveexec_b64 s[68:69], vcc
	s_cbranch_execz .LBB18_421
; %bb.427:                              ;   in Loop: Header=BB18_424 Depth=4
	v_or_b32_e32 v57, 64, v57
	s_xor_b64 s[66:67], exec, -1
	ds_write_b32 v0, v0
	s_trap 2
	s_branch .LBB18_421
.LBB18_428:                             ;   in Loop: Header=BB18_418 Depth=3
	s_or_b64 exec, exec, s[58:59]
	v_and_b32_e32 v0, 12, v57
.LBB18_429:                             ;   in Loop: Header=BB18_418 Depth=3
	s_or_b64 exec, exec, s[56:57]
	v_cmp_eq_u32_e32 vcc, 0, v0
	s_orn2_b64 s[56:57], vcc, exec
	;;#ASMSTART
	s_wakeup
	;;#ASMEND
.LBB18_430:                             ;   in Loop: Header=BB18_418 Depth=3
	s_or_b64 exec, exec, s[54:55]
	s_xor_b64 s[24:25], s[24:25], -1
	s_and_b64 s[24:25], exec, s[24:25]
	s_or_b64 s[28:29], s[24:25], s[28:29]
	v_sub_u32_e32 v0, v29, v54
	s_xor_b64 s[24:25], s[56:57], -1
	v_min_i32_e32 v6, v6, v0
	s_and_saveexec_b64 s[54:55], s[24:25]
	s_cbranch_execz .LBB18_454
; %bb.431:                              ;   in Loop: Header=BB18_418 Depth=3
	v_and_b32_e32 v0, 0x108, v57
	v_cmp_ne_u32_e32 vcc, s86, v0
	v_and_b32_e32 v2, 7, v10
	s_and_saveexec_b64 s[24:25], vcc
	s_xor_b64 s[24:25], exec, s[24:25]
	s_andn2_saveexec_b64 s[24:25], s[24:25]
	s_cbranch_execz .LBB18_433
; %bb.432:                              ;   in Loop: Header=BB18_418 Depth=3
	v_accvgpr_read_b32 v0, a16
	v_accvgpr_read_b32 v1, a17
	v_ashrrev_i32_e32 v7, 31, v6
	v_mad_u64_u32 v[0:1], vcc, v2, 24, v[0:1]
	v_lshlrev_b64 v[4:5], 1, v[6:7]
	flat_store_dwordx2 v[0:1], v[4:5] offset:8
.LBB18_433:                             ;   in Loop: Header=BB18_418 Depth=3
	s_or_b64 exec, exec, s[24:25]
	v_and_b32_e32 v0, 0x100, v57
	v_cmp_ne_u32_e32 vcc, 0, v0
	s_mov_b64 s[24:25], -1
                                        ; implicit-def: $vgpr4_vgpr5
	s_and_saveexec_b64 s[56:57], vcc
	s_cbranch_execz .LBB18_437
; %bb.434:                              ;   in Loop: Header=BB18_418 Depth=3
	v_accvgpr_read_b32 v0, a16
	v_accvgpr_read_b32 v1, a17
	v_mad_u64_u32 v[8:9], s[24:25], v2, 24, v[0:1]
	v_mov_b32_e32 v0, v9
	v_mad_u64_u32 v[0:1], s[24:25], v39, 24, v[0:1]
	v_mov_b32_e32 v9, v0
	flat_load_dword v0, v[8:9]
                                        ; implicit-def: $vgpr4_vgpr5
	s_waitcnt vmcnt(0) lgkmcnt(0)
	v_cmp_ne_u32_e32 vcc, 1, v0
	v_cmp_eq_u32_e64 s[24:25], 1, v0
	s_and_saveexec_b64 s[58:59], s[24:25]
	s_cbranch_execz .LBB18_436
; %bb.435:                              ;   in Loop: Header=BB18_418 Depth=3
	flat_load_dword v0, v[8:9] offset:4 sc0 sc1
	s_waitcnt vmcnt(0) lgkmcnt(0)
	v_ashrrev_i32_e32 v1, 31, v0
	v_lshrrev_b64 v[4:5], 1, v[0:1]
.LBB18_436:                             ;   in Loop: Header=BB18_418 Depth=3
	s_or_b64 exec, exec, s[58:59]
	s_orn2_b64 s[24:25], vcc, exec
.LBB18_437:                             ;   in Loop: Header=BB18_418 Depth=3
	s_or_b64 exec, exec, s[56:57]
	s_and_saveexec_b64 vcc, s[24:25]
; %bb.438:                              ;   in Loop: Header=BB18_418 Depth=3
	v_mul_lo_u32 v0, v39, v16
	v_mul_lo_u32 v1, v2, v35
	v_mad_u64_u32 v[4:5], s[24:25], v2, v16, 0
	v_add3_u32 v5, v5, v1, v0
; %bb.439:                              ;   in Loop: Header=BB18_418 Depth=3
	s_or_b64 exec, exec, vcc
	v_lshl_add_u64 v[0:1], v[4:5], 1, v[48:49]
	s_trap 2
	ds_write_b64 v0, v[0:1]
	v_and_b32_e32 v0, 0x2000, v57
	v_cmp_ne_u32_e32 vcc, 0, v0
	s_and_saveexec_b64 s[24:25], vcc
	s_cbranch_execz .LBB18_441
; %bb.440:                              ;   in Loop: Header=BB18_418 Depth=3
	ds_read_b64 v[0:1], v0 offset:584
	s_waitcnt lgkmcnt(0)
	v_lshl_add_u64 v[0:1], v[0:1], 0, 1
	ds_write_b64 v0, v[0:1] offset:584
.LBB18_441:                             ;   in Loop: Header=BB18_418 Depth=3
	s_or_b64 exec, exec, s[24:25]
	v_lshl_add_u64 v[10:11], v[10:11], 0, 2
	s_or_b64 exec, exec, s[54:55]
	s_and_saveexec_b64 s[24:25], s[4:5]
	s_cbranch_execnz .LBB18_455
.LBB18_442:                             ;   in Loop: Header=BB18_418 Depth=3
	s_or_b64 exec, exec, s[24:25]
                                        ; implicit-def: $vgpr0
	s_and_saveexec_b64 s[24:25], s[48:49]
	s_xor_b64 s[24:25], exec, s[24:25]
	s_cbranch_execz .LBB18_480
.LBB18_443:                             ;   in Loop: Header=BB18_418 Depth=3
	s_and_saveexec_b64 vcc, s[38:39]
	s_xor_b64 s[54:55], exec, vcc
	s_cbranch_execz .LBB18_470
; %bb.444:                              ;   in Loop: Header=BB18_418 Depth=3
	s_and_saveexec_b64 s[56:57], s[12:13]
	s_cbranch_execz .LBB18_469
; %bb.445:                              ;   in Loop: Header=BB18_418 Depth=3
	s_mov_b64 s[60:61], exec
	v_mbcnt_lo_u32_b32 v0, s60, 0
	v_mbcnt_hi_u32_b32 v0, s61, v0
	v_cmp_eq_u32_e32 vcc, 0, v0
	;;#ASMSTART
	s_waitcnt lgkmcnt(0) vmcnt(0)
	;;#ASMEND
	s_and_saveexec_b64 s[58:59], vcc
	s_cbranch_execz .LBB18_447
; %bb.446:                              ;   in Loop: Header=BB18_418 Depth=3
	s_bcnt1_i32_b64 vcc_lo, s[60:61]
	v_mov_b32_e32 v38, vcc_lo
	ds_add_u64 v0, v[38:39]
	s_trap 2
.LBB18_447:                             ;   in Loop: Header=BB18_418 Depth=3
	s_or_b64 exec, exec, s[58:59]
	s_trap 2
	ds_read_b64 v[0:1], v0
	v_lshl_add_u64 v[46:47], v[46:47], 0, v[36:37]
	s_waitcnt lgkmcnt(0)
	v_cmp_lt_u64_e32 vcc, v[0:1], v[46:47]
	s_and_saveexec_b64 s[58:59], vcc
	s_cbranch_execz .LBB18_468
; %bb.448:                              ;   in Loop: Header=BB18_418 Depth=3
	s_mov_b32 s70, 0
	s_mov_b64 s[60:61], 0
                                        ; implicit-def: $sgpr62_sgpr63
                                        ; implicit-def: $sgpr64_sgpr65
	s_branch .LBB18_450
.LBB18_449:                             ;   in Loop: Header=BB18_450 Depth=4
	s_or_b64 exec, exec, s[68:69]
	s_and_b64 vcc, exec, vcc
	s_or_b64 s[60:61], vcc, s[60:61]
	s_andn2_b64 vcc, s[62:63], exec
	s_and_b64 s[62:63], s[64:65], exec
	s_or_b64 s[62:63], vcc, s[62:63]
	s_andn2_b64 exec, exec, s[60:61]
	s_cbranch_execz .LBB18_466
.LBB18_450:                             ;   Parent Loop BB18_47 Depth=1
                                        ;     Parent Loop BB18_271 Depth=2
                                        ;       Parent Loop BB18_418 Depth=3
                                        ; =>      This Inner Loop Header: Depth=4
	s_add_i32 s70, s70, 1
	s_cmpk_lg_i32 s70, 0x2710
	s_cselect_b64 s[66:67], -1, 0
	s_and_b64 vcc, exec, s[66:67]
                                        ; implicit-def: $sgpr68_sgpr69
	s_cbranch_vccnz .LBB18_452
; %bb.451:                              ;   in Loop: Header=BB18_450 Depth=4
	s_trap 2
	ds_read_b64 v[0:1], v0
	s_andn2_b64 s[66:67], s[66:67], exec
	s_mov_b32 s70, 0
	s_mov_b64 s[68:69], -1
	s_waitcnt vmcnt(0) lgkmcnt(0)
	flat_load_dword v0, v[0:1] sc0 sc1
	s_waitcnt vmcnt(0) lgkmcnt(0)
	buffer_inv sc0 sc1
	v_cmp_eq_u32_e32 vcc, 0, v0
	s_and_b64 vcc, vcc, exec
	s_or_b64 s[66:67], s[66:67], vcc
.LBB18_452:                             ;   in Loop: Header=BB18_450 Depth=4
	s_andn2_b64 s[64:65], s[64:65], exec
	s_and_b64 s[68:69], s[68:69], exec
	s_mov_b64 vcc, -1
	s_or_b64 s[64:65], s[64:65], s[68:69]
	s_and_saveexec_b64 s[68:69], s[66:67]
	s_cbranch_execz .LBB18_449
; %bb.453:                              ;   in Loop: Header=BB18_450 Depth=4
	s_sleep 1
	s_trap 2
	ds_read_b64 v[0:1], v0
	s_andn2_b64 s[64:65], s[64:65], exec
	s_waitcnt lgkmcnt(0)
	v_cmp_ge_u64_e32 vcc, v[0:1], v[46:47]
	s_orn2_b64 vcc, vcc, exec
	s_branch .LBB18_449
.LBB18_454:                             ;   in Loop: Header=BB18_418 Depth=3
	s_or_b64 exec, exec, s[54:55]
	s_and_saveexec_b64 s[24:25], s[4:5]
	s_cbranch_execz .LBB18_442
.LBB18_455:                             ;   in Loop: Header=BB18_418 Depth=3
	s_and_saveexec_b64 vcc, s[38:39]
	s_xor_b64 s[54:55], exec, vcc
	s_cbranch_execz .LBB18_477
; %bb.456:                              ;   in Loop: Header=BB18_418 Depth=3
	s_and_saveexec_b64 s[56:57], s[12:13]
	s_cbranch_execz .LBB18_476
; %bb.457:                              ;   in Loop: Header=BB18_418 Depth=3
	s_mov_b64 s[60:61], exec
	v_mbcnt_lo_u32_b32 v0, s60, 0
	v_mbcnt_hi_u32_b32 v0, s61, v0
	v_cmp_eq_u32_e32 vcc, 0, v0
	s_waitcnt lgkmcnt(0)
	s_and_saveexec_b64 s[58:59], vcc
	s_cbranch_execz .LBB18_459
; %bb.458:                              ;   in Loop: Header=BB18_418 Depth=3
	s_bcnt1_i32_b64 vcc_lo, s[60:61]
	v_mov_b32_e32 v38, vcc_lo
	ds_add_u64 v0, v[38:39]
	s_trap 2
.LBB18_459:                             ;   in Loop: Header=BB18_418 Depth=3
	s_or_b64 exec, exec, s[58:59]
	s_trap 2
	ds_read_b64 v[0:1], v0
	v_lshl_add_u64 v[46:47], v[46:47], 0, v[36:37]
	s_waitcnt lgkmcnt(0)
	v_cmp_lt_u64_e32 vcc, v[0:1], v[46:47]
	s_and_saveexec_b64 s[58:59], vcc
	s_cbranch_execz .LBB18_475
; %bb.460:                              ;   in Loop: Header=BB18_418 Depth=3
	s_mov_b32 s70, 0
	s_mov_b64 s[60:61], 0
                                        ; implicit-def: $sgpr62_sgpr63
                                        ; implicit-def: $sgpr64_sgpr65
	s_branch .LBB18_462
.LBB18_461:                             ;   in Loop: Header=BB18_462 Depth=4
	s_or_b64 exec, exec, s[68:69]
	s_and_b64 vcc, exec, vcc
	s_or_b64 s[60:61], vcc, s[60:61]
	s_andn2_b64 vcc, s[62:63], exec
	s_and_b64 s[62:63], s[64:65], exec
	s_or_b64 s[62:63], vcc, s[62:63]
	s_andn2_b64 exec, exec, s[60:61]
	s_cbranch_execz .LBB18_473
.LBB18_462:                             ;   Parent Loop BB18_47 Depth=1
                                        ;     Parent Loop BB18_271 Depth=2
                                        ;       Parent Loop BB18_418 Depth=3
                                        ; =>      This Inner Loop Header: Depth=4
	s_add_i32 s70, s70, 1
	s_cmpk_lg_i32 s70, 0x2710
	s_cselect_b64 s[66:67], -1, 0
	s_and_b64 vcc, exec, s[66:67]
                                        ; implicit-def: $sgpr68_sgpr69
	s_cbranch_vccnz .LBB18_464
; %bb.463:                              ;   in Loop: Header=BB18_462 Depth=4
	s_trap 2
	ds_read_b64 v[0:1], v0
	s_andn2_b64 s[66:67], s[66:67], exec
	s_mov_b32 s70, 0
	s_mov_b64 s[68:69], -1
	s_waitcnt vmcnt(0) lgkmcnt(0)
	flat_load_dword v0, v[0:1] sc0 sc1
	s_waitcnt vmcnt(0) lgkmcnt(0)
	buffer_inv sc0 sc1
	v_cmp_eq_u32_e32 vcc, 0, v0
	s_and_b64 vcc, vcc, exec
	s_or_b64 s[66:67], s[66:67], vcc
.LBB18_464:                             ;   in Loop: Header=BB18_462 Depth=4
	s_andn2_b64 s[64:65], s[64:65], exec
	s_and_b64 s[68:69], s[68:69], exec
	s_mov_b64 vcc, -1
	s_or_b64 s[64:65], s[64:65], s[68:69]
	s_and_saveexec_b64 s[68:69], s[66:67]
	s_cbranch_execz .LBB18_461
; %bb.465:                              ;   in Loop: Header=BB18_462 Depth=4
	s_sleep 1
	s_trap 2
	ds_read_b64 v[0:1], v0
	s_andn2_b64 s[64:65], s[64:65], exec
	s_waitcnt lgkmcnt(0)
	v_cmp_ge_u64_e32 vcc, v[0:1], v[46:47]
	s_orn2_b64 vcc, vcc, exec
	s_branch .LBB18_461
.LBB18_466:                             ;   in Loop: Header=BB18_418 Depth=3
	s_or_b64 exec, exec, s[60:61]
	s_and_saveexec_b64 vcc, s[62:63]
	s_xor_b64 vcc, exec, vcc
	s_cbranch_execz .LBB18_468
; %bb.467:                              ;   in Loop: Header=BB18_418 Depth=3
	ds_write_b32 v0, v15
	s_trap 2
.LBB18_468:                             ;   in Loop: Header=BB18_418 Depth=3
	s_or_b64 exec, exec, s[58:59]
	;;#ASMSTART
	s_wakeup
	;;#ASMEND
.LBB18_469:                             ;   in Loop: Header=BB18_418 Depth=3
	s_or_b64 exec, exec, s[56:57]
.LBB18_470:                             ;   in Loop: Header=BB18_418 Depth=3
	s_andn2_saveexec_b64 vcc, s[54:55]
	s_cbranch_execz .LBB18_472
; %bb.471:                              ;   in Loop: Header=BB18_418 Depth=3
	;;#ASMSTART
	s_waitcnt lgkmcnt(0) vmcnt(0)
	;;#ASMEND
	s_barrier
.LBB18_472:                             ;   in Loop: Header=BB18_418 Depth=3
	s_or_b64 exec, exec, vcc
	v_and_b32_e32 v0, 16, v57
	s_andn2_saveexec_b64 s[24:25], s[24:25]
	s_cbranch_execz .LBB18_484
	s_branch .LBB18_481
.LBB18_473:                             ;   in Loop: Header=BB18_418 Depth=3
	s_or_b64 exec, exec, s[60:61]
	s_and_saveexec_b64 vcc, s[62:63]
	s_xor_b64 vcc, exec, vcc
	s_cbranch_execz .LBB18_475
; %bb.474:                              ;   in Loop: Header=BB18_418 Depth=3
	ds_write_b32 v0, v15
	s_trap 2
.LBB18_475:                             ;   in Loop: Header=BB18_418 Depth=3
	s_or_b64 exec, exec, s[58:59]
	;;#ASMSTART
	s_wakeup
	;;#ASMEND
.LBB18_476:                             ;   in Loop: Header=BB18_418 Depth=3
	s_or_b64 exec, exec, s[56:57]
.LBB18_477:                             ;   in Loop: Header=BB18_418 Depth=3
	s_andn2_saveexec_b64 vcc, s[54:55]
	s_cbranch_execz .LBB18_479
; %bb.478:                              ;   in Loop: Header=BB18_418 Depth=3
	s_waitcnt lgkmcnt(0)
	s_barrier
.LBB18_479:                             ;   in Loop: Header=BB18_418 Depth=3
	s_or_b64 exec, exec, vcc
	s_or_b64 exec, exec, s[24:25]
                                        ; implicit-def: $vgpr0
	s_and_saveexec_b64 s[24:25], s[48:49]
	s_xor_b64 s[24:25], exec, s[24:25]
	s_cbranch_execnz .LBB18_443
.LBB18_480:                             ;   in Loop: Header=BB18_418 Depth=3
	s_andn2_saveexec_b64 s[24:25], s[24:25]
	s_cbranch_execz .LBB18_484
.LBB18_481:                             ;   in Loop: Header=BB18_418 Depth=3
	s_trap 2
	ds_read_b32 v1, v0
	v_cmp_lt_i32_e32 vcc, 0, v6
	v_and_b32_e32 v2, 16, v57
	v_and_b32_e32 v0, 16, v57
	s_waitcnt lgkmcnt(0)
	v_readfirstlane_b32 s54, v1
	s_cmp_eq_u32 s54, 0
	s_cselect_b64 s[54:55], -1, 0
	s_and_b64 s[54:55], vcc, s[54:55]
	v_cmp_ne_u32_e32 vcc, 0, v2
	s_and_b64 s[54:55], vcc, s[54:55]
	s_and_saveexec_b64 vcc, s[54:55]
	s_cbranch_execz .LBB18_483
; %bb.482:                              ;   in Loop: Header=BB18_418 Depth=3
	v_mov_b32_e32 v0, 1
	buffer_wbl2 sc1
	s_waitcnt vmcnt(0)
	buffer_inv sc1
.LBB18_483:                             ;   in Loop: Header=BB18_418 Depth=3
	s_or_b64 exec, exec, vcc
.LBB18_484:                             ;   in Loop: Header=BB18_418 Depth=3
	s_or_b64 exec, exec, s[24:25]
	v_cmp_ne_u32_e32 vcc, 0, v0
	s_xor_b64 s[24:25], s[6:7], -1
	s_and_b64 vcc, vcc, s[24:25]
	s_and_saveexec_b64 s[24:25], vcc
	s_cbranch_execz .LBB18_486
; %bb.485:                              ;   in Loop: Header=BB18_418 Depth=3
	flat_store_dword v[52:53], v15 sc0 sc1
.LBB18_486:                             ;   in Loop: Header=BB18_418 Depth=3
	s_or_b64 exec, exec, s[24:25]
	v_and_b32_e32 v0, 48, v57
	v_cmp_ne_u32_e32 vcc, 0, v0
	s_and_saveexec_b64 s[24:25], vcc
	s_cbranch_execz .LBB18_417
; %bb.487:                              ;   in Loop: Header=BB18_418 Depth=3
	v_lshl_add_u64 v[10:11], v[10:11], 0, 2
	flat_store_dwordx2 v[58:59], v[10:11] sc0 sc1
	s_branch .LBB18_417
.LBB18_488:                             ;   in Loop: Header=BB18_47 Depth=1
	scratch_load_dwordx2 v[2:3], off, s33 offset:224 ; 8-byte Folded Reload
	v_mov_b32_e32 v44, 0
	s_waitcnt vmcnt(0)
	v_mul_lo_u32 v0, v3, s72
	v_mul_lo_u32 v1, v2, s73
	v_mad_u64_u32 v[4:5], s[24:25], v2, s72, 0
	v_add3_u32 v5, v5, v1, v0
	scratch_load_dwordx2 v[0:1], off, s33 offset:216 ; 8-byte Folded Reload
	s_waitcnt vmcnt(0)
	v_sub_co_u32_e32 v0, vcc, v0, v4
	s_nop 1
	v_subb_co_u32_e32 v1, vcc, v1, v5, vcc
	v_cmp_lt_i64_e32 vcc, v[2:3], v[0:1]
	s_nop 1
	v_cndmask_b32_e32 v0, v0, v2, vcc
	v_max_i32_e32 v51, 0, v0
	v_add_u32_e32 v1, 31, v51
	v_ashrrev_i32_e32 v2, 31, v1
	v_lshrrev_b32_e32 v2, 27, v2
	v_add_u32_e32 v1, v1, v2
	v_ashrrev_i32_e32 v1, 5, v1
	v_lshlrev_b32_e32 v1, 4, v1
	v_cmp_lt_i32_e32 vcc, 0, v0
	v_max_i32_e32 v42, s80, v1
	s_and_b64 s[24:25], s[50:51], vcc
	v_mov_b32_e32 v0, 0
	s_and_saveexec_b64 s[54:55], s[24:25]
	s_cbranch_execz .LBB18_666
; %bb.489:                              ;   in Loop: Header=BB18_47 Depth=1
	v_accvgpr_read_b32 v0, a62
	v_accvgpr_read_b32 v1, a63
	v_lshl_add_u64 v[0:1], v[4:5], 0, v[0:1]
	v_lshlrev_b64 v[0:1], 1, v[0:1]
	v_accvgpr_write_b32 a33, v1
	s_mov_b32 s97, 1
	s_mov_b64 s[58:59], -1
	s_mov_b64 s[56:57], 0
	v_mov_b32_e32 v44, 0
	v_accvgpr_write_b32 a32, v0
	scratch_store_dword off, v51, s33 offset:248 ; 4-byte Folded Spill
	s_branch .LBB18_491
.LBB18_490:                             ;   in Loop: Header=BB18_491 Depth=2
	s_or_b64 exec, exec, s[24:25]
	v_add_u32_e32 v44, v42, v44
	s_waitcnt vmcnt(0)
	v_cmp_ge_i32_e32 vcc, v44, v51
	s_xor_b64 s[24:25], s[58:59], -1
	s_or_b64 s[24:25], s[24:25], vcc
	s_and_b64 s[24:25], exec, s[24:25]
	s_or_b64 s[56:57], s[24:25], s[56:57]
	s_mov_b64 s[58:59], 0
	v_mov_b32_e32 v0, s97
	s_mov_b32 s97, 2
	s_andn2_b64 exec, exec, s[56:57]
	s_cbranch_execz .LBB18_739
.LBB18_491:                             ;   Parent Loop BB18_47 Depth=1
                                        ; =>  This Loop Header: Depth=2
                                        ;       Child Loop BB18_499 Depth 3
                                        ;       Child Loop BB18_525 Depth 3
	;; [unrolled: 1-line block ×9, first 2 shown]
                                        ;         Child Loop BB18_572 Depth 4
                                        ;       Child Loop BB18_581 Depth 3
                                        ;       Child Loop BB18_586 Depth 3
                                        ;         Child Loop BB18_587 Depth 4
                                        ;       Child Loop BB18_628 Depth 3
                                        ;       Child Loop BB18_651 Depth 3
	s_and_saveexec_b64 s[24:25], s[0:1]
	s_cbranch_execz .LBB18_493
; %bb.492:                              ;   in Loop: Header=BB18_491 Depth=2
	s_trap 2
	ds_read2_b64 v[4:7], v0 offset1:1
	ds_read_b64 v[0:1], v0
	v_accvgpr_read_b32 v8, a32
	v_ashrrev_i32_e32 v45, 31, v44
	v_accvgpr_read_b32 v9, a33
	v_lshlrev_b64 v[2:3], 1, v[44:45]
	s_waitcnt lgkmcnt(0)
	v_lshl_add_u64 v[4:5], v[4:5], 0, v[8:9]
	v_lshl_add_u64 v[4:5], v[4:5], 0, v[2:3]
	ds_write_b64 v0, v[4:5]
	v_lshl_add_u64 v[4:5], v[6:7], 0, v[8:9]
	v_lshl_add_u64 v[4:5], v[4:5], 0, v[2:3]
	ds_write_b64 v0, v[4:5]
	v_lshl_add_u64 v[4:5], v[0:1], 0, v[8:9]
	v_lshl_add_u64 v[2:3], v[4:5], 0, v[2:3]
	v_cmp_ne_u64_e32 vcc, 0, v[0:1]
	s_nop 1
	v_cndmask_b32_e32 v1, 0, v3, vcc
	v_cndmask_b32_e32 v0, 0, v2, vcc
	ds_write_b64 v0, v[0:1]
.LBB18_493:                             ;   in Loop: Header=BB18_491 Depth=2
	s_or_b64 exec, exec, s[24:25]
	v_and_b32_e32 v0, 12, v57
	v_cmp_ne_u32_e32 vcc, 0, v0
	s_mov_b64 s[26:27], -1
	s_and_saveexec_b64 s[24:25], vcc
	s_cbranch_execz .LBB18_505
; %bb.494:                              ;   in Loop: Header=BB18_491 Depth=2
	v_and_b32_e32 v38, 8, v57
	v_lshl_add_u64 v[0:1], v[40:41], 0, v[38:39]
	v_lshl_add_u64 v[4:5], v[10:11], 0, 2
	v_cmp_lt_u64_e32 vcc, v[0:1], v[4:5]
	v_mov_b32_e32 v0, 1
	s_and_saveexec_b64 s[26:27], vcc
	s_cbranch_execz .LBB18_504
; %bb.495:                              ;   in Loop: Header=BB18_491 Depth=2
	s_mov_b64 s[28:29], 0
	v_mov_b32_e32 v0, 0
                                        ; implicit-def: $sgpr60_sgpr61
	s_branch .LBB18_499
.LBB18_496:                             ;   in Loop: Header=BB18_499 Depth=3
	s_or_b64 exec, exec, s[68:69]
	v_mov_b32_e32 v1, 0
	s_orn2_b64 s[66:67], s[66:67], exec
.LBB18_497:                             ;   in Loop: Header=BB18_499 Depth=3
	s_or_b64 exec, exec, s[64:65]
	s_andn2_b64 vcc, s[60:61], exec
	s_and_b64 s[60:61], s[66:67], exec
	s_or_b64 s[60:61], vcc, s[60:61]
	v_mov_b32_e32 v0, v1
.LBB18_498:                             ;   in Loop: Header=BB18_499 Depth=3
	s_or_b64 exec, exec, s[62:63]
	s_waitcnt vmcnt(0) lgkmcnt(0)
	v_lshl_add_u64 v[2:3], v[40:41], 0, v[38:39]
	v_cmp_ge_u64_e32 vcc, v[2:3], v[4:5]
	s_xor_b64 s[62:63], s[60:61], -1
	s_or_b64 vcc, s[62:63], vcc
	s_and_b64 vcc, exec, vcc
	s_or_b64 s[28:29], vcc, s[28:29]
	s_andn2_b64 exec, exec, s[28:29]
	s_cbranch_execz .LBB18_503
.LBB18_499:                             ;   Parent Loop BB18_47 Depth=1
                                        ;     Parent Loop BB18_491 Depth=2
                                        ; =>    This Inner Loop Header: Depth=3
	s_sleep 1
	flat_load_dwordx2 v[40:41], v[58:59] sc0 sc1
	v_and_b32_e32 v1, 64, v57
	v_cmp_eq_u32_e32 vcc, 0, v1
	s_andn2_b64 s[60:61], s[60:61], exec
	s_and_saveexec_b64 s[62:63], vcc
	s_cbranch_execz .LBB18_498
; %bb.500:                              ;   in Loop: Header=BB18_499 Depth=3
	v_add_u32_e32 v1, 1, v0
	v_cmp_lt_i32_e32 vcc, s84, v0
	s_mov_b64 s[66:67], -1
	s_and_saveexec_b64 s[64:65], vcc
	s_cbranch_execz .LBB18_497
; %bb.501:                              ;   in Loop: Header=BB18_499 Depth=3
	s_trap 2
	ds_read_b64 v[0:1], v0
	s_waitcnt vmcnt(0) lgkmcnt(0)
	flat_load_dword v0, v[0:1] sc0 sc1
	s_waitcnt vmcnt(0) lgkmcnt(0)
	buffer_inv sc0 sc1
	v_cmp_ne_u32_e32 vcc, 0, v0
	s_and_saveexec_b64 s[68:69], vcc
	s_cbranch_execz .LBB18_496
; %bb.502:                              ;   in Loop: Header=BB18_499 Depth=3
	v_or_b32_e32 v57, 64, v57
	s_xor_b64 s[66:67], exec, -1
	ds_write_b32 v0, v0
	s_trap 2
	s_branch .LBB18_496
.LBB18_503:                             ;   in Loop: Header=BB18_491 Depth=2
	s_or_b64 exec, exec, s[28:29]
	v_and_b32_e32 v0, 12, v57
.LBB18_504:                             ;   in Loop: Header=BB18_491 Depth=2
	s_or_b64 exec, exec, s[26:27]
	v_cmp_eq_u32_e32 vcc, 0, v0
	s_orn2_b64 s[26:27], vcc, exec
	;;#ASMSTART
	s_wakeup
	;;#ASMEND
.LBB18_505:                             ;   in Loop: Header=BB18_491 Depth=2
	s_or_b64 exec, exec, s[24:25]
	v_sub_u32_e32 v0, v51, v44
	s_xor_b64 s[24:25], s[26:27], -1
	v_min_i32_e32 v42, v42, v0
	s_and_saveexec_b64 s[26:27], s[24:25]
	s_cbranch_execz .LBB18_517
; %bb.506:                              ;   in Loop: Header=BB18_491 Depth=2
	v_and_b32_e32 v0, 0x108, v57
	v_cmp_ne_u32_e32 vcc, s86, v0
	v_and_b32_e32 v2, 7, v10
	s_and_saveexec_b64 s[24:25], vcc
	s_xor_b64 s[24:25], exec, s[24:25]
	s_andn2_saveexec_b64 s[24:25], s[24:25]
	s_cbranch_execz .LBB18_508
; %bb.507:                              ;   in Loop: Header=BB18_491 Depth=2
	v_accvgpr_read_b32 v0, a16
	v_accvgpr_read_b32 v1, a17
	v_ashrrev_i32_e32 v43, 31, v42
	v_mad_u64_u32 v[0:1], s[28:29], v2, 24, v[0:1]
	v_lshlrev_b64 v[4:5], 1, v[42:43]
	flat_store_dwordx2 v[0:1], v[4:5] offset:8
.LBB18_508:                             ;   in Loop: Header=BB18_491 Depth=2
	s_or_b64 exec, exec, s[24:25]
	v_and_b32_e32 v0, 0x100, v57
	v_cmp_ne_u32_e32 vcc, 0, v0
	s_mov_b64 s[24:25], -1
                                        ; implicit-def: $vgpr4_vgpr5
	s_and_saveexec_b64 s[28:29], vcc
	s_cbranch_execz .LBB18_512
; %bb.509:                              ;   in Loop: Header=BB18_491 Depth=2
	v_accvgpr_read_b32 v0, a16
	v_accvgpr_read_b32 v1, a17
	v_mad_u64_u32 v[6:7], s[24:25], v2, 24, v[0:1]
	v_mov_b32_e32 v0, v7
	v_mad_u64_u32 v[0:1], s[24:25], v39, 24, v[0:1]
	v_mov_b32_e32 v7, v0
	flat_load_dword v0, v[6:7]
                                        ; implicit-def: $vgpr4_vgpr5
	s_waitcnt vmcnt(0) lgkmcnt(0)
	v_cmp_ne_u32_e32 vcc, 1, v0
	v_cmp_eq_u32_e64 s[24:25], 1, v0
	s_and_saveexec_b64 s[60:61], s[24:25]
	s_cbranch_execz .LBB18_511
; %bb.510:                              ;   in Loop: Header=BB18_491 Depth=2
	flat_load_dword v0, v[6:7] offset:4 sc0 sc1
	s_waitcnt vmcnt(0) lgkmcnt(0)
	v_ashrrev_i32_e32 v1, 31, v0
	v_lshrrev_b64 v[4:5], 1, v[0:1]
.LBB18_511:                             ;   in Loop: Header=BB18_491 Depth=2
	s_or_b64 exec, exec, s[60:61]
	s_orn2_b64 s[24:25], vcc, exec
.LBB18_512:                             ;   in Loop: Header=BB18_491 Depth=2
	s_or_b64 exec, exec, s[28:29]
	s_and_saveexec_b64 s[28:29], s[24:25]
; %bb.513:                              ;   in Loop: Header=BB18_491 Depth=2
	v_mul_lo_u32 v0, v39, v16
	v_mul_lo_u32 v1, v2, v35
	v_mad_u64_u32 v[4:5], s[24:25], v2, v16, 0
	v_add3_u32 v5, v5, v1, v0
; %bb.514:                              ;   in Loop: Header=BB18_491 Depth=2
	s_or_b64 exec, exec, s[28:29]
	v_lshl_add_u64 v[0:1], v[4:5], 1, v[48:49]
	s_trap 2
	ds_write_b64 v0, v[0:1]
	v_and_b32_e32 v0, 0x2000, v57
	v_cmp_ne_u32_e32 vcc, 0, v0
	s_and_saveexec_b64 s[24:25], vcc
	s_cbranch_execz .LBB18_516
; %bb.515:                              ;   in Loop: Header=BB18_491 Depth=2
	ds_read_b64 v[0:1], v0 offset:584
	s_waitcnt lgkmcnt(0)
	v_lshl_add_u64 v[0:1], v[0:1], 0, 1
	ds_write_b64 v0, v[0:1] offset:584
.LBB18_516:                             ;   in Loop: Header=BB18_491 Depth=2
	s_or_b64 exec, exec, s[24:25]
	v_lshl_add_u64 v[10:11], v[10:11], 0, 2
.LBB18_517:                             ;   in Loop: Header=BB18_491 Depth=2
	s_or_b64 exec, exec, s[26:27]
	s_and_saveexec_b64 s[24:25], s[4:5]
	s_cbranch_execz .LBB18_536
; %bb.518:                              ;   in Loop: Header=BB18_491 Depth=2
	s_and_saveexec_b64 s[26:27], s[38:39]
	s_xor_b64 s[26:27], exec, s[26:27]
	s_cbranch_execz .LBB18_533
; %bb.519:                              ;   in Loop: Header=BB18_491 Depth=2
	s_and_saveexec_b64 s[28:29], s[12:13]
	s_cbranch_execz .LBB18_532
; %bb.520:                              ;   in Loop: Header=BB18_491 Depth=2
	s_mov_b64 s[62:63], exec
	v_mbcnt_lo_u32_b32 v0, s62, 0
	v_mbcnt_hi_u32_b32 v0, s63, v0
	v_cmp_eq_u32_e32 vcc, 0, v0
	s_waitcnt lgkmcnt(0)
	s_and_saveexec_b64 s[60:61], vcc
	s_cbranch_execz .LBB18_522
; %bb.521:                              ;   in Loop: Header=BB18_491 Depth=2
	s_bcnt1_i32_b64 vcc_lo, s[62:63]
	v_mov_b32_e32 v38, vcc_lo
	ds_add_u64 v0, v[38:39]
	s_trap 2
.LBB18_522:                             ;   in Loop: Header=BB18_491 Depth=2
	s_or_b64 exec, exec, s[60:61]
	s_trap 2
	ds_read_b64 v[0:1], v0
	v_lshl_add_u64 v[46:47], v[46:47], 0, v[36:37]
	s_waitcnt lgkmcnt(0)
	v_cmp_lt_u64_e32 vcc, v[0:1], v[46:47]
	s_and_saveexec_b64 s[60:61], vcc
	s_cbranch_execz .LBB18_531
; %bb.523:                              ;   in Loop: Header=BB18_491 Depth=2
	s_mov_b32 s98, 0
	s_mov_b64 s[62:63], 0
                                        ; implicit-def: $sgpr64_sgpr65
                                        ; implicit-def: $sgpr66_sgpr67
	s_branch .LBB18_525
.LBB18_524:                             ;   in Loop: Header=BB18_525 Depth=3
	s_or_b64 exec, exec, s[70:71]
	s_and_b64 vcc, exec, vcc
	s_or_b64 s[62:63], vcc, s[62:63]
	s_andn2_b64 vcc, s[64:65], exec
	s_and_b64 s[64:65], s[66:67], exec
	s_or_b64 s[64:65], vcc, s[64:65]
	s_andn2_b64 exec, exec, s[62:63]
	s_cbranch_execz .LBB18_529
.LBB18_525:                             ;   Parent Loop BB18_47 Depth=1
                                        ;     Parent Loop BB18_491 Depth=2
                                        ; =>    This Inner Loop Header: Depth=3
	s_add_i32 s98, s98, 1
	s_cmpk_lg_i32 s98, 0x2710
	s_cselect_b64 s[68:69], -1, 0
	s_and_b64 vcc, exec, s[68:69]
                                        ; implicit-def: $sgpr70_sgpr71
	s_cbranch_vccnz .LBB18_527
; %bb.526:                              ;   in Loop: Header=BB18_525 Depth=3
	s_trap 2
	ds_read_b64 v[0:1], v0
	s_andn2_b64 s[68:69], s[68:69], exec
	s_mov_b32 s98, 0
	s_mov_b64 s[70:71], -1
	s_waitcnt vmcnt(0) lgkmcnt(0)
	flat_load_dword v0, v[0:1] sc0 sc1
	s_waitcnt vmcnt(0) lgkmcnt(0)
	buffer_inv sc0 sc1
	v_cmp_eq_u32_e32 vcc, 0, v0
	s_and_b64 vcc, vcc, exec
	s_or_b64 s[68:69], s[68:69], vcc
.LBB18_527:                             ;   in Loop: Header=BB18_525 Depth=3
	s_andn2_b64 s[66:67], s[66:67], exec
	s_and_b64 s[70:71], s[70:71], exec
	s_mov_b64 vcc, -1
	s_or_b64 s[66:67], s[66:67], s[70:71]
	s_and_saveexec_b64 s[70:71], s[68:69]
	s_cbranch_execz .LBB18_524
; %bb.528:                              ;   in Loop: Header=BB18_525 Depth=3
	s_sleep 1
	s_trap 2
	ds_read_b64 v[0:1], v0
	s_andn2_b64 s[66:67], s[66:67], exec
	s_waitcnt lgkmcnt(0)
	v_cmp_ge_u64_e32 vcc, v[0:1], v[46:47]
	s_orn2_b64 vcc, vcc, exec
	s_branch .LBB18_524
.LBB18_529:                             ;   in Loop: Header=BB18_491 Depth=2
	s_or_b64 exec, exec, s[62:63]
	s_and_saveexec_b64 vcc, s[64:65]
	s_xor_b64 vcc, exec, vcc
	s_cbranch_execz .LBB18_531
; %bb.530:                              ;   in Loop: Header=BB18_491 Depth=2
	ds_write_b32 v0, v15
	s_trap 2
.LBB18_531:                             ;   in Loop: Header=BB18_491 Depth=2
	s_or_b64 exec, exec, s[60:61]
	;;#ASMSTART
	s_wakeup
	;;#ASMEND
.LBB18_532:                             ;   in Loop: Header=BB18_491 Depth=2
	s_or_b64 exec, exec, s[28:29]
.LBB18_533:                             ;   in Loop: Header=BB18_491 Depth=2
	s_andn2_saveexec_b64 s[26:27], s[26:27]
	s_cbranch_execz .LBB18_535
; %bb.534:                              ;   in Loop: Header=BB18_491 Depth=2
	s_waitcnt lgkmcnt(0)
	s_barrier
.LBB18_535:                             ;   in Loop: Header=BB18_491 Depth=2
	s_or_b64 exec, exec, s[26:27]
.LBB18_536:                             ;   in Loop: Header=BB18_491 Depth=2
	s_or_b64 exec, exec, s[24:25]
	s_trap 2
	ds_read_b32 v0, v0
	v_and_b32_e32 v1, 0x4000, v57
	v_cmp_ne_u32_e32 vcc, 0, v1
	s_xor_b64 s[24:25], s[2:3], -1
	s_and_b64 s[26:27], s[24:25], vcc
	s_and_saveexec_b64 s[24:25], s[26:27]
	s_cbranch_execz .LBB18_555
; %bb.537:                              ;   in Loop: Header=BB18_491 Depth=2
	s_and_saveexec_b64 s[26:27], s[38:39]
	s_xor_b64 s[26:27], exec, s[26:27]
	s_cbranch_execz .LBB18_552
; %bb.538:                              ;   in Loop: Header=BB18_491 Depth=2
	s_and_saveexec_b64 s[28:29], s[12:13]
	s_cbranch_execz .LBB18_551
; %bb.539:                              ;   in Loop: Header=BB18_491 Depth=2
	s_mov_b64 s[62:63], exec
	v_mbcnt_lo_u32_b32 v1, s62, 0
	v_mbcnt_hi_u32_b32 v1, s63, v1
	v_cmp_eq_u32_e32 vcc, 0, v1
	s_waitcnt lgkmcnt(0)
	s_and_saveexec_b64 s[60:61], vcc
	s_cbranch_execz .LBB18_541
; %bb.540:                              ;   in Loop: Header=BB18_491 Depth=2
	s_bcnt1_i32_b64 vcc_lo, s[62:63]
	v_mov_b32_e32 v38, vcc_lo
	ds_add_u64 v0, v[38:39]
	s_trap 2
.LBB18_541:                             ;   in Loop: Header=BB18_491 Depth=2
	s_or_b64 exec, exec, s[60:61]
	s_trap 2
	ds_read_b64 v[2:3], v0
	v_lshl_add_u64 v[46:47], v[46:47], 0, v[36:37]
	s_waitcnt lgkmcnt(0)
	v_cmp_lt_u64_e32 vcc, v[2:3], v[46:47]
	s_and_saveexec_b64 s[60:61], vcc
	s_cbranch_execz .LBB18_550
; %bb.542:                              ;   in Loop: Header=BB18_491 Depth=2
	s_mov_b32 s98, 0
	s_mov_b64 s[62:63], 0
                                        ; implicit-def: $sgpr64_sgpr65
                                        ; implicit-def: $sgpr66_sgpr67
	s_branch .LBB18_544
.LBB18_543:                             ;   in Loop: Header=BB18_544 Depth=3
	s_or_b64 exec, exec, s[70:71]
	s_and_b64 vcc, exec, vcc
	s_or_b64 s[62:63], vcc, s[62:63]
	s_andn2_b64 vcc, s[64:65], exec
	s_and_b64 s[64:65], s[66:67], exec
	s_or_b64 s[64:65], vcc, s[64:65]
	s_andn2_b64 exec, exec, s[62:63]
	s_cbranch_execz .LBB18_548
.LBB18_544:                             ;   Parent Loop BB18_47 Depth=1
                                        ;     Parent Loop BB18_491 Depth=2
                                        ; =>    This Inner Loop Header: Depth=3
	s_add_i32 s98, s98, 1
	s_cmpk_lg_i32 s98, 0x2710
	s_cselect_b64 s[68:69], -1, 0
	s_and_b64 vcc, exec, s[68:69]
                                        ; implicit-def: $sgpr70_sgpr71
	s_cbranch_vccnz .LBB18_546
; %bb.545:                              ;   in Loop: Header=BB18_544 Depth=3
	s_trap 2
	ds_read_b64 v[2:3], v0
	s_andn2_b64 s[68:69], s[68:69], exec
	s_mov_b32 s98, 0
	s_mov_b64 s[70:71], -1
	s_waitcnt vmcnt(0) lgkmcnt(0)
	flat_load_dword v1, v[2:3] sc0 sc1
	s_waitcnt vmcnt(0) lgkmcnt(0)
	buffer_inv sc0 sc1
	v_cmp_eq_u32_e32 vcc, 0, v1
	s_and_b64 vcc, vcc, exec
	s_or_b64 s[68:69], s[68:69], vcc
.LBB18_546:                             ;   in Loop: Header=BB18_544 Depth=3
	s_andn2_b64 s[66:67], s[66:67], exec
	s_and_b64 s[70:71], s[70:71], exec
	s_mov_b64 vcc, -1
	s_or_b64 s[66:67], s[66:67], s[70:71]
	s_and_saveexec_b64 s[70:71], s[68:69]
	s_cbranch_execz .LBB18_543
; %bb.547:                              ;   in Loop: Header=BB18_544 Depth=3
	s_sleep 1
	s_trap 2
	ds_read_b64 v[2:3], v0
	s_andn2_b64 s[66:67], s[66:67], exec
	s_waitcnt lgkmcnt(0)
	v_cmp_ge_u64_e32 vcc, v[2:3], v[46:47]
	s_orn2_b64 vcc, vcc, exec
	s_branch .LBB18_543
.LBB18_548:                             ;   in Loop: Header=BB18_491 Depth=2
	s_or_b64 exec, exec, s[62:63]
	s_and_saveexec_b64 vcc, s[64:65]
	s_xor_b64 vcc, exec, vcc
	s_cbranch_execz .LBB18_550
; %bb.549:                              ;   in Loop: Header=BB18_491 Depth=2
	ds_write_b32 v0, v15
	s_trap 2
.LBB18_550:                             ;   in Loop: Header=BB18_491 Depth=2
	s_or_b64 exec, exec, s[60:61]
	;;#ASMSTART
	s_wakeup
	;;#ASMEND
.LBB18_551:                             ;   in Loop: Header=BB18_491 Depth=2
	s_or_b64 exec, exec, s[28:29]
.LBB18_552:                             ;   in Loop: Header=BB18_491 Depth=2
	s_andn2_saveexec_b64 s[26:27], s[26:27]
	s_cbranch_execz .LBB18_554
; %bb.553:                              ;   in Loop: Header=BB18_491 Depth=2
	s_waitcnt lgkmcnt(0)
	s_barrier
.LBB18_554:                             ;   in Loop: Header=BB18_491 Depth=2
	s_or_b64 exec, exec, s[26:27]
.LBB18_555:                             ;   in Loop: Header=BB18_491 Depth=2
	s_or_b64 exec, exec, s[24:25]
	s_trap 2
	s_waitcnt lgkmcnt(0)
	ds_read_b64 v[2:3], v0
	v_mov_b32_e32 v45, 0
	s_waitcnt lgkmcnt(0)
	v_readfirstlane_b32 s24, v2
	v_readfirstlane_b32 s25, v3
	s_cmp_eq_u64 s[24:25], 0
	s_cselect_b64 s[24:25], -1, 0
	s_or_b64 s[24:25], s[24:25], s[24:25]
	s_and_b64 vcc, exec, s[24:25]
	s_cbranch_vccnz .LBB18_620
; %bb.556:                              ;   in Loop: Header=BB18_491 Depth=2
	s_trap 2
	ds_read_b64 v[2:3], v0
	v_cmp_eq_u32_e64 s[24:25], 0, v0
	s_waitcnt lgkmcnt(0)
	v_cmp_ne_u64_e32 vcc, 0, v[2:3]
	v_cndmask_b32_e64 v45, 0, v42, s[24:25]
	s_cbranch_vccz .LBB18_563
; %bb.557:                              ;   in Loop: Header=BB18_491 Depth=2
	s_trap 2
	ds_read_b64 v[60:61], v0
	s_mov_b64 s[26:27], -1
	s_and_saveexec_b64 s[24:25], s[18:19]
	s_cbranch_execz .LBB18_559
; %bb.558:                              ;   in Loop: Header=BB18_491 Depth=2
	ds_read_b32 v0, v0 offset:720
	s_waitcnt lgkmcnt(0)
	v_and_b32_e32 v0, 15, v0
	v_cmp_eq_u32_e32 vcc, 0, v0
	s_orn2_b64 s[26:27], vcc, exec
.LBB18_559:                             ;   in Loop: Header=BB18_491 Depth=2
	s_or_b64 exec, exec, s[24:25]
	s_and_saveexec_b64 s[24:25], s[18:19]
	s_cbranch_execz .LBB18_561
; %bb.560:                              ;   in Loop: Header=BB18_491 Depth=2
	ds_read_b32 v0, v0 offset:784
	s_waitcnt lgkmcnt(0)
	v_and_b32_e32 v0, 15, v0
	v_cmp_eq_u32_e32 vcc, 0, v0
	s_and_b64 s[28:29], s[26:27], vcc
	s_andn2_b64 s[26:27], s[26:27], exec
	s_and_b64 s[28:29], s[28:29], exec
	s_or_b64 s[26:27], s[26:27], s[28:29]
.LBB18_561:                             ;   in Loop: Header=BB18_491 Depth=2
	s_or_b64 exec, exec, s[24:25]
	s_xor_b64 s[26:27], s[26:27], -1
	v_cndmask_b32_e64 v0, 0, 1, s[26:27]
	v_lshlrev_b32_e32 v7, 1, v45
	s_mov_b64 s[24:25], -1
	;;#ASMSTART
	;;#ASMEND
	v_mov_b32_e32 v14, 0
	v_cmp_ne_u32_e32 vcc, 0, v0
	s_cbranch_vccz .LBB18_564
; %bb.562:                              ;   in Loop: Header=BB18_491 Depth=2
	v_mov_b32_e32 v15, v56
	v_mov_b32_e32 v4, v34
	s_and_saveexec_b64 s[28:29], s[24:25]
	s_cbranch_execnz .LBB18_579
	s_branch .LBB18_590
.LBB18_563:                             ;   in Loop: Header=BB18_491 Depth=2
	s_cbranch_execnz .LBB18_591
	s_branch .LBB18_620
.LBB18_564:                             ;   in Loop: Header=BB18_491 Depth=2
	v_ashrrev_i32_e32 v0, 31, v7
	v_lshrrev_b32_e32 v0, 20, v0
	v_add_u32_e32 v0, v7, v0
	v_accvgpr_write_b32 a4, v52
	v_ashrrev_i32_e32 v0, 12, v0
	v_accvgpr_write_b32 a5, v53
	v_sub_u32_e32 v53, v0, v34
	v_cmp_lt_i32_e32 vcc, 0, v53
	s_and_saveexec_b64 s[24:25], vcc
	s_cbranch_execz .LBB18_568
; %bb.565:                              ;   in Loop: Header=BB18_491 Depth=2
	v_accvgpr_write_b32 a13, v7
	s_trap 2
	ds_read_b128 v[4:7], v0
	v_accvgpr_write_b32 a26, v46
	v_accvgpr_write_b32 a14, v40
	;; [unrolled: 1-line block ×3, first 2 shown]
	s_waitcnt lgkmcnt(0)
	v_accvgpr_write_b32 a52, v60
	v_lshl_add_u64 v[4:5], v[4:5], 0, v[18:19]
	v_lshl_add_u64 v[6:7], v[6:7], 0, v[18:19]
	v_accvgpr_write_b32 a6, v36
	v_accvgpr_write_b32 a1, v56
	;; [unrolled: 1-line block ×11, first 2 shown]
	v_lshl_add_u64 v[54:55], v[60:61], 0, v[18:19]
	s_mov_b64 s[26:27], 0
	v_mov_b64_e32 v[30:31], v[4:5]
	v_mov_b64_e32 v[44:45], v[6:7]
	v_accvgpr_write_b32 a7, v37
.LBB18_566:                             ;   Parent Loop BB18_47 Depth=1
                                        ;     Parent Loop BB18_491 Depth=2
                                        ; =>    This Inner Loop Header: Depth=3
	global_load_dwordx4 v[16:19], v[6:7], off nt
	global_load_dwordx4 v[20:23], v[4:5], off nt
	global_load_dwordx4 v[24:27], v[4:5], off offset:1024 nt
	global_load_dwordx4 v[32:35], v[6:7], off offset:1024 nt
	;; [unrolled: 1-line block ×5, first 2 shown]
	s_waitcnt vmcnt(0)
	v_mul_f16_e32 v28, v20, v16
	v_mul_f16_sdwa v29, v20, v16 dst_sel:DWORD dst_unused:UNUSED_PAD src0_sel:WORD_1 src1_sel:WORD_1
	v_mul_f16_e32 v60, v21, v17
	v_mul_f16_sdwa v0, v21, v17 dst_sel:DWORD dst_unused:UNUSED_PAD src0_sel:WORD_1 src1_sel:WORD_1
	v_mul_f16_e32 v12, v50, v38
	v_accvgpr_write_b32 a18, v12
	v_mul_f16_sdwa v12, v50, v38 dst_sel:DWORD dst_unused:UNUSED_PAD src0_sel:WORD_1 src1_sel:WORD_1
	v_mul_f16_e32 v46, v48, v36
	v_mul_f16_sdwa v56, v48, v36 dst_sel:DWORD dst_unused:UNUSED_PAD src0_sel:WORD_1 src1_sel:WORD_1
	v_mul_f16_e32 v58, v49, v37
	v_mul_f16_sdwa v41, v49, v37 dst_sel:DWORD dst_unused:UNUSED_PAD src0_sel:WORD_1 src1_sel:WORD_1
	v_accvgpr_write_b32 a34, v12
	v_mul_f16_e32 v50, v51, v39
	v_mul_f16_sdwa v59, v51, v39 dst_sel:DWORD dst_unused:UNUSED_PAD src0_sel:WORD_1 src1_sel:WORD_1
	global_load_dwordx4 v[36:39], v[6:7], off offset:3072 nt
	global_load_dwordx4 v[12:15], v[54:55], off nt
	v_mul_f16_e32 v20, v22, v18
	v_mul_f16_sdwa v52, v22, v18 dst_sel:DWORD dst_unused:UNUSED_PAD src0_sel:WORD_1 src1_sel:WORD_1
	v_mul_f16_e32 v3, v25, v33
	v_mul_f16_sdwa v17, v25, v33 dst_sel:DWORD dst_unused:UNUSED_PAD src0_sel:WORD_1 src1_sel:WORD_1
	v_mul_f16_e32 v43, v26, v34
	v_mul_f16_sdwa v47, v26, v34 dst_sel:DWORD dst_unused:UNUSED_PAD src0_sel:WORD_1 src1_sel:WORD_1
	v_mul_f16_e32 v1, v23, v19
	v_mul_f16_sdwa v2, v23, v19 dst_sel:DWORD dst_unused:UNUSED_PAD src0_sel:WORD_1 src1_sel:WORD_1
	v_mul_f16_e32 v23, v24, v32
	v_mul_f16_sdwa v42, v24, v32 dst_sel:DWORD dst_unused:UNUSED_PAD src0_sel:WORD_1 src1_sel:WORD_1
	v_accvgpr_write_b32 a9, v0
	v_mul_f16_e32 v19, v27, v35
	v_mul_f16_sdwa v21, v27, v35 dst_sel:DWORD dst_unused:UNUSED_PAD src0_sel:WORD_1 src1_sel:WORD_1
	v_accvgpr_write_b32 a8, v60
	v_accvgpr_write_b32 a40, v17
	;; [unrolled: 1-line block ×3, first 2 shown]
	v_mov_b32_e32 v27, v28
	v_accvgpr_write_b32 a16, v1
	v_accvgpr_write_b32 a35, v3
	;; [unrolled: 1-line block ×6, first 2 shown]
	s_waitcnt vmcnt(1)
	v_mul_f16_e32 v26, v8, v36
	v_mul_f16_sdwa v25, v8, v36 dst_sel:DWORD dst_unused:UNUSED_PAD src0_sel:WORD_1 src1_sel:WORD_1
	s_waitcnt vmcnt(0)
	v_mul_f16_e32 v8, v28, v12
	v_mul_f16_e32 v24, v10, v38
	v_mul_f16_sdwa v22, v10, v38 dst_sel:DWORD dst_unused:UNUSED_PAD src0_sel:WORD_1 src1_sel:WORD_1
	v_accvgpr_write_b32 a41, v8
	v_mov_b32_e32 v8, v29
	v_mul_f16_sdwa v51, v0, v13 dst_sel:WORD_1 dst_unused:UNUSED_PAD src0_sel:DWORD src1_sel:WORD_1
	v_mul_f16_e32 v0, v20, v14
	v_mov_b32_e32 v10, v52
	v_mul_f16_e32 v40, v9, v37
	v_mul_f16_sdwa v16, v9, v37 dst_sel:DWORD dst_unused:UNUSED_PAD src0_sel:WORD_1 src1_sel:WORD_1
	v_mul_f16_e32 v38, v11, v39
	v_mul_f16_sdwa v18, v11, v39 dst_sel:DWORD dst_unused:UNUSED_PAD src0_sel:WORD_1 src1_sel:WORD_1
	v_mul_f16_sdwa v9, v8, v12 dst_sel:WORD_1 dst_unused:UNUSED_PAD src0_sel:DWORD src1_sel:WORD_1
	v_mul_f16_e32 v49, v60, v13
	v_accvgpr_write_b32 a58, v0
	v_mul_f16_sdwa v0, v10, v14 dst_sel:WORD_1 dst_unused:UNUSED_PAD src0_sel:DWORD src1_sel:WORD_1
	v_mul_f16_e32 v48, v1, v15
	v_mul_f16_sdwa v39, v2, v15 dst_sel:WORD_1 dst_unused:UNUSED_PAD src0_sel:DWORD src1_sel:WORD_1
	global_load_dwordx4 v[12:15], v[54:55], off offset:1024 nt
	v_accvgpr_read_b32 v52, a34
	v_accvgpr_write_b32 a55, v9
	v_accvgpr_write_b32 a60, v0
	v_lshlrev_b32_e32 v8, 16, v8
	v_or3_b32 v8, v8, v27, 0
	v_or_b32_e32 v27, v39, v48
	v_lshlrev_b32_e32 v10, 16, v10
	v_accvgpr_write_b32 a34, v59
	v_mov_b32_e32 v11, v38
	v_or3_b32 v10, v10, v20, 0
	v_lshlrev_b32_e32 v20, 16, v52
	v_accvgpr_write_b32 a56, v18
	v_accvgpr_write_b32 a57, v16
	;; [unrolled: 1-line block ×3, first 2 shown]
	s_waitcnt vmcnt(0)
	v_mul_f16_e32 v37, v23, v12
	v_mul_f16_sdwa v35, v42, v12 dst_sel:WORD_1 dst_unused:UNUSED_PAD src0_sel:DWORD src1_sel:WORD_1
	v_mul_f16_e32 v33, v3, v13
	v_mul_f16_sdwa v32, v17, v13 dst_sel:WORD_1 dst_unused:UNUSED_PAD src0_sel:DWORD src1_sel:WORD_1
	;; [unrolled: 2-line block ×4, first 2 shown]
	global_load_dwordx4 v[12:15], v[54:55], off offset:2048 nt
	v_or_b32_e32 v33, v32, v33
	v_or_b32_e32 v32, v35, v37
	;; [unrolled: 1-line block ×4, first 2 shown]
	s_waitcnt vmcnt(0)
	v_mul_f16_e32 v17, v58, v13
	v_accvgpr_read_b32 v58, a18
	v_mul_f16_e32 v29, v46, v12
	v_mul_f16_sdwa v28, v56, v12 dst_sel:WORD_1 dst_unused:UNUSED_PAD src0_sel:DWORD src1_sel:WORD_1
	v_mul_f16_sdwa v9, v41, v13 dst_sel:WORD_1 dst_unused:UNUSED_PAD src0_sel:DWORD src1_sel:WORD_1
	v_mul_f16_e32 v21, v58, v14
	v_mul_f16_sdwa v19, v52, v14 dst_sel:WORD_1 dst_unused:UNUSED_PAD src0_sel:DWORD src1_sel:WORD_1
	v_mul_f16_e32 v3, v50, v15
	v_mul_f16_sdwa v1, v59, v15 dst_sel:WORD_1 dst_unused:UNUSED_PAD src0_sel:DWORD src1_sel:WORD_1
	global_load_dwordx4 v[12:15], v[54:55], off offset:3072 nt
	v_or_b32_e32 v39, v1, v3
	v_accvgpr_read_b32 v1, a8
	v_accvgpr_read_b32 v3, a35
	v_or_b32_e32 v37, v9, v17
	v_accvgpr_read_b32 v9, a54
	v_accvgpr_write_b32 a18, v50
	v_or_b32_e32 v38, v19, v21
	v_or_b32_e32 v36, v28, v29
	s_waitcnt vmcnt(0)
	v_mul_f16_e32 v0, v26, v12
	v_mul_f16_sdwa v2, v25, v12 dst_sel:WORD_1 dst_unused:UNUSED_PAD src0_sel:DWORD src1_sel:WORD_1
	v_mul_f16_e32 v59, v40, v13
	v_or_b32_e32 v48, v2, v0
	v_accvgpr_read_b32 v0, a9
	v_lshlrev_b32_e32 v0, 16, v0
	v_or_b32_e32 v0, v0, v1
	v_accvgpr_read_b32 v1, a17
	v_lshlrev_b32_e32 v1, 16, v1
	v_accvgpr_read_b32 v2, a16
	v_or_b32_e32 v1, v1, v2
	v_accvgpr_read_b32 v2, a40
	v_lshlrev_b32_e32 v2, 16, v2
	v_or_b32_e32 v2, v2, v3
	v_accvgpr_read_b32 v3, a59
	v_lshlrev_b32_e32 v3, 16, v3
	v_mul_f16_sdwa v13, v16, v13 dst_sel:WORD_1 dst_unused:UNUSED_PAD src0_sel:DWORD src1_sel:WORD_1
	v_or_b32_e32 v3, v3, v9
	v_accvgpr_read_b32 v9, a61
	v_mul_f16_e32 v50, v11, v15
	v_mul_f16_sdwa v15, v18, v15 dst_sel:WORD_1 dst_unused:UNUSED_PAD src0_sel:DWORD src1_sel:WORD_1
	v_or3_b32 v18, v20, v58, 0
	v_lshlrev_b32_e32 v20, 16, v25
	v_or_b32_e32 v25, v51, v49
	v_or_b32_e32 v49, v13, v59
	v_lshlrev_b32_e32 v9, 16, v9
	v_accvgpr_read_b32 v13, a19
	v_or_b32_e32 v17, v9, v13
	v_accvgpr_read_b32 v9, a34
	v_lshlrev_b32_e32 v9, 16, v9
	v_accvgpr_read_b32 v13, a18
	v_or_b32_e32 v19, v9, v13
	v_accvgpr_read_b32 v9, a57
	v_mul_f16_sdwa v40, v22, v14 dst_sel:WORD_1 dst_unused:UNUSED_PAD src0_sel:DWORD src1_sel:WORD_1
	v_lshlrev_b32_e32 v12, 16, v42
	v_lshlrev_b32_e32 v22, 16, v22
	;; [unrolled: 1-line block ×3, first 2 shown]
	v_accvgpr_read_b32 v13, a2
	v_mul_f16_e32 v41, v24, v14
	v_or3_b32 v12, v12, v23, 0
	v_or3_b32 v22, v22, v24, 0
	v_accvgpr_read_b32 v23, a41
	v_accvgpr_read_b32 v24, a55
	v_or_b32_e32 v21, v9, v13
	v_accvgpr_read_b32 v9, a56
	v_or3_b32 v20, v20, v26, 0
	v_or_b32_e32 v24, v24, v23
	v_accvgpr_read_b32 v23, a58
	v_accvgpr_read_b32 v26, a60
	v_lshlrev_b32_e32 v9, 16, v9
	v_or_b32_e32 v26, v26, v23
	v_or_b32_e32 v23, v9, v11
	v_or3_b32 v9, 0, 0, v0
	v_or3_b32 v11, 0, 0, v1
	scratch_load_dwordx2 v[0:1], off, s33 offset:184 ; 8-byte Folded Reload
	v_lshlrev_b32_e32 v14, 16, v47
	v_lshlrev_b32_e32 v16, 16, v56
	v_or_b32_e32 v51, v15, v50
	v_or_b32_e32 v50, v40, v41
	v_or3_b32 v14, v14, v43, 0
	v_or3_b32 v16, v16, v46, 0
	;; [unrolled: 1-line block ×8, first 2 shown]
	s_waitcnt vmcnt(0)
	v_lshl_add_u64 v[4:5], v[4:5], 0, v[0:1]
	scratch_load_dwordx2 v[0:1], off, s33 offset:184 ; 8-byte Folded Reload
	s_waitcnt vmcnt(0)
	v_lshl_add_u64 v[6:7], v[6:7], 0, v[0:1]
	scratch_load_dwordx2 v[0:1], off, s33 offset:184 ; 8-byte Folded Reload
	s_nop 0
	global_store_dwordx4 v[30:31], v[24:27], off nt
	global_store_dwordx4 v[30:31], v[32:35], off offset:1024 nt
	global_store_dwordx4 v[30:31], v[36:39], off offset:2048 nt
	;; [unrolled: 1-line block ×3, first 2 shown]
	s_waitcnt vmcnt(4)
	v_lshl_add_u64 v[54:55], v[54:55], 0, v[0:1]
	v_accvgpr_read_b32 v0, a6
	v_accvgpr_read_b32 v1, a7
	v_sub_u32_e32 v53, v53, v0
	scratch_load_dwordx2 v[0:1], off, s33 offset:184 ; 8-byte Folded Reload
	s_nop 0
	global_store_dwordx4 v[44:45], v[8:11], off nt
	global_store_dwordx4 v[44:45], v[12:15], off offset:1024 nt
	global_store_dwordx4 v[44:45], v[16:19], off offset:2048 nt
	;; [unrolled: 1-line block ×3, first 2 shown]
	scratch_load_dwordx2 v[20:21], off, s33 offset:184 ; 8-byte Folded Reload
	v_cmp_gt_i32_e32 vcc, 1, v53
	s_or_b64 s[26:27], vcc, s[26:27]
	s_waitcnt vmcnt(5)
	v_lshl_add_u64 v[30:31], v[30:31], 0, v[0:1]
	s_waitcnt vmcnt(0)
	v_lshl_add_u64 v[44:45], v[44:45], 0, v[20:21]
	s_andn2_b64 exec, exec, s[26:27]
	s_cbranch_execnz .LBB18_566
; %bb.567:                              ;   in Loop: Header=BB18_491 Depth=2
	s_or_b64 exec, exec, s[26:27]
	scratch_load_dword v50, off, s33 offset:208 ; 4-byte Folded Reload
	scratch_load_dword v28, off, s33 offset:204 ; 4-byte Folded Reload
	;; [unrolled: 1-line block ×4, first 2 shown]
	scratch_load_dwordx2 v[22:23], off, s33 offset:192 ; 8-byte Folded Reload
	v_accvgpr_read_b32 v11, a5
	v_accvgpr_read_b32 v10, a4
	v_accvgpr_mov_b32 a17, a11
	v_accvgpr_read_b32 v49, a23
	v_accvgpr_mov_b32 a4, a24
	v_accvgpr_read_b32 v41, a15
	v_accvgpr_read_b32 v47, a27
	;; [unrolled: 1-line block ×10, first 2 shown]
	v_accvgpr_mov_b32 a16, a10
	v_accvgpr_read_b32 v16, a20
	v_accvgpr_read_b32 v48, a22
	v_accvgpr_mov_b32 a5, a25
	v_accvgpr_read_b32 v40, a14
	v_accvgpr_read_b32 v46, a26
	v_accvgpr_read_b32 v39, a3
	v_accvgpr_read_b32 v35, a21
	v_accvgpr_read_b32 v36, a6
	v_accvgpr_read_b32 v27, a39
	v_accvgpr_read_b32 v31, a43
	v_accvgpr_read_b32 v13, a45
	v_accvgpr_read_b32 v33, a47
	v_accvgpr_read_b32 v25, a49
	v_accvgpr_read_b32 v19, a51
	v_accvgpr_read_b32 v42, a12
	v_accvgpr_read_b32 v44, a28
	v_accvgpr_read_b32 v45, a29
	v_accvgpr_read_b32 v60, a52
	v_accvgpr_read_b32 v7, a13
	v_accvgpr_read_b32 v0, a0
	v_accvgpr_read_b32 v56, a1
.LBB18_568:                             ;   in Loop: Header=BB18_491 Depth=2
	s_or_b64 exec, exec, s[24:25]
	v_lshlrev_b32_e32 v0, 12, v0
	v_cmp_ne_u32_e32 vcc, v7, v0
	s_mov_b64 s[24:25], 0
	v_mov_b32_e32 v14, 0
                                        ; implicit-def: $vgpr15
                                        ; implicit-def: $vgpr4
	s_and_saveexec_b64 s[60:61], vcc
	s_cbranch_execz .LBB18_578
; %bb.569:                              ;   in Loop: Header=BB18_491 Depth=2
	scratch_load_dword v2, off, s33 offset:212 ; 4-byte Folded Reload
	v_lshlrev_b32_e32 v1, 6, v53
	v_sub_u32_e32 v3, v7, v0
	v_ashrrev_i32_e32 v5, 31, v3
	v_lshrrev_b32_e32 v5, 22, v5
	v_add_u32_e32 v5, v3, v5
	v_and_b32_e32 v20, 0xfffffc00, v5
	s_waitcnt vmcnt(0)
	v_sub_u32_e32 v23, v3, v20
	v_ashrrev_i32_e32 v6, 10, v5
	v_cmp_lt_i32_e64 s[24:25], 15, v23
	v_sub_u32_e32 v1, v2, v1
	v_ashrrev_i32_e32 v2, 31, v1
	v_lshrrev_b32_e32 v2, 26, v2
	v_add_u32_e32 v2, v1, v2
	v_ashrrev_i32_e32 v4, 6, v2
	v_and_b32_e32 v2, 0xffffffc0, v2
	v_sub_u32_e32 v1, v1, v2
	v_lshlrev_b32_e32 v2, 4, v1
	v_lshl_add_u32 v2, v4, 10, v2
	v_sub_u32_e32 v24, v3, v2
	v_addc_co_u32_e64 v3, vcc, 0, v6, s[24:25]
	v_sub_u32_e32 v22, v3, v4
	v_cmp_lt_i32_e32 vcc, 15, v24
	s_and_saveexec_b64 s[62:63], vcc
	s_cbranch_execz .LBB18_575
; %bb.570:                              ;   in Loop: Header=BB18_491 Depth=2
	v_accvgpr_write_b32 a3, v7
	s_trap 2
	ds_read_b128 v[6:9], v0
	v_add_u32_e32 v2, v2, v0
	v_ashrrev_i32_e32 v3, 31, v2
	v_mov_b32_e32 v38, v16
	v_mov_b64_e32 v[54:55], v[10:11]
	s_waitcnt lgkmcnt(0)
	v_lshl_add_u64 v[6:7], v[6:7], 0, v[2:3]
	v_lshl_add_u64 v[8:9], v[8:9], 0, v[2:3]
	;; [unrolled: 1-line block ×3, first 2 shown]
	s_mov_b64 s[64:65], 0
	v_mov_b64_e32 v[10:11], v[6:7]
	v_mov_b64_e32 v[12:13], v[8:9]
.LBB18_571:                             ;   Parent Loop BB18_47 Depth=1
                                        ;     Parent Loop BB18_491 Depth=2
                                        ; =>    This Loop Header: Depth=3
                                        ;         Child Loop BB18_572 Depth 4
	global_load_dwordx4 v[14:17], v[10:11], off nt
	global_load_dwordx4 v[30:33], v[12:13], off nt
	;; [unrolled: 1-line block ×3, first 2 shown]
	s_mov_b64 s[66:67], -1
	s_mov_b64 s[68:69], 0
	s_waitcnt vmcnt(1)
	v_mul_f16_e32 v2, v14, v30
	v_mul_f16_sdwa v3, v14, v30 dst_sel:DWORD dst_unused:UNUSED_PAD src0_sel:WORD_1 src1_sel:WORD_1
	v_mul_f16_e32 v14, v15, v31
	v_mul_f16_sdwa v15, v15, v31 dst_sel:DWORD dst_unused:UNUSED_PAD src0_sel:WORD_1 src1_sel:WORD_1
	;; [unrolled: 2-line block ×4, first 2 shown]
	v_lshlrev_b32_e32 v21, 16, v15
	v_lshlrev_b32_e32 v25, 16, v3
	;; [unrolled: 1-line block ×4, first 2 shown]
	s_waitcnt vmcnt(0)
	v_mul_f16_e32 v28, v2, v34
	v_mul_f16_sdwa v3, v3, v34 dst_sel:WORD_1 dst_unused:UNUSED_PAD src0_sel:DWORD src1_sel:WORD_1
	v_mul_f16_e32 v29, v14, v35
	v_mul_f16_sdwa v15, v15, v35 dst_sel:WORD_1 dst_unused:UNUSED_PAD src0_sel:DWORD src1_sel:WORD_1
	;; [unrolled: 2-line block ×4, first 2 shown]
	v_or_b32_e32 v21, v21, v14
	v_or3_b32 v2, v25, v2, 0
	v_or_b32_e32 v25, v26, v19
	v_or3_b32 v14, v27, v18, 0
	v_or_b32_e32 v15, v15, v29
	v_or_b32_e32 v16, v3, v28
	;; [unrolled: 1-line block ×4, first 2 shown]
	v_or3_b32 v19, 0, 0, v21
	v_or3_b32 v21, 0, 0, v25
.LBB18_572:                             ;   Parent Loop BB18_47 Depth=1
                                        ;     Parent Loop BB18_491 Depth=2
                                        ;       Parent Loop BB18_571 Depth=3
                                        ; =>      This Inner Loop Header: Depth=4
	v_cndmask_b32_e64 v3, 0, 1, s[66:67]
	v_cndmask_b32_e64 v31, v19, v15, s[66:67]
	v_readfirstlane_b32 s26, v3
	s_cmp_lg_u32 s26, 1
	s_cselect_b64 vcc, -1, 0
	s_cmp_eq_u32 s68, 1
	s_cselect_b64 s[26:27], -1, 0
	v_cndmask_b32_e64 v30, v2, v16, s[66:67]
	v_cndmask_b32_e64 v33, v21, v17, s[66:67]
	v_cndmask_b32_e64 v32, v14, v18, s[66:67]
	v_cndmask_b32_e32 v27, v7, v9, vcc
	v_cndmask_b32_e32 v26, v6, v8, vcc
	v_cndmask_b32_e64 v29, v7, v9, s[26:27]
	s_cmp_eq_u32 s68, 0
	v_cndmask_b32_e64 v28, v6, v8, s[26:27]
	global_store_dwordx4 v[26:27], v[30:33], off nt
	v_lshl_add_u64 v[26:27], v[28:29], 0, s[40:41]
	s_cselect_b64 s[28:29], -1, 0
	s_mov_b64 s[66:67], 0
	s_mov_b64 s[68:69], 1
	s_and_b64 vcc, exec, vcc
	v_cndmask_b32_e64 v9, v9, v27, s[26:27]
	v_cndmask_b32_e64 v8, v8, v26, s[26:27]
	;; [unrolled: 1-line block ×4, first 2 shown]
	s_cbranch_vccz .LBB18_572
; %bb.573:                              ;   in Loop: Header=BB18_571 Depth=3
	v_accvgpr_read_b32 v32, a46
	v_accvgpr_read_b32 v2, a36
	v_sub_u32_e32 v24, v24, v50
	v_accvgpr_read_b32 v37, a31
	v_accvgpr_read_b32 v33, a47
	;; [unrolled: 1-line block ×3, first 2 shown]
	v_cmp_gt_i32_e32 vcc, 16, v24
	v_accvgpr_read_b32 v36, a30
	v_lshl_add_u64 v[10:11], v[10:11], 0, v[32:33]
	v_lshl_add_u64 v[12:13], v[12:13], 0, v[32:33]
	;; [unrolled: 1-line block ×5, first 2 shown]
	s_or_b64 s[64:65], vcc, s[64:65]
	v_sub_u32_e32 v22, v22, v36
	s_andn2_b64 exec, exec, s[64:65]
	s_cbranch_execnz .LBB18_571
; %bb.574:                              ;   in Loop: Header=BB18_491 Depth=2
	s_or_b64 exec, exec, s[64:65]
	scratch_load_dword v28, off, s33 offset:204 ; 4-byte Folded Reload
	scratch_load_dword v34, off, s33 offset:200 ; 4-byte Folded Reload
	v_accvgpr_read_b32 v26, a38
	v_accvgpr_read_b32 v30, a42
	v_accvgpr_read_b32 v12, a44
	v_accvgpr_read_b32 v18, a50
	v_accvgpr_read_b32 v35, a21
	v_accvgpr_read_b32 v27, a39
	v_accvgpr_read_b32 v31, a43
	v_accvgpr_read_b32 v13, a45
	v_accvgpr_read_b32 v19, a51
	v_mov_b64_e32 v[10:11], v[54:55]
	v_mov_b32_e32 v16, v38
	v_accvgpr_read_b32 v7, a3
.LBB18_575:                             ;   in Loop: Header=BB18_491 Depth=2
	s_or_b64 exec, exec, s[62:63]
	v_and_b32_e32 v2, 14, v7
	v_cndmask_b32_e64 v7, v23, v2, s[24:25]
	s_mov_b64 s[26:27], 0
	v_mov_b32_e32 v14, 0
	v_cmp_ne_u32_e32 vcc, 0, v7
                                        ; implicit-def: $vgpr15
                                        ; implicit-def: $vgpr4
	s_mov_b64 s[28:29], exec
	v_accvgpr_read_b32 v24, a48
	s_and_b64 vcc, s[28:29], vcc
	v_accvgpr_read_b32 v25, a49
	s_mov_b64 exec, vcc
	s_cbranch_execz .LBB18_577
; %bb.576:                              ;   in Loop: Header=BB18_491 Depth=2
	v_sub_u32_e32 v2, v23, v2
	v_cndmask_b32_e64 v2, 0, v2, s[24:25]
	v_cmp_lt_i32_e32 vcc, 0, v22
	v_add3_u32 v14, v20, v0, v2
	s_mov_b64 s[26:27], exec
	v_cndmask_b32_e32 v0, 0, v36, vcc
	v_sub_u32_e32 v0, v0, v22
	v_lshl_add_u32 v15, v0, 6, v1
	v_ashrrev_i32_e32 v0, 31, v15
	v_lshrrev_b32_e32 v0, 26, v0
	v_add_u32_e32 v0, v15, v0
	v_ashrrev_i32_e32 v4, 6, v0
.LBB18_577:                             ;   in Loop: Header=BB18_491 Depth=2
	s_or_b64 exec, exec, s[28:29]
	scratch_load_dwordx2 v[22:23], off, s33 offset:192 ; 8-byte Folded Reload
	scratch_load_dwordx2 v[20:21], off, s33 offset:184 ; 8-byte Folded Reload
	s_and_b64 s[24:25], s[26:27], exec
.LBB18_578:                             ;   in Loop: Header=BB18_491 Depth=2
	s_or_b64 exec, exec, s[60:61]
	scratch_load_dwordx2 v[58:59], off, s33 offset:232 ; 8-byte Folded Reload
	v_accvgpr_read_b32 v53, a5
	v_accvgpr_read_b32 v52, a4
	s_and_saveexec_b64 s[28:29], s[24:25]
	s_cbranch_execz .LBB18_590
.LBB18_579:                             ;   in Loop: Header=BB18_491 Depth=2
	v_ashrrev_i32_e32 v0, 31, v7
	v_lshrrev_b32_e32 v0, 21, v0
	v_add_u32_e32 v0, v7, v0
	v_ashrrev_i32_e32 v43, 11, v0
	v_accvgpr_write_b32 a27, v11
	v_sub_u32_e32 v2, v43, v4
	v_ashrrev_i32_e32 v0, 31, v15
	v_accvgpr_write_b32 a26, v10
	v_cmp_lt_i32_e32 vcc, 0, v2
	v_lshrrev_b32_e32 v1, 26, v0
	s_and_saveexec_b64 s[24:25], vcc
	s_cbranch_execz .LBB18_583
; %bb.580:                              ;   in Loop: Header=BB18_491 Depth=2
	v_add_u32_e32 v0, v15, v1
	v_and_b32_e32 v0, 0x7fffffc0, v0
	v_sub_u32_e32 v0, v15, v0
	v_lshlrev_b32_e32 v0, 1, v0
	v_accvgpr_write_b32 a13, v7
	s_trap 2
	ds_read_b128 v[6:9], v0
	v_accvgpr_write_b32 a0, v1
	v_lshlrev_b32_e32 v1, 11, v4
	v_add3_u32 v0, v0, v14, v1
	v_ashrrev_i32_e32 v1, 31, v0
	s_waitcnt lgkmcnt(0)
	v_accvgpr_write_b32 a52, v60
	v_accvgpr_write_b32 a14, v46
	;; [unrolled: 1-line block ×4, first 2 shown]
	v_lshl_add_u64 v[4:5], v[0:1], 0, v[60:61]
	v_lshl_add_u64 v[6:7], v[6:7], 0, v[0:1]
	;; [unrolled: 1-line block ×3, first 2 shown]
	v_accvgpr_read_b32 v61, a45
	v_accvgpr_write_b32 a29, v45
	v_accvgpr_write_b32 a28, v44
	;; [unrolled: 1-line block ×6, first 2 shown]
	s_mov_b64 s[26:27], 0
	v_mov_b64_e32 v[10:11], v[6:7]
	v_mov_b64_e32 v[12:13], v[8:9]
	;; [unrolled: 1-line block ×3, first 2 shown]
	v_accvgpr_read_b32 v60, a44
.LBB18_581:                             ;   Parent Loop BB18_47 Depth=1
                                        ;     Parent Loop BB18_491 Depth=2
                                        ; =>    This Inner Loop Header: Depth=3
	flat_load_ushort v0, v[8:9] nt
	flat_load_ushort v3, v[6:7] nt
	s_waitcnt vmcnt(0)
	flat_load_ushort v28, v[6:7] offset:128 nt
	flat_load_ushort v30, v[8:9] offset:128 nt
	;; [unrolled: 1-line block ×36, first 2 shown]
	v_sub_u32_e32 v2, v2, v16
	v_cmp_gt_i32_e32 vcc, 1, v2
	v_lshl_add_u64 v[6:7], v[6:7], 0, v[60:61]
	v_lshl_add_u64 v[8:9], v[8:9], 0, v[60:61]
	s_or_b64 s[26:27], vcc, s[26:27]
	s_waitcnt lgkmcnt(0)
	v_mul_f16_e32 v0, v3, v0
	flat_load_ushort v3, v[4:5] nt
	s_waitcnt vmcnt(0)
	v_mul_f16_e32 v30, v28, v30
	flat_load_ushort v28, v[4:5] offset:128 nt
	v_mul_f16_e32 v49, v52, v49
	flat_load_ushort v52, v[4:5] offset:1024 nt
	;; [unrolled: 2-line block ×9, first 2 shown]
	v_lshl_add_u64 v[4:5], v[4:5], 0, v[60:61]
	v_mul_f16_e32 v1, v1, v49
	v_mul_f16_e32 v18, v18, v46
	;; [unrolled: 1-line block ×12, first 2 shown]
	s_waitcnt lgkmcnt(0)
	v_mul_f16_e32 v3, v0, v3
	s_waitcnt vmcnt(0)
	v_mul_f16_e32 v28, v28, v30
	v_mul_f16_e32 v52, v52, v48
	;; [unrolled: 1-line block ×9, first 2 shown]
	flat_store_short v[10:11], v3 nt
	flat_store_short v[10:11], v28 offset:128 nt
	flat_store_short v[10:11], v1 offset:256 nt
	;; [unrolled: 1-line block ×15, first 2 shown]
	flat_store_short v[12:13], v0 nt
	flat_store_short v[12:13], v30 offset:128 nt
	flat_store_short v[12:13], v49 offset:256 nt
	;; [unrolled: 1-line block ×15, first 2 shown]
	v_lshl_add_u64 v[10:11], v[10:11], 0, v[60:61]
	v_lshl_add_u64 v[12:13], v[12:13], 0, v[60:61]
	s_andn2_b64 exec, exec, s[26:27]
	s_cbranch_execnz .LBB18_581
; %bb.582:                              ;   in Loop: Header=BB18_491 Depth=2
	s_or_b64 exec, exec, s[26:27]
	scratch_load_dword v50, off, s33 offset:208 ; 4-byte Folded Reload
	scratch_load_dword v28, off, s33 offset:204 ; 4-byte Folded Reload
	;; [unrolled: 1-line block ×3, first 2 shown]
	scratch_load_dwordx2 v[22:23], off, s33 offset:192 ; 8-byte Folded Reload
	scratch_load_dwordx2 v[20:21], off, s33 offset:184 ; 8-byte Folded Reload
	scratch_load_dword v51, off, s33 offset:248 ; 4-byte Folded Reload
	v_accvgpr_mov_b32 a17, a11
	v_accvgpr_read_b32 v49, a23
	v_accvgpr_read_b32 v53, a25
	v_accvgpr_read_b32 v41, a5
	v_accvgpr_read_b32 v47, a15
	v_accvgpr_read_b32 v26, a38
	v_accvgpr_read_b32 v30, a42
	v_accvgpr_read_b32 v32, a46
	v_accvgpr_read_b32 v24, a48
	v_accvgpr_read_b32 v18, a50
	v_accvgpr_read_b32 v61, a53
	v_accvgpr_mov_b32 a16, a10
	v_accvgpr_read_b32 v48, a22
	v_accvgpr_read_b32 v52, a24
	;; [unrolled: 1-line block ×6, first 2 shown]
	v_mov_b64_e32 v[36:37], v[16:17]
	v_accvgpr_read_b32 v16, a20
	v_accvgpr_read_b32 v27, a39
	v_accvgpr_read_b32 v31, a43
	v_accvgpr_read_b32 v33, a47
	v_accvgpr_read_b32 v25, a49
	v_accvgpr_read_b32 v19, a51
	v_accvgpr_read_b32 v42, a12
	v_accvgpr_read_b32 v44, a28
	v_accvgpr_read_b32 v45, a29
	v_accvgpr_read_b32 v60, a52
	v_accvgpr_read_b32 v7, a13
	v_accvgpr_read_b32 v1, a0
.LBB18_583:                             ;   in Loop: Header=BB18_491 Depth=2
	s_or_b64 exec, exec, s[24:25]
	v_lshlrev_b32_e32 v0, 11, v43
	v_mov_b32_e32 v38, v16
	v_cmp_ne_u32_e32 vcc, v7, v0
	s_and_saveexec_b64 s[60:61], vcc
	s_cbranch_execz .LBB18_589
; %bb.584:                              ;   in Loop: Header=BB18_491 Depth=2
	v_add_u32_e32 v1, v15, v1
	v_and_b32_e32 v1, 0xffffffc0, v1
	v_sub_u32_e32 v1, v15, v1
	v_lshlrev_b32_e32 v2, 6, v2
	v_sub_u32_e32 v1, v1, v2
	v_ashrrev_i32_e32 v2, 31, v1
	v_lshrrev_b32_e32 v2, 26, v2
	v_add_u32_e32 v2, v1, v2
	v_and_b32_e32 v3, 0x7fffffc0, v2
	v_sub_u32_e32 v1, v1, v3
	v_lshlrev_b32_e32 v2, 1, v2
	v_and_b32_e32 v2, 0xffffff80, v2
	v_lshlrev_b32_e32 v1, 1, v1
	v_add3_u32 v1, v2, v1, v0
	v_sub_u32_e32 v0, v7, v1
	v_cmp_lt_i32_e32 vcc, 1, v0
	s_and_b64 exec, exec, vcc
	s_cbranch_execz .LBB18_589
; %bb.585:                              ;   in Loop: Header=BB18_491 Depth=2
	s_trap 2
	ds_read_b128 v[6:9], v0
	v_add_u32_e32 v2, v1, v14
	v_ashrrev_i32_e32 v3, 31, v2
	s_waitcnt lgkmcnt(0)
	v_lshl_add_u64 v[4:5], v[2:3], 0, v[60:61]
	s_mov_b64 s[62:63], 0
	v_lshl_add_u64 v[6:7], v[6:7], 0, v[2:3]
	v_lshl_add_u64 v[8:9], v[8:9], 0, v[2:3]
	v_mov_b64_e32 v[10:11], v[6:7]
	v_mov_b64_e32 v[12:13], v[8:9]
.LBB18_586:                             ;   Parent Loop BB18_47 Depth=1
                                        ;     Parent Loop BB18_491 Depth=2
                                        ; =>    This Loop Header: Depth=3
                                        ;         Child Loop BB18_587 Depth 4
	flat_load_ushort v1, v[10:11] nt
	flat_load_ushort v2, v[12:13] nt
	;; [unrolled: 1-line block ×3, first 2 shown]
	s_mov_b64 s[66:67], -1
	s_mov_b64 s[64:65], 0
	s_waitcnt vmcnt(0) lgkmcnt(0)
	v_mul_f16_e32 v1, v1, v2
	v_mul_f16_e32 v2, v3, v1
.LBB18_587:                             ;   Parent Loop BB18_47 Depth=1
                                        ;     Parent Loop BB18_491 Depth=2
                                        ;       Parent Loop BB18_586 Depth=3
                                        ; =>      This Inner Loop Header: Depth=4
	v_cndmask_b32_e64 v14, 0, 1, s[66:67]
	v_cndmask_b32_e64 v3, v1, v2, s[66:67]
	v_readfirstlane_b32 s24, v14
	s_cmp_lg_u32 s24, 1
	s_cselect_b64 vcc, -1, 0
	s_cmp_eq_u32 s64, 1
	s_cselect_b64 s[24:25], -1, 0
	v_cndmask_b32_e32 v15, v7, v9, vcc
	v_cndmask_b32_e32 v14, v6, v8, vcc
	v_cndmask_b32_e64 v17, v7, v9, s[24:25]
	s_cmp_eq_u32 s64, 0
	v_cndmask_b32_e64 v16, v6, v8, s[24:25]
	flat_store_short v[14:15], v3 nt
	v_lshl_add_u64 v[14:15], v[16:17], 0, s[42:43]
	s_cselect_b64 s[26:27], -1, 0
	s_mov_b64 s[66:67], 0
	s_mov_b64 s[64:65], 1
	s_and_b64 vcc, exec, vcc
	v_cndmask_b32_e64 v9, v9, v15, s[24:25]
	v_cndmask_b32_e64 v8, v8, v14, s[24:25]
	v_cndmask_b32_e64 v7, v7, v15, s[26:27]
	v_cndmask_b32_e64 v6, v6, v14, s[26:27]
	s_cbranch_vccz .LBB18_587
; %bb.588:                              ;   in Loop: Header=BB18_586 Depth=3
	v_sub_u32_e32 v0, v0, v28
	v_cmp_gt_i32_e32 vcc, 2, v0
	v_lshl_add_u64 v[10:11], v[10:11], 0, v[24:25]
	v_lshl_add_u64 v[12:13], v[12:13], 0, v[24:25]
	;; [unrolled: 1-line block ×4, first 2 shown]
	s_or_b64 s[62:63], vcc, s[62:63]
	v_lshl_add_u64 v[4:5], v[4:5], 0, v[24:25]
	s_andn2_b64 exec, exec, s[62:63]
	s_cbranch_execnz .LBB18_586
.LBB18_589:                             ;   in Loop: Header=BB18_491 Depth=2
	s_or_b64 exec, exec, s[60:61]
	v_accvgpr_read_b32 v12, a44
	v_accvgpr_read_b32 v10, a26
	;; [unrolled: 1-line block ×4, first 2 shown]
	v_mov_b32_e32 v16, v38
.LBB18_590:                             ;   in Loop: Header=BB18_491 Depth=2
	s_or_b64 exec, exec, s[28:29]
	v_mov_b32_e32 v15, 1
	s_branch .LBB18_620
.LBB18_591:                             ;   in Loop: Header=BB18_491 Depth=2
	s_mov_b64 s[26:27], -1
	s_and_saveexec_b64 s[24:25], s[18:19]
	s_cbranch_execz .LBB18_593
; %bb.592:                              ;   in Loop: Header=BB18_491 Depth=2
	ds_read_b32 v0, v0 offset:720
	s_waitcnt lgkmcnt(0)
	v_and_b32_e32 v0, 15, v0
	v_cmp_eq_u32_e32 vcc, 0, v0
	s_orn2_b64 s[26:27], vcc, exec
.LBB18_593:                             ;   in Loop: Header=BB18_491 Depth=2
	s_or_b64 exec, exec, s[24:25]
	s_and_saveexec_b64 s[24:25], s[14:15]
	s_cbranch_execz .LBB18_595
; %bb.594:                              ;   in Loop: Header=BB18_491 Depth=2
	ds_read_b32 v0, v0 offset:784
	s_waitcnt lgkmcnt(0)
	v_and_b32_e32 v0, 15, v0
	v_cmp_eq_u32_e32 vcc, 0, v0
	s_and_b64 s[28:29], s[26:27], vcc
	s_andn2_b64 s[26:27], s[26:27], exec
	s_and_b64 s[28:29], s[28:29], exec
	s_or_b64 s[26:27], s[26:27], s[28:29]
.LBB18_595:                             ;   in Loop: Header=BB18_491 Depth=2
	s_or_b64 exec, exec, s[24:25]
	s_xor_b64 s[26:27], s[26:27], -1
	v_cndmask_b32_e64 v0, 0, 1, s[26:27]
	v_lshlrev_b32_e32 v7, 1, v45
	s_mov_b64 s[24:25], -1
	;;#ASMSTART
	;;#ASMEND
	v_mov_b32_e32 v14, 0
	v_cmp_ne_u32_e32 vcc, 0, v0
	s_cbranch_vccz .LBB18_597
; %bb.596:                              ;   in Loop: Header=BB18_491 Depth=2
	v_mov_b32_e32 v3, v56
	s_waitcnt vmcnt(0)
	v_mov_b32_e32 v4, v34
	s_and_saveexec_b64 s[60:61], s[24:25]
	s_cbranch_execnz .LBB18_610
	s_branch .LBB18_619
.LBB18_597:                             ;   in Loop: Header=BB18_491 Depth=2
	v_ashrrev_i32_e32 v0, 31, v7
	v_lshrrev_b32_e32 v0, 20, v0
	v_add_u32_e32 v0, v7, v0
	v_ashrrev_i32_e32 v0, 12, v0
	s_waitcnt vmcnt(0)
	v_sub_u32_e32 v2, v0, v34
	v_cmp_lt_i32_e32 vcc, 0, v2
	s_and_saveexec_b64 s[24:25], vcc
	s_cbranch_execz .LBB18_601
; %bb.598:                              ;   in Loop: Header=BB18_491 Depth=2
	v_accvgpr_write_b32 a13, v7
	s_trap 2
	ds_read_b128 v[6:9], v0
	ds_read_b64 a[6:7], v0
	scratch_load_dwordx2 v[14:15], off, s33 offset:292 ; 8-byte Folded Reload
	v_accvgpr_write_b32 a26, v46
	v_accvgpr_write_b32 a14, v40
	;; [unrolled: 1-line block ×13, first 2 shown]
	s_mov_b64 s[26:27], 0
	s_waitcnt lgkmcnt(0)
	v_lshl_add_u64 v[6:7], v[6:7], 0, v[18:19]
	v_lshl_add_u64 v[12:13], v[8:9], 0, v[18:19]
	v_accvgpr_write_b32 a9, v37
	v_mov_b64_e32 v[60:61], v[20:21]
.LBB18_599:                             ;   Parent Loop BB18_47 Depth=1
                                        ;     Parent Loop BB18_491 Depth=2
                                        ; =>    This Inner Loop Header: Depth=3
	global_load_dwordx4 v[8:11], v[12:13], off nt
	global_load_dwordx4 v[16:19], v[6:7], off nt
	global_load_dwordx4 v[20:23], v[6:7], off offset:1024 nt
	global_load_dwordx4 v[24:27], v[12:13], off offset:1024 nt
	;; [unrolled: 1-line block ×6, first 2 shown]
	v_lshl_add_u64 v[6:7], v[6:7], 0, v[60:61]
	v_lshl_add_u64 v[12:13], v[12:13], 0, v[60:61]
	s_waitcnt vmcnt(6)
	v_mul_f16_e32 v3, v16, v8
	v_mul_f16_sdwa v28, v16, v8 dst_sel:DWORD dst_unused:UNUSED_PAD src0_sel:WORD_1 src1_sel:WORD_1
	v_mul_f16_e32 v52, v17, v9
	v_mul_f16_sdwa v53, v17, v9 dst_sel:DWORD dst_unused:UNUSED_PAD src0_sel:WORD_1 src1_sel:WORD_1
	;; [unrolled: 2-line block ×3, first 2 shown]
	s_waitcnt vmcnt(0)
	v_mul_f16_e32 v8, v48, v38
	v_accvgpr_write_b32 a1, v8
	v_mul_f16_sdwa v8, v48, v38 dst_sel:DWORD dst_unused:UNUSED_PAD src0_sel:WORD_1 src1_sel:WORD_1
	v_mul_f16_e32 v42, v19, v11
	v_mul_f16_sdwa v43, v19, v11 dst_sel:DWORD dst_unused:UNUSED_PAD src0_sel:WORD_1 src1_sel:WORD_1
	v_accvgpr_write_b32 a16, v8
	global_load_dwordx4 v[8:11], v[14:15], off offset:-3072 nt
	global_load_dwordx4 v[44:47], v[14:15], off offset:-2048 nt
	v_mul_f16_e32 v58, v20, v24
	v_mul_f16_sdwa v59, v20, v24 dst_sel:DWORD dst_unused:UNUSED_PAD src0_sel:WORD_1 src1_sel:WORD_1
	v_mul_f16_e32 v56, v21, v25
	v_mul_f16_sdwa v16, v21, v25 dst_sel:DWORD dst_unused:UNUSED_PAD src0_sel:WORD_1 src1_sel:WORD_1
	;; [unrolled: 2-line block ×11, first 2 shown]
	s_waitcnt vmcnt(1)
	v_mul_f16_e32 v32, v3, v8
	v_mul_f16_sdwa v33, v28, v8 dst_sel:WORD_1 dst_unused:UNUSED_PAD src0_sel:DWORD src1_sel:WORD_1
	v_mul_f16_e32 v35, v52, v9
	v_mul_f16_sdwa v37, v53, v9 dst_sel:WORD_1 dst_unused:UNUSED_PAD src0_sel:DWORD src1_sel:WORD_1
	;; [unrolled: 2-line block ×4, first 2 shown]
	global_load_dwordx4 v[8:11], v[14:15], off offset:-1024 nt
	s_waitcnt vmcnt(1)
	v_mul_f16_e32 v48, v58, v44
	v_mul_f16_sdwa v49, v59, v44 dst_sel:WORD_1 dst_unused:UNUSED_PAD src0_sel:DWORD src1_sel:WORD_1
	v_mul_f16_e32 v51, v56, v45
	v_mul_f16_sdwa v55, v16, v45 dst_sel:WORD_1 dst_unused:UNUSED_PAD src0_sel:DWORD src1_sel:WORD_1
	;; [unrolled: 2-line block ×4, first 2 shown]
	global_load_dwordx4 v[44:47], v[14:15], off nt
	v_or_b32_e32 v16, v49, v48
	s_waitcnt vmcnt(1)
	v_mul_f16_e32 v0, v23, v8
	v_mul_f16_sdwa v1, v24, v8 dst_sel:WORD_1 dst_unused:UNUSED_PAD src0_sel:DWORD src1_sel:WORD_1
	v_mul_f16_e32 v3, v25, v9
	v_mul_f16_sdwa v4, v26, v9 dst_sel:WORD_1 dst_unused:UNUSED_PAD src0_sel:DWORD src1_sel:WORD_1
	v_accvgpr_read_b32 v9, a7
	v_accvgpr_read_b32 v8, a6
	v_mul_f16_sdwa v24, v29, v10 dst_sel:WORD_1 dst_unused:UNUSED_PAD src0_sel:DWORD src1_sel:WORD_1
	v_lshl_add_u64 v[28:29], v[8:9], 0, v[14:15]
	v_accvgpr_read_b32 v8, a8
	v_sub_u32_e32 v2, v2, v8
	v_accvgpr_read_b32 v8, a1
	v_accvgpr_read_b32 v9, a9
	v_cmp_gt_i32_e32 vcc, 1, v2
	s_waitcnt vmcnt(0)
	v_mul_f16_e32 v26, v8, v44
	v_accvgpr_read_b32 v8, a16
	v_mul_f16_e32 v5, v27, v10
	v_mul_f16_e32 v23, v30, v11
	v_mul_f16_sdwa v25, v31, v11 dst_sel:WORD_1 dst_unused:UNUSED_PAD src0_sel:DWORD src1_sel:WORD_1
	v_lshl_add_u64 v[14:15], v[14:15], 0, v[60:61]
	s_or_b64 s[26:27], vcc, s[26:27]
	v_mul_f16_sdwa v27, v8, v44 dst_sel:WORD_1 dst_unused:UNUSED_PAD src0_sel:DWORD src1_sel:WORD_1
	v_mul_f16_e32 v30, v17, v45
	v_mul_f16_sdwa v31, v18, v45 dst_sel:WORD_1 dst_unused:UNUSED_PAD src0_sel:DWORD src1_sel:WORD_1
	v_mul_f16_e32 v52, v19, v46
	;; [unrolled: 2-line block ×3, first 2 shown]
	v_mul_f16_sdwa v43, v22, v47 dst_sel:WORD_1 dst_unused:UNUSED_PAD src0_sel:DWORD src1_sel:WORD_1
	v_or_b32_e32 v9, v37, v35
	v_or_b32_e32 v8, v33, v32
	;; [unrolled: 1-line block ×15, first 2 shown]
	global_store_dwordx4 v[28:29], v[8:11], off offset:-3072 nt
	global_store_dwordx4 v[28:29], v[16:19], off offset:-2048 nt
	global_store_dwordx4 v[28:29], v[20:23], off offset:-1024 nt
	global_store_dwordx4 v[28:29], v[24:27], off nt
	s_andn2_b64 exec, exec, s[26:27]
	s_cbranch_execnz .LBB18_599
; %bb.600:                              ;   in Loop: Header=BB18_491 Depth=2
	s_or_b64 exec, exec, s[26:27]
	scratch_load_dwordx2 v[58:59], off, s33 offset:232 ; 8-byte Folded Reload
	scratch_load_dword v50, off, s33 offset:208 ; 4-byte Folded Reload
	scratch_load_dword v28, off, s33 offset:204 ; 4-byte Folded Reload
	;; [unrolled: 1-line block ×4, first 2 shown]
	scratch_load_dwordx2 v[22:23], off, s33 offset:192 ; 8-byte Folded Reload
	v_accvgpr_read_b32 v11, a5
	v_accvgpr_mov_b32 a17, a11
	v_accvgpr_read_b32 v49, a23
	v_accvgpr_read_b32 v53, a25
	;; [unrolled: 1-line block ×12, first 2 shown]
	v_accvgpr_mov_b32 a16, a10
	v_accvgpr_read_b32 v16, a20
	v_accvgpr_read_b32 v48, a22
	;; [unrolled: 1-line block ×14, first 2 shown]
	v_mov_b64_e32 v[20:21], v[60:61]
	v_accvgpr_read_b32 v56, a28
	v_mov_b32_e32 v15, 1
	v_accvgpr_read_b32 v42, a12
	v_accvgpr_read_b32 v44, a52
	;; [unrolled: 1-line block ×5, first 2 shown]
.LBB18_601:                             ;   in Loop: Header=BB18_491 Depth=2
	s_or_b64 exec, exec, s[24:25]
	v_lshlrev_b32_e32 v0, 12, v0
	v_cmp_ne_u32_e32 vcc, v7, v0
	s_mov_b64 s[24:25], 0
	v_mov_b32_e32 v14, 0
                                        ; implicit-def: $vgpr3
                                        ; implicit-def: $vgpr4
	s_and_saveexec_b64 s[26:27], vcc
	s_cbranch_execz .LBB18_609
; %bb.602:                              ;   in Loop: Header=BB18_491 Depth=2
	v_lshlrev_b32_e32 v1, 6, v2
	scratch_load_dword v2, off, s33 offset:212 ; 4-byte Folded Reload
	v_sub_u32_e32 v3, v7, v0
	s_waitcnt vmcnt(0)
	v_sub_u32_e32 v1, v2, v1
	v_ashrrev_i32_e32 v2, 31, v1
	v_lshrrev_b32_e32 v2, 26, v2
	v_add_u32_e32 v2, v1, v2
	v_ashrrev_i32_e32 v5, 6, v2
	v_and_b32_e32 v2, 0xffffffc0, v2
	v_sub_u32_e32 v1, v1, v2
	v_lshlrev_b32_e32 v2, 4, v1
	v_lshl_add_u32 v4, v5, 10, v2
	v_ashrrev_i32_e32 v2, 31, v3
	v_lshrrev_b32_e32 v2, 22, v2
	v_add_u32_e32 v2, v3, v2
	v_ashrrev_i32_e32 v6, 10, v2
	v_and_b32_e32 v2, 0xfffffc00, v2
	v_sub_u32_e32 v13, v3, v2
	v_cmp_lt_i32_e32 vcc, 15, v13
	v_sub_u32_e32 v14, v3, v4
	s_nop 0
	v_addc_co_u32_e64 v3, s[24:25], 0, v6, vcc
	v_sub_u32_e32 v12, v3, v5
	v_cmp_lt_i32_e64 s[24:25], 15, v14
	s_and_saveexec_b64 s[28:29], s[24:25]
	s_cbranch_execz .LBB18_606
; %bb.603:                              ;   in Loop: Header=BB18_491 Depth=2
	v_mov_b64_e32 v[54:55], v[10:11]
	s_trap 2
	ds_read_b128 v[8:11], v0
	v_accvgpr_write_b32 a3, v7
	ds_read_b64 v[6:7], v0
	v_add_u32_e32 v4, v4, v0
	v_ashrrev_i32_e32 v5, 31, v4
	v_mov_b32_e32 v38, v16
	s_waitcnt lgkmcnt(0)
	v_lshl_add_u64 v[8:9], v[8:9], 0, v[4:5]
	v_lshl_add_u64 v[10:11], v[10:11], 0, v[4:5]
	s_mov_b64 s[60:61], 0
.LBB18_604:                             ;   Parent Loop BB18_47 Depth=1
                                        ;     Parent Loop BB18_491 Depth=2
                                        ; =>    This Inner Loop Header: Depth=3
	global_load_dwordx4 v[16:19], v[8:9], off nt
	global_load_dwordx4 v[20:23], v[10:11], off nt
	global_load_dwordx4 v[24:27], v[4:5], off nt
	v_sub_u32_e32 v14, v14, v50
	v_cmp_gt_i32_e64 s[24:25], 16, v14
	v_lshl_add_u64 v[28:29], v[6:7], 0, v[4:5]
	v_lshl_add_u64 v[8:9], v[8:9], 0, v[32:33]
	;; [unrolled: 1-line block ×4, first 2 shown]
	v_sub_u32_e32 v12, v12, v36
	s_or_b64 s[60:61], s[24:25], s[60:61]
	s_waitcnt vmcnt(1)
	v_mul_f16_e32 v3, v16, v20
	v_mul_f16_sdwa v15, v16, v20 dst_sel:DWORD dst_unused:UNUSED_PAD src0_sel:WORD_1 src1_sel:WORD_1
	v_mul_f16_e32 v16, v17, v21
	v_mul_f16_sdwa v17, v17, v21 dst_sel:DWORD dst_unused:UNUSED_PAD src0_sel:WORD_1 src1_sel:WORD_1
	v_mul_f16_e32 v20, v18, v22
	v_mul_f16_sdwa v18, v18, v22 dst_sel:DWORD dst_unused:UNUSED_PAD src0_sel:WORD_1 src1_sel:WORD_1
	v_mul_f16_e32 v21, v19, v23
	v_mul_f16_sdwa v19, v19, v23 dst_sel:DWORD dst_unused:UNUSED_PAD src0_sel:WORD_1 src1_sel:WORD_1
	s_waitcnt vmcnt(0)
	v_mul_f16_e32 v3, v3, v24
	v_mul_f16_sdwa v15, v15, v24 dst_sel:WORD_1 dst_unused:UNUSED_PAD src0_sel:DWORD src1_sel:WORD_1
	v_mul_f16_e32 v16, v16, v25
	v_mul_f16_sdwa v17, v17, v25 dst_sel:WORD_1 dst_unused:UNUSED_PAD src0_sel:DWORD src1_sel:WORD_1
	;; [unrolled: 2-line block ×4, first 2 shown]
	v_or_b32_e32 v17, v17, v16
	v_or_b32_e32 v16, v15, v3
	;; [unrolled: 1-line block ×4, first 2 shown]
	global_store_dwordx4 v[28:29], v[16:19], off nt
	s_andn2_b64 exec, exec, s[60:61]
	s_cbranch_execnz .LBB18_604
; %bb.605:                              ;   in Loop: Header=BB18_491 Depth=2
	s_or_b64 exec, exec, s[60:61]
	scratch_load_dword v28, off, s33 offset:204 ; 4-byte Folded Reload
	scratch_load_dwordx2 v[22:23], off, s33 offset:192 ; 8-byte Folded Reload
	scratch_load_dwordx2 v[20:21], off, s33 offset:184 ; 8-byte Folded Reload
	v_accvgpr_read_b32 v26, a38
	v_accvgpr_read_b32 v24, a48
	;; [unrolled: 1-line block ×6, first 2 shown]
	v_mov_b32_e32 v15, 1
	v_mov_b64_e32 v[10:11], v[54:55]
	v_mov_b32_e32 v16, v38
	v_accvgpr_read_b32 v7, a3
.LBB18_606:                             ;   in Loop: Header=BB18_491 Depth=2
	s_or_b64 exec, exec, s[28:29]
	v_and_b32_e32 v5, 14, v7
	v_cndmask_b32_e32 v7, v13, v5, vcc
	v_cmp_ne_u32_e64 s[24:25], 0, v7
	s_mov_b64 s[28:29], 0
	v_mov_b32_e32 v14, 0
                                        ; implicit-def: $vgpr3
                                        ; implicit-def: $vgpr4
	s_and_saveexec_b64 s[60:61], s[24:25]
	s_cbranch_execz .LBB18_608
; %bb.607:                              ;   in Loop: Header=BB18_491 Depth=2
	v_sub_u32_e32 v3, v13, v5
	v_cndmask_b32_e32 v3, 0, v3, vcc
	v_cmp_lt_i32_e32 vcc, 0, v12
	v_add3_u32 v14, v2, v0, v3
	s_mov_b64 s[28:29], exec
	v_cndmask_b32_e32 v0, 0, v36, vcc
	v_sub_u32_e32 v0, v0, v12
	v_lshl_add_u32 v3, v0, 6, v1
	v_ashrrev_i32_e32 v0, 31, v3
	v_lshrrev_b32_e32 v0, 26, v0
	v_add_u32_e32 v0, v3, v0
	v_ashrrev_i32_e32 v4, 6, v0
.LBB18_608:                             ;   in Loop: Header=BB18_491 Depth=2
	s_or_b64 exec, exec, s[60:61]
	v_accvgpr_read_b32 v12, a44
	s_and_b64 s[24:25], s[28:29], exec
	v_accvgpr_read_b32 v13, a45
.LBB18_609:                             ;   in Loop: Header=BB18_491 Depth=2
	s_or_b64 exec, exec, s[26:27]
	s_and_saveexec_b64 s[60:61], s[24:25]
	s_cbranch_execz .LBB18_619
.LBB18_610:                             ;   in Loop: Header=BB18_491 Depth=2
	v_ashrrev_i32_e32 v0, 31, v7
	v_lshrrev_b32_e32 v0, 21, v0
	v_add_u32_e32 v0, v7, v0
	v_ashrrev_i32_e32 v0, 11, v0
	v_accvgpr_write_b32 a15, v11
	v_sub_u32_e32 v29, v0, v4
	v_accvgpr_write_b32 a14, v10
	v_cmp_lt_i32_e32 vcc, 0, v29
	s_and_saveexec_b64 s[62:63], vcc
	s_cbranch_execz .LBB18_614
; %bb.611:                              ;   in Loop: Header=BB18_491 Depth=2
	v_accvgpr_write_b32 a53, v0
	v_ashrrev_i32_e32 v0, 31, v3
	v_lshrrev_b32_e32 v0, 26, v0
	v_add_u32_e32 v0, v3, v0
	v_and_b32_e32 v0, 0x7fffffc0, v0
	v_sub_u32_e32 v0, v3, v0
	v_lshlrev_b32_e32 v0, 1, v0
	v_lshlrev_b32_e32 v1, 11, v4
	v_accvgpr_write_b32 a13, v7
	s_trap 2
	ds_read_b128 v[6:9], v0
	v_add3_u32 v0, v0, v14, v1
	ds_read_b64 a[16:17], v0
	v_accvgpr_write_b32 a4, v40
	v_ashrrev_i32_e32 v1, 31, v0
	s_waitcnt lgkmcnt(0)
	v_accvgpr_read_b32 v61, a45
	v_accvgpr_write_b32 a27, v45
	v_accvgpr_write_b32 a28, v44
	;; [unrolled: 1-line block ×8, first 2 shown]
	v_lshl_add_u64 v[10:11], v[6:7], 0, v[0:1]
	v_lshl_add_u64 v[12:13], v[8:9], 0, v[0:1]
	;; [unrolled: 1-line block ×3, first 2 shown]
	s_mov_b64 s[64:65], 0
	v_mov_b64_e32 v[42:43], v[36:37]
	v_accvgpr_read_b32 v60, a44
.LBB18_612:                             ;   Parent Loop BB18_47 Depth=1
                                        ;     Parent Loop BB18_491 Depth=2
                                        ; =>    This Inner Loop Header: Depth=3
	v_add_co_u32_e32 v4, vcc, 0xfffff880, v14
	v_accvgpr_read_b32 v0, a16
	s_mov_b64 s[24:25], vcc
	v_add_co_u32_e32 v2, vcc, 0xfffff900, v14
	v_accvgpr_read_b32 v1, a17
	s_mov_b64 s[26:27], vcc
	v_addc_co_u32_e64 v5, vcc, -1, v15, s[24:25]
	v_lshl_add_u64 v[16:17], v[0:1], 0, v[14:15]
	flat_load_ushort v0, v[10:11] nt
	flat_load_ushort v45, v[10:11] offset:128 nt
	flat_load_ushort v19, v[10:11] offset:256 nt
	;; [unrolled: 1-line block ×5, first 2 shown]
	s_waitcnt vmcnt(0)
	flat_load_ushort v28, v[10:11] offset:768 nt
	flat_load_ushort a8, v[10:11] offset:896 nt
	;; [unrolled: 1-line block ×7, first 2 shown]
	flat_load_ushort v9, v[12:13] nt
	flat_load_ushort v6, v[12:13] offset:128 nt
	flat_load_ushort v7, v[12:13] offset:256 nt
	;; [unrolled: 1-line block ×8, first 2 shown]
	flat_load_ushort v23, v[4:5] nt
	v_add_co_u32_e32 v26, vcc, 0xfffff980, v14
	s_mov_b64 s[24:25], vcc
	v_addc_co_u32_e64 v3, vcc, -1, v15, s[26:27]
	v_add_co_u32_e32 v4, vcc, 0xfffffa00, v14
	s_mov_b64 s[26:27], vcc
	v_addc_co_u32_e64 v27, vcc, -1, v15, s[24:25]
	;; [unrolled: 3-line block ×3, first 2 shown]
	flat_load_ushort v1, v[26:27] nt
	v_add_co_u32_e32 v26, vcc, 0xfffffb00, v14
	s_mov_b64 s[26:27], vcc
	v_addc_co_u32_e64 v31, vcc, -1, v15, s[24:25]
	flat_load_ushort v40, v[2:3] nt
	flat_load_ushort v44, v[30:31] nt
	v_sub_u32_e32 v29, v29, v42
	flat_load_ushort v2, v[4:5] nt
	v_add_co_u32_e32 v4, vcc, 0xfffffb80, v14
	s_mov_b64 s[24:25], vcc
	v_addc_co_u32_e64 v27, vcc, -1, v15, s[26:27]
	v_add_co_u32_e32 v30, vcc, s74, v14
	s_mov_b64 s[26:27], vcc
	v_addc_co_u32_e64 v5, vcc, -1, v15, s[24:25]
	flat_load_ushort v21, v[26:27] nt
	v_add_co_u32_e32 v26, vcc, 0xfffffc80, v14
	s_mov_b64 s[24:25], vcc
	v_addc_co_u32_e64 v31, vcc, -1, v15, s[26:27]
	flat_load_ushort a0, v[4:5] nt
	;; [unrolled: 4-line block ×6, first 2 shown]
	v_add_co_u32_e32 v26, vcc, 0xffffff00, v14
	v_addc_co_u32_e64 v5, s[24:25], -1, v15, s[24:25]
	s_nop 0
	v_addc_co_u32_e32 v27, vcc, -1, v15, vcc
	flat_load_ushort v39, v[4:5] nt
	v_add_co_u32_e32 v4, vcc, s75, v14
	s_waitcnt vmcnt(0) lgkmcnt(0)
	v_mul_f16_e32 v0, v0, v9
	v_addc_co_u32_e32 v5, vcc, -1, v15, vcc
	flat_load_ushort v37, v[30:31] nt
	flat_load_ushort v48, v[26:27] nt
	;; [unrolled: 1-line block ×3, first 2 shown]
	flat_load_ushort v55, v[12:13] offset:1152 nt
	v_mul_f16_e32 v23, v23, v0
	flat_load_ushort v30, v[10:11] offset:1664 nt
	flat_load_ushort v25, v[12:13] offset:1280 nt
	flat_load_ushort v27, v[12:13] offset:1408 nt
	flat_load_ushort v31, v[10:11] offset:1792 nt
	flat_load_ushort v32, v[10:11] offset:1920 nt
	flat_load_ushort v33, v[14:15] nt
	flat_load_ushort v9, v[12:13] offset:1536 nt
	flat_load_ushort v26, v[12:13] offset:1664 nt
	;; [unrolled: 1-line block ×4, first 2 shown]
	v_add_co_u32_e32 v4, vcc, s87, v16
	v_mul_f16_e32 v3, v45, v6
	s_nop 0
	v_addc_co_u32_e32 v5, vcc, -1, v17, vcc
	flat_store_short v[4:5], v23 nt
	v_add_co_u32_e32 v4, vcc, s88, v16
	v_add_co_u32_e64 v6, s[26:27], s74, v16
	s_nop 0
	v_addc_co_u32_e32 v5, vcc, -1, v17, vcc
	v_mul_f16_e32 v28, v28, v54
	v_cmp_gt_i32_e64 s[28:29], 1, v29
	v_lshl_add_u64 v[10:11], v[10:11], 0, v[60:61]
	v_lshl_add_u64 v[12:13], v[12:13], 0, v[60:61]
	s_or_b64 s[64:65], s[28:29], s[64:65]
	v_lshl_add_u64 v[14:15], v[14:15], 0, v[60:61]
	v_mul_f16_e32 v3, v40, v3
	flat_store_short v[4:5], v3 nt
	v_mul_f16_e32 v3, v19, v7
	v_add_co_u32_e32 v4, vcc, s89, v16
	v_mul_f16_e32 v1, v1, v3
	s_nop 0
	v_addc_co_u32_e32 v5, vcc, -1, v17, vcc
	flat_store_short v[4:5], v1 nt
	v_mul_f16_e32 v1, v18, v8
	v_mul_f16_e32 v1, v2, v1
	v_add_co_u32_e32 v2, vcc, s90, v16
	v_add_co_u32_e64 v18, s[24:25], s92, v16
	s_nop 0
	v_addc_co_u32_e32 v3, vcc, -1, v17, vcc
	flat_store_short v[2:3], v1 nt
	v_add_co_u32_e32 v2, vcc, s91, v16
	v_mul_f16_e32 v1, v24, v20
	v_mul_f16_e32 v1, v44, v1
	v_addc_co_u32_e32 v3, vcc, -1, v17, vcc
	flat_store_short v[2:3], v1 nt
	v_accvgpr_read_b32 v1, a9
	v_add_co_u32_e32 v4, vcc, s93, v16
	v_mul_f16_e32 v1, v1, v22
	v_addc_co_u32_e64 v19, s[24:25], -1, v17, s[24:25]
	v_addc_co_u32_e32 v5, vcc, -1, v17, vcc
	v_addc_co_u32_e64 v7, vcc, -1, v17, s[26:27]
	v_mul_f16_e32 v1, v21, v1
	flat_store_short v[18:19], v1 nt
	v_add_co_u32_e32 v18, vcc, s94, v16
	s_mov_b64 s[24:25], vcc
	v_add_co_u32_e32 v20, vcc, s95, v16
	s_mov_b64 s[26:27], vcc
	v_addc_co_u32_e64 v19, vcc, -1, v17, s[24:25]
	v_accvgpr_read_b32 v1, a8
	v_add_co_u32_e32 v22, vcc, s96, v16
	v_mul_f16_e32 v51, v1, v51
	s_mov_b64 s[24:25], vcc
	v_addc_co_u32_e64 v21, vcc, -1, v17, s[26:27]
	v_accvgpr_read_b32 v1, a7
	v_mul_f16_e32 v50, v1, v50
	v_add_co_u32_e32 v24, vcc, 0xfffffe00, v16
	s_mov_b64 s[26:27], vcc
	v_addc_co_u32_e64 v23, vcc, -1, v17, s[24:25]
	s_waitcnt vmcnt(0) lgkmcnt(0)
	v_mul_f16_e32 v26, v30, v26
	v_mul_f16_e32 v30, v31, v41
	;; [unrolled: 1-line block ×3, first 2 shown]
	v_accvgpr_read_b32 v32, a0
	v_mul_f16_e32 v28, v32, v28
	flat_store_short v[4:5], v28 nt
	v_mul_f16_e32 v4, v34, v51
	v_mul_f16_e32 v52, v52, v55
	flat_store_short v[6:7], v4 nt
	v_mul_f16_e32 v4, v35, v50
	v_mul_f16_e32 v53, v53, v25
	v_accvgpr_read_b32 v1, a6
	v_add_co_u32_e32 v2, vcc, 0xfffffe80, v16
	flat_store_short v[18:19], v4 nt
	v_mul_f16_e32 v4, v36, v52
	v_mul_f16_e32 v27, v1, v27
	s_mov_b64 s[24:25], vcc
	v_addc_co_u32_e64 v25, vcc, -1, v17, s[26:27]
	v_accvgpr_read_b32 v1, a1
	flat_store_short v[20:21], v4 nt
	v_mul_f16_e32 v4, v37, v53
	v_mul_f16_e32 v54, v1, v9
	v_add_co_u32_e32 v8, vcc, 0xffffff00, v16
	flat_store_short v[22:23], v4 nt
	v_mul_f16_e32 v4, v38, v27
	s_mov_b64 s[26:27], vcc
	v_addc_co_u32_e64 v3, vcc, -1, v17, s[24:25]
	flat_store_short v[24:25], v4 nt
	v_mul_f16_e32 v4, v39, v54
	v_add_co_u32_e32 v0, vcc, 0xffffff80, v16
	v_addc_co_u32_e64 v9, s[24:25], -1, v17, s[26:27]
	flat_store_short v[2:3], v4 nt
	v_mul_f16_e32 v2, v48, v26
	v_addc_co_u32_e32 v1, vcc, -1, v17, vcc
	flat_store_short v[8:9], v2 nt
	v_mul_f16_e32 v2, v49, v30
	v_mul_f16_e32 v31, v33, v31
	flat_store_short v[0:1], v2 nt
	flat_store_short v[16:17], v31 nt
	s_andn2_b64 exec, exec, s[64:65]
	s_cbranch_execnz .LBB18_612
; %bb.613:                              ;   in Loop: Header=BB18_491 Depth=2
	s_or_b64 exec, exec, s[64:65]
	scratch_load_dword v50, off, s33 offset:208 ; 4-byte Folded Reload
	scratch_load_dword v28, off, s33 offset:204 ; 4-byte Folded Reload
	;; [unrolled: 1-line block ×4, first 2 shown]
	scratch_load_dwordx2 v[22:23], off, s33 offset:192 ; 8-byte Folded Reload
	scratch_load_dwordx2 v[20:21], off, s33 offset:184 ; 8-byte Folded Reload
	v_accvgpr_mov_b32 a17, a11
	v_accvgpr_read_b32 v49, a23
	v_accvgpr_read_b32 v53, a25
	;; [unrolled: 1-line block ×8, first 2 shown]
	v_accvgpr_mov_b32 a16, a10
	v_accvgpr_read_b32 v48, a22
	v_accvgpr_read_b32 v52, a24
	;; [unrolled: 1-line block ×5, first 2 shown]
	v_mov_b64_e32 v[36:37], v[42:43]
	v_accvgpr_read_b32 v27, a39
	v_accvgpr_read_b32 v31, a43
	v_accvgpr_read_b32 v33, a47
	v_accvgpr_read_b32 v25, a49
	v_accvgpr_read_b32 v19, a51
	v_mov_b32_e32 v15, 1
	v_accvgpr_read_b32 v16, a26
	v_accvgpr_read_b32 v42, a12
	;; [unrolled: 1-line block ×8, first 2 shown]
.LBB18_614:                             ;   in Loop: Header=BB18_491 Depth=2
	s_or_b64 exec, exec, s[62:63]
	v_lshlrev_b32_e32 v0, 11, v0
	v_cmp_ne_u32_e32 vcc, v7, v0
	s_and_saveexec_b64 s[24:25], vcc
	s_cbranch_execz .LBB18_618
; %bb.615:                              ;   in Loop: Header=BB18_491 Depth=2
	v_ashrrev_i32_e32 v1, 31, v3
	v_lshrrev_b32_e32 v1, 26, v1
	v_add_u32_e32 v1, v3, v1
	v_and_b32_e32 v1, 0xffffffc0, v1
	v_sub_u32_e32 v1, v3, v1
	v_lshlrev_b32_e32 v2, 6, v29
	v_sub_u32_e32 v1, v1, v2
	v_ashrrev_i32_e32 v2, 31, v1
	v_lshrrev_b32_e32 v2, 26, v2
	v_add_u32_e32 v2, v1, v2
	v_and_b32_e32 v3, 0x7fffffc0, v2
	v_sub_u32_e32 v1, v1, v3
	v_lshlrev_b32_e32 v2, 1, v2
	v_and_b32_e32 v2, 0xffffff80, v2
	v_lshlrev_b32_e32 v1, 1, v1
	v_add3_u32 v1, v2, v1, v0
	v_sub_u32_e32 v0, v7, v1
	v_cmp_lt_i32_e32 vcc, 1, v0
	s_and_b64 exec, exec, vcc
	s_cbranch_execz .LBB18_618
; %bb.616:                              ;   in Loop: Header=BB18_491 Depth=2
	s_trap 2
	ds_read_b128 v[8:11], v0
	ds_read_b64 v[6:7], v0
	v_add_u32_e32 v4, v1, v14
	v_ashrrev_i32_e32 v5, 31, v4
	s_mov_b64 s[26:27], 0
	s_waitcnt lgkmcnt(0)
	v_lshl_add_u64 v[8:9], v[8:9], 0, v[4:5]
	v_lshl_add_u64 v[10:11], v[10:11], 0, v[4:5]
.LBB18_617:                             ;   Parent Loop BB18_47 Depth=1
                                        ;     Parent Loop BB18_491 Depth=2
                                        ; =>    This Inner Loop Header: Depth=3
	flat_load_ushort v1, v[8:9] nt
	flat_load_ushort v12, v[10:11] nt
	;; [unrolled: 1-line block ×3, first 2 shown]
	s_waitcnt vmcnt(0)
	v_sub_u32_e32 v0, v0, v28
	v_cmp_gt_i32_e32 vcc, 2, v0
	v_lshl_add_u64 v[2:3], v[6:7], 0, v[4:5]
	v_lshl_add_u64 v[8:9], v[8:9], 0, v[24:25]
	;; [unrolled: 1-line block ×4, first 2 shown]
	s_or_b64 s[26:27], vcc, s[26:27]
	s_waitcnt lgkmcnt(0)
	v_mul_f16_e32 v1, v1, v12
	v_mul_f16_e32 v1, v13, v1
	flat_store_short v[2:3], v1 nt
	s_andn2_b64 exec, exec, s[26:27]
	s_cbranch_execnz .LBB18_617
.LBB18_618:                             ;   in Loop: Header=BB18_491 Depth=2
	s_or_b64 exec, exec, s[24:25]
	v_accvgpr_read_b32 v12, a44
	v_accvgpr_read_b32 v10, a14
	;; [unrolled: 1-line block ×4, first 2 shown]
.LBB18_619:                             ;   in Loop: Header=BB18_491 Depth=2
	s_or_b64 exec, exec, s[60:61]
.LBB18_620:                             ;   in Loop: Header=BB18_491 Depth=2
	s_and_saveexec_b64 s[24:25], s[4:5]
	s_cbranch_execz .LBB18_639
; %bb.621:                              ;   in Loop: Header=BB18_491 Depth=2
	s_and_saveexec_b64 s[26:27], s[38:39]
	s_xor_b64 s[26:27], exec, s[26:27]
	s_cbranch_execz .LBB18_636
; %bb.622:                              ;   in Loop: Header=BB18_491 Depth=2
	s_and_saveexec_b64 s[28:29], s[12:13]
	s_cbranch_execz .LBB18_635
; %bb.623:                              ;   in Loop: Header=BB18_491 Depth=2
	s_mov_b64 s[62:63], exec
	v_mbcnt_lo_u32_b32 v0, s62, 0
	v_mbcnt_hi_u32_b32 v0, s63, v0
	v_cmp_eq_u32_e32 vcc, 0, v0
	s_waitcnt lgkmcnt(0)
	s_and_saveexec_b64 s[60:61], vcc
	s_cbranch_execz .LBB18_625
; %bb.624:                              ;   in Loop: Header=BB18_491 Depth=2
	s_bcnt1_i32_b64 vcc_lo, s[62:63]
	v_mov_b32_e32 v38, vcc_lo
	ds_add_u64 v0, v[38:39]
	s_trap 2
.LBB18_625:                             ;   in Loop: Header=BB18_491 Depth=2
	s_or_b64 exec, exec, s[60:61]
	s_trap 2
	ds_read_b64 v[0:1], v0
	v_lshl_add_u64 v[46:47], v[46:47], 0, v[36:37]
	s_waitcnt lgkmcnt(0)
	v_cmp_lt_u64_e32 vcc, v[0:1], v[46:47]
	s_and_saveexec_b64 s[60:61], vcc
	s_cbranch_execz .LBB18_634
; %bb.626:                              ;   in Loop: Header=BB18_491 Depth=2
	s_mov_b32 s98, 0
	s_mov_b64 s[62:63], 0
                                        ; implicit-def: $sgpr64_sgpr65
                                        ; implicit-def: $sgpr66_sgpr67
	s_branch .LBB18_628
.LBB18_627:                             ;   in Loop: Header=BB18_628 Depth=3
	s_or_b64 exec, exec, s[70:71]
	s_and_b64 vcc, exec, vcc
	s_or_b64 s[62:63], vcc, s[62:63]
	s_andn2_b64 vcc, s[64:65], exec
	s_and_b64 s[64:65], s[66:67], exec
	s_or_b64 s[64:65], vcc, s[64:65]
	s_andn2_b64 exec, exec, s[62:63]
	s_cbranch_execz .LBB18_632
.LBB18_628:                             ;   Parent Loop BB18_47 Depth=1
                                        ;     Parent Loop BB18_491 Depth=2
                                        ; =>    This Inner Loop Header: Depth=3
	s_add_i32 s98, s98, 1
	s_cmpk_lg_i32 s98, 0x2710
	s_cselect_b64 s[68:69], -1, 0
	s_and_b64 vcc, exec, s[68:69]
                                        ; implicit-def: $sgpr70_sgpr71
	s_cbranch_vccnz .LBB18_630
; %bb.629:                              ;   in Loop: Header=BB18_628 Depth=3
	s_trap 2
	ds_read_b64 v[0:1], v0
	s_andn2_b64 s[68:69], s[68:69], exec
	s_mov_b32 s98, 0
	s_mov_b64 s[70:71], -1
	s_waitcnt vmcnt(0) lgkmcnt(0)
	flat_load_dword v0, v[0:1] sc0 sc1
	s_waitcnt vmcnt(0) lgkmcnt(0)
	buffer_inv sc0 sc1
	v_cmp_eq_u32_e32 vcc, 0, v0
	s_and_b64 vcc, vcc, exec
	s_or_b64 s[68:69], s[68:69], vcc
.LBB18_630:                             ;   in Loop: Header=BB18_628 Depth=3
	s_andn2_b64 s[66:67], s[66:67], exec
	s_and_b64 s[70:71], s[70:71], exec
	s_mov_b64 vcc, -1
	s_or_b64 s[66:67], s[66:67], s[70:71]
	s_and_saveexec_b64 s[70:71], s[68:69]
	s_cbranch_execz .LBB18_627
; %bb.631:                              ;   in Loop: Header=BB18_628 Depth=3
	s_sleep 1
	s_trap 2
	ds_read_b64 v[0:1], v0
	s_andn2_b64 s[66:67], s[66:67], exec
	s_waitcnt lgkmcnt(0)
	v_cmp_ge_u64_e32 vcc, v[0:1], v[46:47]
	s_orn2_b64 vcc, vcc, exec
	s_branch .LBB18_627
.LBB18_632:                             ;   in Loop: Header=BB18_491 Depth=2
	s_or_b64 exec, exec, s[62:63]
	s_and_saveexec_b64 vcc, s[64:65]
	s_xor_b64 vcc, exec, vcc
	s_cbranch_execz .LBB18_634
; %bb.633:                              ;   in Loop: Header=BB18_491 Depth=2
	ds_write_b32 v0, v15
	s_trap 2
.LBB18_634:                             ;   in Loop: Header=BB18_491 Depth=2
	s_or_b64 exec, exec, s[60:61]
	;;#ASMSTART
	s_wakeup
	;;#ASMEND
.LBB18_635:                             ;   in Loop: Header=BB18_491 Depth=2
	s_or_b64 exec, exec, s[28:29]
.LBB18_636:                             ;   in Loop: Header=BB18_491 Depth=2
	s_andn2_saveexec_b64 s[26:27], s[26:27]
	s_cbranch_execz .LBB18_638
; %bb.637:                              ;   in Loop: Header=BB18_491 Depth=2
	s_waitcnt lgkmcnt(0)
	s_barrier
.LBB18_638:                             ;   in Loop: Header=BB18_491 Depth=2
	s_or_b64 exec, exec, s[26:27]
.LBB18_639:                             ;   in Loop: Header=BB18_491 Depth=2
	s_or_b64 exec, exec, s[24:25]
                                        ; implicit-def: $vgpr0
	s_and_saveexec_b64 s[24:25], s[20:21]
	s_xor_b64 s[26:27], exec, s[24:25]
	s_cbranch_execz .LBB18_643
; %bb.640:                              ;   in Loop: Header=BB18_491 Depth=2
	v_and_b32_e32 v1, 16, v57
	v_cmp_lt_i32_e32 vcc, 0, v45
	v_cmp_ne_u32_e64 s[24:25], 0, v1
	v_and_b32_e32 v0, 16, v57
	s_and_b64 s[28:29], s[24:25], vcc
	s_and_saveexec_b64 s[24:25], s[28:29]
	s_cbranch_execz .LBB18_642
; %bb.641:                              ;   in Loop: Header=BB18_491 Depth=2
	v_mov_b32_e32 v0, 1
	buffer_wbl2 sc1
	s_waitcnt vmcnt(0) lgkmcnt(0)
	buffer_inv sc1
.LBB18_642:                             ;   in Loop: Header=BB18_491 Depth=2
	s_or_b64 exec, exec, s[24:25]
	s_andn2_saveexec_b64 s[24:25], s[26:27]
	s_cbranch_execz .LBB18_662
	s_branch .LBB18_644
.LBB18_643:                             ;   in Loop: Header=BB18_491 Depth=2
	s_andn2_saveexec_b64 s[24:25], s[26:27]
	s_cbranch_execz .LBB18_662
.LBB18_644:                             ;   in Loop: Header=BB18_491 Depth=2
	s_and_saveexec_b64 s[26:27], s[38:39]
	s_xor_b64 s[26:27], exec, s[26:27]
	s_cbranch_execz .LBB18_659
; %bb.645:                              ;   in Loop: Header=BB18_491 Depth=2
	s_and_saveexec_b64 s[28:29], s[12:13]
	s_cbranch_execz .LBB18_658
; %bb.646:                              ;   in Loop: Header=BB18_491 Depth=2
	s_mov_b64 s[62:63], exec
	v_mbcnt_lo_u32_b32 v0, s62, 0
	v_mbcnt_hi_u32_b32 v0, s63, v0
	v_cmp_eq_u32_e32 vcc, 0, v0
	;;#ASMSTART
	s_waitcnt lgkmcnt(0) vmcnt(0)
	;;#ASMEND
	s_and_saveexec_b64 s[60:61], vcc
	s_cbranch_execz .LBB18_648
; %bb.647:                              ;   in Loop: Header=BB18_491 Depth=2
	s_bcnt1_i32_b64 vcc_lo, s[62:63]
	v_mov_b32_e32 v38, vcc_lo
	ds_add_u64 v0, v[38:39]
	s_trap 2
.LBB18_648:                             ;   in Loop: Header=BB18_491 Depth=2
	s_or_b64 exec, exec, s[60:61]
	s_trap 2
	ds_read_b64 v[0:1], v0
	v_lshl_add_u64 v[46:47], v[46:47], 0, v[36:37]
	s_waitcnt lgkmcnt(0)
	v_cmp_lt_u64_e32 vcc, v[0:1], v[46:47]
	s_and_saveexec_b64 s[60:61], vcc
	s_cbranch_execz .LBB18_657
; %bb.649:                              ;   in Loop: Header=BB18_491 Depth=2
	s_mov_b32 s98, 0
	s_mov_b64 s[62:63], 0
                                        ; implicit-def: $sgpr64_sgpr65
                                        ; implicit-def: $sgpr66_sgpr67
	s_branch .LBB18_651
.LBB18_650:                             ;   in Loop: Header=BB18_651 Depth=3
	s_or_b64 exec, exec, s[70:71]
	s_and_b64 vcc, exec, vcc
	s_or_b64 s[62:63], vcc, s[62:63]
	s_andn2_b64 vcc, s[64:65], exec
	s_and_b64 s[64:65], s[66:67], exec
	s_or_b64 s[64:65], vcc, s[64:65]
	s_andn2_b64 exec, exec, s[62:63]
	s_cbranch_execz .LBB18_655
.LBB18_651:                             ;   Parent Loop BB18_47 Depth=1
                                        ;     Parent Loop BB18_491 Depth=2
                                        ; =>    This Inner Loop Header: Depth=3
	s_add_i32 s98, s98, 1
	s_cmpk_lg_i32 s98, 0x2710
	s_cselect_b64 s[68:69], -1, 0
	s_and_b64 vcc, exec, s[68:69]
                                        ; implicit-def: $sgpr70_sgpr71
	s_cbranch_vccnz .LBB18_653
; %bb.652:                              ;   in Loop: Header=BB18_651 Depth=3
	s_trap 2
	ds_read_b64 v[0:1], v0
	s_andn2_b64 s[68:69], s[68:69], exec
	s_mov_b32 s98, 0
	s_mov_b64 s[70:71], -1
	s_waitcnt vmcnt(0) lgkmcnt(0)
	flat_load_dword v0, v[0:1] sc0 sc1
	s_waitcnt vmcnt(0) lgkmcnt(0)
	buffer_inv sc0 sc1
	v_cmp_eq_u32_e32 vcc, 0, v0
	s_and_b64 vcc, vcc, exec
	s_or_b64 s[68:69], s[68:69], vcc
.LBB18_653:                             ;   in Loop: Header=BB18_651 Depth=3
	s_andn2_b64 s[66:67], s[66:67], exec
	s_and_b64 s[70:71], s[70:71], exec
	s_mov_b64 vcc, -1
	s_or_b64 s[66:67], s[66:67], s[70:71]
	s_and_saveexec_b64 s[70:71], s[68:69]
	s_cbranch_execz .LBB18_650
; %bb.654:                              ;   in Loop: Header=BB18_651 Depth=3
	s_sleep 1
	s_trap 2
	ds_read_b64 v[0:1], v0
	s_andn2_b64 s[66:67], s[66:67], exec
	s_waitcnt lgkmcnt(0)
	v_cmp_ge_u64_e32 vcc, v[0:1], v[46:47]
	s_orn2_b64 vcc, vcc, exec
	s_branch .LBB18_650
.LBB18_655:                             ;   in Loop: Header=BB18_491 Depth=2
	s_or_b64 exec, exec, s[62:63]
	s_and_saveexec_b64 vcc, s[64:65]
	s_xor_b64 vcc, exec, vcc
	s_cbranch_execz .LBB18_657
; %bb.656:                              ;   in Loop: Header=BB18_491 Depth=2
	ds_write_b32 v0, v15
	s_trap 2
.LBB18_657:                             ;   in Loop: Header=BB18_491 Depth=2
	s_or_b64 exec, exec, s[60:61]
	;;#ASMSTART
	s_wakeup
	;;#ASMEND
.LBB18_658:                             ;   in Loop: Header=BB18_491 Depth=2
	s_or_b64 exec, exec, s[28:29]
.LBB18_659:                             ;   in Loop: Header=BB18_491 Depth=2
	s_andn2_saveexec_b64 s[26:27], s[26:27]
	s_cbranch_execz .LBB18_661
; %bb.660:                              ;   in Loop: Header=BB18_491 Depth=2
	;;#ASMSTART
	s_waitcnt lgkmcnt(0) vmcnt(0)
	;;#ASMEND
	s_barrier
.LBB18_661:                             ;   in Loop: Header=BB18_491 Depth=2
	s_or_b64 exec, exec, s[26:27]
	v_and_b32_e32 v0, 16, v57
.LBB18_662:                             ;   in Loop: Header=BB18_491 Depth=2
	s_or_b64 exec, exec, s[24:25]
	v_cmp_ne_u32_e32 vcc, 0, v0
	s_xor_b64 s[24:25], s[6:7], -1
	s_and_b64 s[26:27], vcc, s[24:25]
	s_and_saveexec_b64 s[24:25], s[26:27]
	s_cbranch_execz .LBB18_664
; %bb.663:                              ;   in Loop: Header=BB18_491 Depth=2
	flat_store_dword v[52:53], v15 sc0 sc1
.LBB18_664:                             ;   in Loop: Header=BB18_491 Depth=2
	s_or_b64 exec, exec, s[24:25]
	v_and_b32_e32 v0, 48, v57
	v_cmp_ne_u32_e32 vcc, 0, v0
	s_and_saveexec_b64 s[24:25], vcc
	s_cbranch_execz .LBB18_490
; %bb.665:                              ;   in Loop: Header=BB18_491 Depth=2
	v_lshl_add_u64 v[10:11], v[10:11], 0, 2
	s_waitcnt vmcnt(0)
	flat_store_dwordx2 v[58:59], v[10:11] sc0 sc1
	s_branch .LBB18_490
.LBB18_666:                             ;   in Loop: Header=BB18_47 Depth=1
	s_or_b64 exec, exec, s[54:55]
	v_cmp_gt_i32_e32 vcc, 2, v0
	s_and_saveexec_b64 s[26:27], vcc
	s_cbranch_execz .LBB18_740
.LBB18_667:                             ;   in Loop: Header=BB18_47 Depth=1
	v_cmp_eq_u32_e64 s[24:25], 0, v0
	s_mov_b64 s[28:29], 0
	s_branch .LBB18_669
.LBB18_668:                             ;   in Loop: Header=BB18_669 Depth=2
	s_or_b64 exec, exec, s[24:25]
	v_add_u32_e32 v44, v42, v44
	s_mov_b64 s[24:25], 0
	s_andn2_b64 exec, exec, s[28:29]
	s_cbranch_execz .LBB18_741
.LBB18_669:                             ;   Parent Loop BB18_47 Depth=1
                                        ; =>  This Loop Header: Depth=2
                                        ;       Child Loop BB18_675 Depth 3
                                        ;       Child Loop BB18_705 Depth 3
	;; [unrolled: 1-line block ×3, first 2 shown]
	v_and_b32_e32 v0, 12, v57
	s_mov_b64 s[56:57], -1
	v_cmp_ne_u32_e32 vcc, 0, v0
	s_and_saveexec_b64 s[54:55], vcc
	s_cbranch_execz .LBB18_681
; %bb.670:                              ;   in Loop: Header=BB18_669 Depth=2
	v_and_b32_e32 v38, 8, v57
	v_lshl_add_u64 v[0:1], v[40:41], 0, v[38:39]
	v_lshl_add_u64 v[4:5], v[10:11], 0, 2
	v_cmp_lt_u64_e32 vcc, v[0:1], v[4:5]
	v_mov_b32_e32 v0, 1
	s_and_saveexec_b64 s[56:57], vcc
	s_cbranch_execz .LBB18_680
; %bb.671:                              ;   in Loop: Header=BB18_669 Depth=2
	s_mov_b64 s[58:59], 0
	v_mov_b32_e32 v0, 0
                                        ; implicit-def: $sgpr60_sgpr61
	s_branch .LBB18_675
.LBB18_672:                             ;   in Loop: Header=BB18_675 Depth=3
	s_or_b64 exec, exec, s[68:69]
	v_mov_b32_e32 v1, 0
	s_orn2_b64 s[66:67], s[66:67], exec
.LBB18_673:                             ;   in Loop: Header=BB18_675 Depth=3
	s_or_b64 exec, exec, s[64:65]
	s_andn2_b64 vcc, s[60:61], exec
	s_and_b64 s[60:61], s[66:67], exec
	s_or_b64 s[60:61], vcc, s[60:61]
	v_mov_b32_e32 v0, v1
.LBB18_674:                             ;   in Loop: Header=BB18_675 Depth=3
	s_or_b64 exec, exec, s[62:63]
	s_waitcnt vmcnt(0) lgkmcnt(0)
	v_lshl_add_u64 v[2:3], v[40:41], 0, v[38:39]
	v_cmp_ge_u64_e32 vcc, v[2:3], v[4:5]
	s_xor_b64 s[62:63], s[60:61], -1
	s_or_b64 vcc, s[62:63], vcc
	s_and_b64 vcc, exec, vcc
	s_or_b64 s[58:59], vcc, s[58:59]
	s_andn2_b64 exec, exec, s[58:59]
	s_cbranch_execz .LBB18_679
.LBB18_675:                             ;   Parent Loop BB18_47 Depth=1
                                        ;     Parent Loop BB18_669 Depth=2
                                        ; =>    This Inner Loop Header: Depth=3
	s_sleep 1
	flat_load_dwordx2 v[40:41], v[58:59] sc0 sc1
	v_and_b32_e32 v1, 64, v57
	v_cmp_eq_u32_e32 vcc, 0, v1
	s_andn2_b64 s[60:61], s[60:61], exec
	s_and_saveexec_b64 s[62:63], vcc
	s_cbranch_execz .LBB18_674
; %bb.676:                              ;   in Loop: Header=BB18_675 Depth=3
	v_add_u32_e32 v1, 1, v0
	v_cmp_lt_i32_e32 vcc, s84, v0
	s_mov_b64 s[66:67], -1
	s_and_saveexec_b64 s[64:65], vcc
	s_cbranch_execz .LBB18_673
; %bb.677:                              ;   in Loop: Header=BB18_675 Depth=3
	s_trap 2
	ds_read_b64 v[0:1], v0
	s_waitcnt vmcnt(0) lgkmcnt(0)
	flat_load_dword v0, v[0:1] sc0 sc1
	s_waitcnt vmcnt(0) lgkmcnt(0)
	buffer_inv sc0 sc1
	v_cmp_ne_u32_e32 vcc, 0, v0
	s_and_saveexec_b64 s[68:69], vcc
	s_cbranch_execz .LBB18_672
; %bb.678:                              ;   in Loop: Header=BB18_675 Depth=3
	v_or_b32_e32 v57, 64, v57
	s_xor_b64 s[66:67], exec, -1
	ds_write_b32 v0, v0
	s_trap 2
	s_branch .LBB18_672
.LBB18_679:                             ;   in Loop: Header=BB18_669 Depth=2
	s_or_b64 exec, exec, s[58:59]
	v_and_b32_e32 v0, 12, v57
.LBB18_680:                             ;   in Loop: Header=BB18_669 Depth=2
	s_or_b64 exec, exec, s[56:57]
	v_cmp_eq_u32_e32 vcc, 0, v0
	s_orn2_b64 s[56:57], vcc, exec
	;;#ASMSTART
	s_wakeup
	;;#ASMEND
.LBB18_681:                             ;   in Loop: Header=BB18_669 Depth=2
	s_or_b64 exec, exec, s[54:55]
	s_xor_b64 s[24:25], s[24:25], -1
	s_and_b64 s[24:25], exec, s[24:25]
	s_or_b64 s[28:29], s[24:25], s[28:29]
	v_sub_u32_e32 v0, v51, v44
	s_xor_b64 s[24:25], s[56:57], -1
	v_min_i32_e32 v42, v42, v0
	s_and_saveexec_b64 s[54:55], s[24:25]
	s_cbranch_execz .LBB18_697
; %bb.682:                              ;   in Loop: Header=BB18_669 Depth=2
	v_and_b32_e32 v0, 0x108, v57
	v_cmp_ne_u32_e32 vcc, s86, v0
	v_and_b32_e32 v2, 7, v10
	s_and_saveexec_b64 s[24:25], vcc
	s_xor_b64 s[24:25], exec, s[24:25]
	s_andn2_saveexec_b64 s[24:25], s[24:25]
	s_cbranch_execz .LBB18_684
; %bb.683:                              ;   in Loop: Header=BB18_669 Depth=2
	v_accvgpr_read_b32 v0, a16
	v_accvgpr_read_b32 v1, a17
	v_ashrrev_i32_e32 v43, 31, v42
	v_mad_u64_u32 v[0:1], vcc, v2, 24, v[0:1]
	v_lshlrev_b64 v[4:5], 1, v[42:43]
	flat_store_dwordx2 v[0:1], v[4:5] offset:8
.LBB18_684:                             ;   in Loop: Header=BB18_669 Depth=2
	s_or_b64 exec, exec, s[24:25]
	v_and_b32_e32 v0, 0x100, v57
	v_cmp_ne_u32_e32 vcc, 0, v0
	s_mov_b64 s[24:25], -1
                                        ; implicit-def: $vgpr4_vgpr5
	s_and_saveexec_b64 s[56:57], vcc
	s_cbranch_execz .LBB18_688
; %bb.685:                              ;   in Loop: Header=BB18_669 Depth=2
	v_accvgpr_read_b32 v0, a16
	v_accvgpr_read_b32 v1, a17
	v_mad_u64_u32 v[6:7], s[24:25], v2, 24, v[0:1]
	v_mov_b32_e32 v0, v7
	v_mad_u64_u32 v[0:1], s[24:25], v39, 24, v[0:1]
	v_mov_b32_e32 v7, v0
	flat_load_dword v0, v[6:7]
                                        ; implicit-def: $vgpr4_vgpr5
	s_waitcnt vmcnt(0) lgkmcnt(0)
	v_cmp_ne_u32_e32 vcc, 1, v0
	v_cmp_eq_u32_e64 s[24:25], 1, v0
	s_and_saveexec_b64 s[58:59], s[24:25]
	s_cbranch_execz .LBB18_687
; %bb.686:                              ;   in Loop: Header=BB18_669 Depth=2
	flat_load_dword v0, v[6:7] offset:4 sc0 sc1
	s_waitcnt vmcnt(0) lgkmcnt(0)
	v_ashrrev_i32_e32 v1, 31, v0
	v_lshrrev_b64 v[4:5], 1, v[0:1]
.LBB18_687:                             ;   in Loop: Header=BB18_669 Depth=2
	s_or_b64 exec, exec, s[58:59]
	s_orn2_b64 s[24:25], vcc, exec
.LBB18_688:                             ;   in Loop: Header=BB18_669 Depth=2
	s_or_b64 exec, exec, s[56:57]
	s_and_saveexec_b64 vcc, s[24:25]
; %bb.689:                              ;   in Loop: Header=BB18_669 Depth=2
	v_mul_lo_u32 v0, v39, v16
	v_mul_lo_u32 v1, v2, v35
	v_mad_u64_u32 v[4:5], s[24:25], v2, v16, 0
	v_add3_u32 v5, v5, v1, v0
; %bb.690:                              ;   in Loop: Header=BB18_669 Depth=2
	s_or_b64 exec, exec, vcc
	v_lshl_add_u64 v[0:1], v[4:5], 1, v[48:49]
	s_trap 2
	ds_write_b64 v0, v[0:1]
	v_and_b32_e32 v0, 0x2000, v57
	v_cmp_ne_u32_e32 vcc, 0, v0
	s_and_saveexec_b64 s[24:25], vcc
	s_cbranch_execz .LBB18_692
; %bb.691:                              ;   in Loop: Header=BB18_669 Depth=2
	ds_read_b64 v[0:1], v0 offset:584
	s_waitcnt lgkmcnt(0)
	v_lshl_add_u64 v[0:1], v[0:1], 0, 1
	ds_write_b64 v0, v[0:1] offset:584
.LBB18_692:                             ;   in Loop: Header=BB18_669 Depth=2
	s_or_b64 exec, exec, s[24:25]
	v_lshl_add_u64 v[10:11], v[10:11], 0, 2
	s_or_b64 exec, exec, s[54:55]
	s_and_saveexec_b64 s[24:25], s[4:5]
	s_cbranch_execnz .LBB18_698
.LBB18_693:                             ;   in Loop: Header=BB18_669 Depth=2
	s_or_b64 exec, exec, s[24:25]
                                        ; implicit-def: $vgpr0
	s_and_saveexec_b64 s[24:25], s[20:21]
	s_xor_b64 s[24:25], exec, s[24:25]
	s_cbranch_execz .LBB18_716
.LBB18_694:                             ;   in Loop: Header=BB18_669 Depth=2
	s_trap 2
	ds_read_b32 v1, v0
	v_cmp_lt_i32_e32 vcc, 0, v42
	v_and_b32_e32 v2, 16, v57
	v_and_b32_e32 v0, 16, v57
	s_waitcnt lgkmcnt(0)
	v_readfirstlane_b32 s54, v1
	s_cmp_eq_u32 s54, 0
	s_cselect_b64 s[54:55], -1, 0
	s_and_b64 s[54:55], vcc, s[54:55]
	v_cmp_ne_u32_e32 vcc, 0, v2
	s_and_b64 s[54:55], vcc, s[54:55]
	s_and_saveexec_b64 vcc, s[54:55]
	s_cbranch_execz .LBB18_696
; %bb.695:                              ;   in Loop: Header=BB18_669 Depth=2
	v_mov_b32_e32 v0, 1
	buffer_wbl2 sc1
	s_waitcnt vmcnt(0)
	buffer_inv sc1
.LBB18_696:                             ;   in Loop: Header=BB18_669 Depth=2
	s_or_b64 exec, exec, vcc
	s_andn2_saveexec_b64 s[24:25], s[24:25]
	s_cbranch_execz .LBB18_735
	s_branch .LBB18_717
.LBB18_697:                             ;   in Loop: Header=BB18_669 Depth=2
	s_or_b64 exec, exec, s[54:55]
	s_and_saveexec_b64 s[24:25], s[4:5]
	s_cbranch_execz .LBB18_693
.LBB18_698:                             ;   in Loop: Header=BB18_669 Depth=2
	s_and_saveexec_b64 vcc, s[38:39]
	s_xor_b64 s[54:55], exec, vcc
	s_cbranch_execz .LBB18_713
; %bb.699:                              ;   in Loop: Header=BB18_669 Depth=2
	s_and_saveexec_b64 s[56:57], s[12:13]
	s_cbranch_execz .LBB18_712
; %bb.700:                              ;   in Loop: Header=BB18_669 Depth=2
	s_mov_b64 s[60:61], exec
	v_mbcnt_lo_u32_b32 v0, s60, 0
	v_mbcnt_hi_u32_b32 v0, s61, v0
	v_cmp_eq_u32_e32 vcc, 0, v0
	s_waitcnt lgkmcnt(0)
	s_and_saveexec_b64 s[58:59], vcc
	s_cbranch_execz .LBB18_702
; %bb.701:                              ;   in Loop: Header=BB18_669 Depth=2
	s_bcnt1_i32_b64 vcc_lo, s[60:61]
	v_mov_b32_e32 v38, vcc_lo
	ds_add_u64 v0, v[38:39]
	s_trap 2
.LBB18_702:                             ;   in Loop: Header=BB18_669 Depth=2
	s_or_b64 exec, exec, s[58:59]
	s_trap 2
	ds_read_b64 v[0:1], v0
	v_lshl_add_u64 v[46:47], v[46:47], 0, v[36:37]
	s_waitcnt lgkmcnt(0)
	v_cmp_lt_u64_e32 vcc, v[0:1], v[46:47]
	s_and_saveexec_b64 s[58:59], vcc
	s_cbranch_execz .LBB18_711
; %bb.703:                              ;   in Loop: Header=BB18_669 Depth=2
	s_mov_b32 s70, 0
	s_mov_b64 s[60:61], 0
                                        ; implicit-def: $sgpr62_sgpr63
                                        ; implicit-def: $sgpr64_sgpr65
	s_branch .LBB18_705
.LBB18_704:                             ;   in Loop: Header=BB18_705 Depth=3
	s_or_b64 exec, exec, s[68:69]
	s_and_b64 vcc, exec, vcc
	s_or_b64 s[60:61], vcc, s[60:61]
	s_andn2_b64 vcc, s[62:63], exec
	s_and_b64 s[62:63], s[64:65], exec
	s_or_b64 s[62:63], vcc, s[62:63]
	s_andn2_b64 exec, exec, s[60:61]
	s_cbranch_execz .LBB18_709
.LBB18_705:                             ;   Parent Loop BB18_47 Depth=1
                                        ;     Parent Loop BB18_669 Depth=2
                                        ; =>    This Inner Loop Header: Depth=3
	s_add_i32 s70, s70, 1
	s_cmpk_lg_i32 s70, 0x2710
	s_cselect_b64 s[66:67], -1, 0
	s_and_b64 vcc, exec, s[66:67]
                                        ; implicit-def: $sgpr68_sgpr69
	s_cbranch_vccnz .LBB18_707
; %bb.706:                              ;   in Loop: Header=BB18_705 Depth=3
	s_trap 2
	ds_read_b64 v[0:1], v0
	s_andn2_b64 s[66:67], s[66:67], exec
	s_mov_b32 s70, 0
	s_mov_b64 s[68:69], -1
	s_waitcnt vmcnt(0) lgkmcnt(0)
	flat_load_dword v0, v[0:1] sc0 sc1
	s_waitcnt vmcnt(0) lgkmcnt(0)
	buffer_inv sc0 sc1
	v_cmp_eq_u32_e32 vcc, 0, v0
	s_and_b64 vcc, vcc, exec
	s_or_b64 s[66:67], s[66:67], vcc
.LBB18_707:                             ;   in Loop: Header=BB18_705 Depth=3
	s_andn2_b64 s[64:65], s[64:65], exec
	s_and_b64 s[68:69], s[68:69], exec
	s_mov_b64 vcc, -1
	s_or_b64 s[64:65], s[64:65], s[68:69]
	s_and_saveexec_b64 s[68:69], s[66:67]
	s_cbranch_execz .LBB18_704
; %bb.708:                              ;   in Loop: Header=BB18_705 Depth=3
	s_sleep 1
	s_trap 2
	ds_read_b64 v[0:1], v0
	s_andn2_b64 s[64:65], s[64:65], exec
	s_waitcnt lgkmcnt(0)
	v_cmp_ge_u64_e32 vcc, v[0:1], v[46:47]
	s_orn2_b64 vcc, vcc, exec
	s_branch .LBB18_704
.LBB18_709:                             ;   in Loop: Header=BB18_669 Depth=2
	s_or_b64 exec, exec, s[60:61]
	s_and_saveexec_b64 vcc, s[62:63]
	s_xor_b64 vcc, exec, vcc
	s_cbranch_execz .LBB18_711
; %bb.710:                              ;   in Loop: Header=BB18_669 Depth=2
	ds_write_b32 v0, v15
	s_trap 2
.LBB18_711:                             ;   in Loop: Header=BB18_669 Depth=2
	s_or_b64 exec, exec, s[58:59]
	;;#ASMSTART
	s_wakeup
	;;#ASMEND
.LBB18_712:                             ;   in Loop: Header=BB18_669 Depth=2
	s_or_b64 exec, exec, s[56:57]
.LBB18_713:                             ;   in Loop: Header=BB18_669 Depth=2
	s_andn2_saveexec_b64 vcc, s[54:55]
	s_cbranch_execz .LBB18_715
; %bb.714:                              ;   in Loop: Header=BB18_669 Depth=2
	s_waitcnt lgkmcnt(0)
	s_barrier
.LBB18_715:                             ;   in Loop: Header=BB18_669 Depth=2
	s_or_b64 exec, exec, vcc
	s_or_b64 exec, exec, s[24:25]
                                        ; implicit-def: $vgpr0
	s_and_saveexec_b64 s[24:25], s[20:21]
	s_xor_b64 s[24:25], exec, s[24:25]
	s_cbranch_execnz .LBB18_694
.LBB18_716:                             ;   in Loop: Header=BB18_669 Depth=2
	s_andn2_saveexec_b64 s[24:25], s[24:25]
	s_cbranch_execz .LBB18_735
.LBB18_717:                             ;   in Loop: Header=BB18_669 Depth=2
	s_and_saveexec_b64 vcc, s[38:39]
	s_xor_b64 s[54:55], exec, vcc
	s_cbranch_execz .LBB18_732
; %bb.718:                              ;   in Loop: Header=BB18_669 Depth=2
	s_and_saveexec_b64 s[56:57], s[12:13]
	s_cbranch_execz .LBB18_731
; %bb.719:                              ;   in Loop: Header=BB18_669 Depth=2
	s_mov_b64 s[60:61], exec
	v_mbcnt_lo_u32_b32 v0, s60, 0
	v_mbcnt_hi_u32_b32 v0, s61, v0
	v_cmp_eq_u32_e32 vcc, 0, v0
	;;#ASMSTART
	s_waitcnt lgkmcnt(0) vmcnt(0)
	;;#ASMEND
	s_and_saveexec_b64 s[58:59], vcc
	s_cbranch_execz .LBB18_721
; %bb.720:                              ;   in Loop: Header=BB18_669 Depth=2
	s_bcnt1_i32_b64 vcc_lo, s[60:61]
	v_mov_b32_e32 v38, vcc_lo
	ds_add_u64 v0, v[38:39]
	s_trap 2
.LBB18_721:                             ;   in Loop: Header=BB18_669 Depth=2
	s_or_b64 exec, exec, s[58:59]
	s_trap 2
	ds_read_b64 v[0:1], v0
	v_lshl_add_u64 v[46:47], v[46:47], 0, v[36:37]
	s_waitcnt lgkmcnt(0)
	v_cmp_lt_u64_e32 vcc, v[0:1], v[46:47]
	s_and_saveexec_b64 s[58:59], vcc
	s_cbranch_execz .LBB18_730
; %bb.722:                              ;   in Loop: Header=BB18_669 Depth=2
	s_mov_b32 s70, 0
	s_mov_b64 s[60:61], 0
                                        ; implicit-def: $sgpr62_sgpr63
                                        ; implicit-def: $sgpr64_sgpr65
	s_branch .LBB18_724
.LBB18_723:                             ;   in Loop: Header=BB18_724 Depth=3
	s_or_b64 exec, exec, s[68:69]
	s_and_b64 vcc, exec, vcc
	s_or_b64 s[60:61], vcc, s[60:61]
	s_andn2_b64 vcc, s[62:63], exec
	s_and_b64 s[62:63], s[64:65], exec
	s_or_b64 s[62:63], vcc, s[62:63]
	s_andn2_b64 exec, exec, s[60:61]
	s_cbranch_execz .LBB18_728
.LBB18_724:                             ;   Parent Loop BB18_47 Depth=1
                                        ;     Parent Loop BB18_669 Depth=2
                                        ; =>    This Inner Loop Header: Depth=3
	s_add_i32 s70, s70, 1
	s_cmpk_lg_i32 s70, 0x2710
	s_cselect_b64 s[66:67], -1, 0
	s_and_b64 vcc, exec, s[66:67]
                                        ; implicit-def: $sgpr68_sgpr69
	s_cbranch_vccnz .LBB18_726
; %bb.725:                              ;   in Loop: Header=BB18_724 Depth=3
	s_trap 2
	ds_read_b64 v[0:1], v0
	s_andn2_b64 s[66:67], s[66:67], exec
	s_mov_b32 s70, 0
	s_mov_b64 s[68:69], -1
	s_waitcnt vmcnt(0) lgkmcnt(0)
	flat_load_dword v0, v[0:1] sc0 sc1
	s_waitcnt vmcnt(0) lgkmcnt(0)
	buffer_inv sc0 sc1
	v_cmp_eq_u32_e32 vcc, 0, v0
	s_and_b64 vcc, vcc, exec
	s_or_b64 s[66:67], s[66:67], vcc
.LBB18_726:                             ;   in Loop: Header=BB18_724 Depth=3
	s_andn2_b64 s[64:65], s[64:65], exec
	s_and_b64 s[68:69], s[68:69], exec
	s_mov_b64 vcc, -1
	s_or_b64 s[64:65], s[64:65], s[68:69]
	s_and_saveexec_b64 s[68:69], s[66:67]
	s_cbranch_execz .LBB18_723
; %bb.727:                              ;   in Loop: Header=BB18_724 Depth=3
	s_sleep 1
	s_trap 2
	ds_read_b64 v[0:1], v0
	s_andn2_b64 s[64:65], s[64:65], exec
	s_waitcnt lgkmcnt(0)
	v_cmp_ge_u64_e32 vcc, v[0:1], v[46:47]
	s_orn2_b64 vcc, vcc, exec
	s_branch .LBB18_723
.LBB18_728:                             ;   in Loop: Header=BB18_669 Depth=2
	s_or_b64 exec, exec, s[60:61]
	s_and_saveexec_b64 vcc, s[62:63]
	s_xor_b64 vcc, exec, vcc
	s_cbranch_execz .LBB18_730
; %bb.729:                              ;   in Loop: Header=BB18_669 Depth=2
	ds_write_b32 v0, v15
	s_trap 2
.LBB18_730:                             ;   in Loop: Header=BB18_669 Depth=2
	s_or_b64 exec, exec, s[58:59]
	;;#ASMSTART
	s_wakeup
	;;#ASMEND
.LBB18_731:                             ;   in Loop: Header=BB18_669 Depth=2
	s_or_b64 exec, exec, s[56:57]
.LBB18_732:                             ;   in Loop: Header=BB18_669 Depth=2
	s_andn2_saveexec_b64 vcc, s[54:55]
	s_cbranch_execz .LBB18_734
; %bb.733:                              ;   in Loop: Header=BB18_669 Depth=2
	;;#ASMSTART
	s_waitcnt lgkmcnt(0) vmcnt(0)
	;;#ASMEND
	s_barrier
.LBB18_734:                             ;   in Loop: Header=BB18_669 Depth=2
	s_or_b64 exec, exec, vcc
	v_and_b32_e32 v0, 16, v57
.LBB18_735:                             ;   in Loop: Header=BB18_669 Depth=2
	s_or_b64 exec, exec, s[24:25]
	v_cmp_ne_u32_e32 vcc, 0, v0
	s_xor_b64 s[24:25], s[6:7], -1
	s_and_b64 vcc, vcc, s[24:25]
	s_and_saveexec_b64 s[24:25], vcc
	s_cbranch_execz .LBB18_737
; %bb.736:                              ;   in Loop: Header=BB18_669 Depth=2
	flat_store_dword v[52:53], v15 sc0 sc1
.LBB18_737:                             ;   in Loop: Header=BB18_669 Depth=2
	s_or_b64 exec, exec, s[24:25]
	v_and_b32_e32 v0, 48, v57
	v_cmp_ne_u32_e32 vcc, 0, v0
	s_and_saveexec_b64 s[24:25], vcc
	s_cbranch_execz .LBB18_668
; %bb.738:                              ;   in Loop: Header=BB18_669 Depth=2
	v_lshl_add_u64 v[10:11], v[10:11], 0, 2
	flat_store_dwordx2 v[58:59], v[10:11] sc0 sc1
	s_branch .LBB18_668
.LBB18_739:                             ;   in Loop: Header=BB18_47 Depth=1
	s_or_b64 exec, exec, s[56:57]
	s_or_b64 exec, exec, s[54:55]
	v_cmp_gt_i32_e32 vcc, 2, v0
	s_and_saveexec_b64 s[26:27], vcc
	s_cbranch_execnz .LBB18_667
.LBB18_740:                             ;   in Loop: Header=BB18_47 Depth=1
	s_or_b64 exec, exec, s[26:27]
	s_and_b64 vcc, exec, s[22:23]
	s_cbranch_vccz .LBB18_742
	s_branch .LBB18_998
.LBB18_741:                             ;   in Loop: Header=BB18_47 Depth=1
	s_or_b64 exec, exec, s[28:29]
	s_or_b64 exec, exec, s[26:27]
	s_and_b64 vcc, exec, s[22:23]
	s_cbranch_vccnz .LBB18_998
.LBB18_742:                             ;   in Loop: Header=BB18_47 Depth=1
	s_mov_b32 s70, 1
.LBB18_743:                             ;   Parent Loop BB18_47 Depth=1
                                        ; =>  This Loop Header: Depth=2
                                        ;       Child Loop BB18_746 Depth 3
                                        ;         Child Loop BB18_754 Depth 4
                                        ;         Child Loop BB18_780 Depth 4
	;; [unrolled: 1-line block ×9, first 2 shown]
                                        ;           Child Loop BB18_827 Depth 5
                                        ;         Child Loop BB18_836 Depth 4
                                        ;         Child Loop BB18_841 Depth 4
                                        ;           Child Loop BB18_842 Depth 5
                                        ;         Child Loop BB18_883 Depth 4
                                        ;         Child Loop BB18_906 Depth 4
                                        ;       Child Loop BB18_924 Depth 3
                                        ;         Child Loop BB18_930 Depth 4
                                        ;         Child Loop BB18_960 Depth 4
                                        ;         Child Loop BB18_979 Depth 4
	scratch_load_dwordx2 v[2:3], off, s33 offset:224 ; 8-byte Folded Reload
	s_sub_i32 s22, s77, s70
	s_cmp_le_i32 s72, s22
	s_cselect_b32 s23, s72, 0
	s_sub_i32 s22, s22, s23
	s_ashr_i32 s23, s22, 31
	v_mov_b32_e32 v8, 0
	s_waitcnt vmcnt(0)
	v_mul_lo_u32 v0, v2, s23
	v_mul_lo_u32 v1, v3, s22
	v_mad_u64_u32 v[4:5], s[22:23], v2, s22, 0
	v_add3_u32 v5, v5, v0, v1
	scratch_load_dwordx2 v[0:1], off, s33 offset:216 ; 8-byte Folded Reload
	s_waitcnt vmcnt(0)
	v_sub_co_u32_e32 v0, vcc, v0, v4
	s_nop 1
	v_subb_co_u32_e32 v1, vcc, v1, v5, vcc
	v_cmp_lt_i64_e32 vcc, v[2:3], v[0:1]
	s_nop 1
	v_cndmask_b32_e32 v0, v0, v2, vcc
	v_max_i32_e32 v43, 0, v0
	v_add_u32_e32 v1, 31, v43
	v_ashrrev_i32_e32 v2, 31, v1
	v_lshrrev_b32_e32 v2, 27, v2
	v_add_u32_e32 v1, v1, v2
	v_ashrrev_i32_e32 v1, 5, v1
	v_lshlrev_b32_e32 v1, 4, v1
	v_cmp_lt_i32_e32 vcc, 0, v0
	s_waitcnt lgkmcnt(0)
	v_max_i32_e32 v60, s80, v1
	s_and_b64 s[22:23], s[50:51], vcc
	v_mov_b32_e32 v0, 0
	s_and_saveexec_b64 s[28:29], s[22:23]
	s_cbranch_execz .LBB18_921
; %bb.744:                              ;   in Loop: Header=BB18_743 Depth=2
	v_accvgpr_read_b32 v0, a62
	v_accvgpr_read_b32 v1, a63
	v_lshl_add_u64 v[0:1], v[4:5], 0, v[0:1]
	v_lshlrev_b64 v[0:1], 1, v[0:1]
	v_accvgpr_write_b32 a33, v1
	s_mov_b32 s71, 1
	s_mov_b64 s[56:57], -1
	s_mov_b64 s[54:55], 0
	v_mov_b32_e32 v8, 0
	v_accvgpr_write_b32 a32, v0
	v_accvgpr_write_b32 a12, v43
	s_branch .LBB18_746
.LBB18_745:                             ;   in Loop: Header=BB18_746 Depth=3
	s_or_b64 exec, exec, s[22:23]
	v_add_u32_e32 v8, v60, v8
	v_cmp_ge_i32_e32 vcc, v8, v43
	s_xor_b64 s[22:23], s[56:57], -1
	s_or_b64 s[22:23], s[22:23], vcc
	s_and_b64 s[22:23], exec, s[22:23]
	s_or_b64 s[54:55], s[22:23], s[54:55]
	s_mov_b64 s[56:57], 0
	v_mov_b32_e32 v0, s71
	s_mov_b32 s71, 2
	s_andn2_b64 exec, exec, s[54:55]
	s_cbranch_execz .LBB18_994
.LBB18_746:                             ;   Parent Loop BB18_47 Depth=1
                                        ;     Parent Loop BB18_743 Depth=2
                                        ; =>    This Loop Header: Depth=3
                                        ;         Child Loop BB18_754 Depth 4
                                        ;         Child Loop BB18_780 Depth 4
	;; [unrolled: 1-line block ×9, first 2 shown]
                                        ;           Child Loop BB18_827 Depth 5
                                        ;         Child Loop BB18_836 Depth 4
                                        ;         Child Loop BB18_841 Depth 4
                                        ;           Child Loop BB18_842 Depth 5
                                        ;         Child Loop BB18_883 Depth 4
                                        ;         Child Loop BB18_906 Depth 4
	s_and_saveexec_b64 s[22:23], s[0:1]
	s_cbranch_execz .LBB18_748
; %bb.747:                              ;   in Loop: Header=BB18_746 Depth=3
	s_trap 2
	s_waitcnt lgkmcnt(0)
	ds_read_b128 v[4:7], v0
	v_accvgpr_read_b32 v55, a33
	v_ashrrev_i32_e32 v9, 31, v8
	v_accvgpr_read_b32 v54, a32
	v_lshlrev_b64 v[0:1], 1, v[8:9]
	s_waitcnt lgkmcnt(0)
	v_lshl_add_u64 v[2:3], v[4:5], 0, v[54:55]
	v_lshl_add_u64 v[4:5], v[6:7], 0, v[54:55]
	;; [unrolled: 1-line block ×3, first 2 shown]
	ds_write_b64 v0, v[2:3]
	v_lshl_add_u64 v[0:1], v[4:5], 0, v[0:1]
	v_cmp_ne_u64_e32 vcc, 0, v[6:7]
	s_nop 1
	v_cndmask_b32_e32 v1, 0, v1, vcc
	v_cndmask_b32_e32 v0, 0, v0, vcc
	ds_write_b64 v0, v[0:1]
.LBB18_748:                             ;   in Loop: Header=BB18_746 Depth=3
	s_or_b64 exec, exec, s[22:23]
	v_and_b32_e32 v0, 12, v57
	v_cmp_ne_u32_e32 vcc, 0, v0
	s_mov_b64 s[24:25], -1
	s_and_saveexec_b64 s[22:23], vcc
	s_cbranch_execz .LBB18_760
; %bb.749:                              ;   in Loop: Header=BB18_746 Depth=3
	v_and_b32_e32 v38, 8, v57
	v_lshl_add_u64 v[0:1], v[40:41], 0, v[38:39]
	v_lshl_add_u64 v[4:5], v[10:11], 0, 2
	v_cmp_lt_u64_e32 vcc, v[0:1], v[4:5]
	v_mov_b32_e32 v0, 1
	s_and_saveexec_b64 s[24:25], vcc
	s_cbranch_execz .LBB18_759
; %bb.750:                              ;   in Loop: Header=BB18_746 Depth=3
	s_mov_b64 s[26:27], 0
	v_mov_b32_e32 v0, 0
                                        ; implicit-def: $sgpr58_sgpr59
	s_branch .LBB18_754
.LBB18_751:                             ;   in Loop: Header=BB18_754 Depth=4
	s_or_b64 exec, exec, s[66:67]
	v_mov_b32_e32 v1, 0
	s_orn2_b64 s[64:65], s[64:65], exec
.LBB18_752:                             ;   in Loop: Header=BB18_754 Depth=4
	s_or_b64 exec, exec, s[62:63]
	s_andn2_b64 vcc, s[58:59], exec
	s_and_b64 s[58:59], s[64:65], exec
	s_or_b64 s[58:59], vcc, s[58:59]
	v_mov_b32_e32 v0, v1
.LBB18_753:                             ;   in Loop: Header=BB18_754 Depth=4
	s_or_b64 exec, exec, s[60:61]
	s_waitcnt vmcnt(0) lgkmcnt(0)
	v_lshl_add_u64 v[2:3], v[40:41], 0, v[38:39]
	v_cmp_ge_u64_e32 vcc, v[2:3], v[4:5]
	s_xor_b64 s[60:61], s[58:59], -1
	s_or_b64 vcc, s[60:61], vcc
	s_and_b64 vcc, exec, vcc
	s_or_b64 s[26:27], vcc, s[26:27]
	s_andn2_b64 exec, exec, s[26:27]
	s_cbranch_execz .LBB18_758
.LBB18_754:                             ;   Parent Loop BB18_47 Depth=1
                                        ;     Parent Loop BB18_743 Depth=2
                                        ;       Parent Loop BB18_746 Depth=3
                                        ; =>      This Inner Loop Header: Depth=4
	s_sleep 1
	s_waitcnt vmcnt(0)
	flat_load_dwordx2 v[40:41], v[58:59] sc0 sc1
	v_and_b32_e32 v1, 64, v57
	v_cmp_eq_u32_e32 vcc, 0, v1
	s_andn2_b64 s[58:59], s[58:59], exec
	s_and_saveexec_b64 s[60:61], vcc
	s_cbranch_execz .LBB18_753
; %bb.755:                              ;   in Loop: Header=BB18_754 Depth=4
	v_add_u32_e32 v1, 1, v0
	v_cmp_lt_i32_e32 vcc, s84, v0
	s_mov_b64 s[64:65], -1
	s_and_saveexec_b64 s[62:63], vcc
	s_cbranch_execz .LBB18_752
; %bb.756:                              ;   in Loop: Header=BB18_754 Depth=4
	s_trap 2
	ds_read_b64 v[0:1], v0
	s_waitcnt vmcnt(0) lgkmcnt(0)
	flat_load_dword v0, v[0:1] sc0 sc1
	s_waitcnt vmcnt(0) lgkmcnt(0)
	buffer_inv sc0 sc1
	v_cmp_ne_u32_e32 vcc, 0, v0
	s_and_saveexec_b64 s[66:67], vcc
	s_cbranch_execz .LBB18_751
; %bb.757:                              ;   in Loop: Header=BB18_754 Depth=4
	v_or_b32_e32 v57, 64, v57
	s_xor_b64 s[64:65], exec, -1
	ds_write_b32 v0, v0
	s_trap 2
	s_branch .LBB18_751
.LBB18_758:                             ;   in Loop: Header=BB18_746 Depth=3
	s_or_b64 exec, exec, s[26:27]
	v_and_b32_e32 v0, 12, v57
.LBB18_759:                             ;   in Loop: Header=BB18_746 Depth=3
	s_or_b64 exec, exec, s[24:25]
	v_cmp_eq_u32_e32 vcc, 0, v0
	s_orn2_b64 s[24:25], vcc, exec
	;;#ASMSTART
	s_wakeup
	;;#ASMEND
.LBB18_760:                             ;   in Loop: Header=BB18_746 Depth=3
	s_or_b64 exec, exec, s[22:23]
	v_sub_u32_e32 v0, v43, v8
	s_xor_b64 s[22:23], s[24:25], -1
	v_min_i32_e32 v60, v60, v0
	s_and_saveexec_b64 s[24:25], s[22:23]
	s_cbranch_execz .LBB18_772
; %bb.761:                              ;   in Loop: Header=BB18_746 Depth=3
	v_and_b32_e32 v0, 0x108, v57
	v_cmp_ne_u32_e32 vcc, s86, v0
	v_and_b32_e32 v2, 7, v10
	s_and_saveexec_b64 s[22:23], vcc
	s_xor_b64 s[22:23], exec, s[22:23]
	s_andn2_saveexec_b64 s[22:23], s[22:23]
	s_cbranch_execz .LBB18_763
; %bb.762:                              ;   in Loop: Header=BB18_746 Depth=3
	v_accvgpr_read_b32 v0, a16
	v_accvgpr_read_b32 v1, a17
	v_ashrrev_i32_e32 v61, 31, v60
	v_mad_u64_u32 v[0:1], s[26:27], v2, 24, v[0:1]
	v_lshlrev_b64 v[4:5], 1, v[60:61]
	flat_store_dwordx2 v[0:1], v[4:5] offset:8
.LBB18_763:                             ;   in Loop: Header=BB18_746 Depth=3
	s_or_b64 exec, exec, s[22:23]
	v_and_b32_e32 v0, 0x100, v57
	v_cmp_ne_u32_e32 vcc, 0, v0
	s_mov_b64 s[22:23], -1
                                        ; implicit-def: $vgpr4_vgpr5
	s_and_saveexec_b64 s[26:27], vcc
	s_cbranch_execz .LBB18_767
; %bb.764:                              ;   in Loop: Header=BB18_746 Depth=3
	v_accvgpr_read_b32 v0, a16
	v_accvgpr_read_b32 v1, a17
	s_waitcnt lgkmcnt(0)
	v_mad_u64_u32 v[6:7], s[22:23], v2, 24, v[0:1]
	v_mov_b32_e32 v0, v7
	v_mad_u64_u32 v[0:1], s[22:23], v39, 24, v[0:1]
	v_mov_b32_e32 v7, v0
	flat_load_dword v0, v[6:7]
                                        ; implicit-def: $vgpr4_vgpr5
	s_waitcnt vmcnt(0) lgkmcnt(0)
	v_cmp_ne_u32_e32 vcc, 1, v0
	v_cmp_eq_u32_e64 s[22:23], 1, v0
	s_and_saveexec_b64 s[58:59], s[22:23]
	s_cbranch_execz .LBB18_766
; %bb.765:                              ;   in Loop: Header=BB18_746 Depth=3
	flat_load_dword v0, v[6:7] offset:4 sc0 sc1
	s_waitcnt vmcnt(0) lgkmcnt(0)
	v_ashrrev_i32_e32 v1, 31, v0
	v_lshrrev_b64 v[4:5], 1, v[0:1]
.LBB18_766:                             ;   in Loop: Header=BB18_746 Depth=3
	s_or_b64 exec, exec, s[58:59]
	s_orn2_b64 s[22:23], vcc, exec
.LBB18_767:                             ;   in Loop: Header=BB18_746 Depth=3
	s_or_b64 exec, exec, s[26:27]
	s_and_saveexec_b64 s[26:27], s[22:23]
; %bb.768:                              ;   in Loop: Header=BB18_746 Depth=3
	v_mul_lo_u32 v0, v39, v16
	v_mul_lo_u32 v1, v2, v35
	v_mad_u64_u32 v[4:5], s[22:23], v2, v16, 0
	v_add3_u32 v5, v5, v1, v0
; %bb.769:                              ;   in Loop: Header=BB18_746 Depth=3
	s_or_b64 exec, exec, s[26:27]
	v_lshl_add_u64 v[0:1], v[4:5], 1, v[48:49]
	s_trap 2
	ds_write_b64 v0, v[0:1]
	v_and_b32_e32 v0, 0x2000, v57
	v_cmp_ne_u32_e32 vcc, 0, v0
	s_and_saveexec_b64 s[22:23], vcc
	s_cbranch_execz .LBB18_771
; %bb.770:                              ;   in Loop: Header=BB18_746 Depth=3
	ds_read_b64 v[0:1], v0 offset:584
	s_waitcnt lgkmcnt(0)
	v_lshl_add_u64 v[0:1], v[0:1], 0, 1
	ds_write_b64 v0, v[0:1] offset:584
.LBB18_771:                             ;   in Loop: Header=BB18_746 Depth=3
	s_or_b64 exec, exec, s[22:23]
	v_lshl_add_u64 v[10:11], v[10:11], 0, 2
.LBB18_772:                             ;   in Loop: Header=BB18_746 Depth=3
	s_or_b64 exec, exec, s[24:25]
	s_and_saveexec_b64 s[22:23], s[4:5]
	s_cbranch_execz .LBB18_791
; %bb.773:                              ;   in Loop: Header=BB18_746 Depth=3
	s_and_saveexec_b64 s[24:25], s[38:39]
	s_xor_b64 s[24:25], exec, s[24:25]
	s_cbranch_execz .LBB18_788
; %bb.774:                              ;   in Loop: Header=BB18_746 Depth=3
	s_and_saveexec_b64 s[26:27], s[12:13]
	s_cbranch_execz .LBB18_787
; %bb.775:                              ;   in Loop: Header=BB18_746 Depth=3
	s_mov_b64 s[60:61], exec
	v_mbcnt_lo_u32_b32 v0, s60, 0
	v_mbcnt_hi_u32_b32 v0, s61, v0
	v_cmp_eq_u32_e32 vcc, 0, v0
	s_waitcnt lgkmcnt(0)
	s_and_saveexec_b64 s[58:59], vcc
	s_cbranch_execz .LBB18_777
; %bb.776:                              ;   in Loop: Header=BB18_746 Depth=3
	s_bcnt1_i32_b64 vcc_lo, s[60:61]
	v_mov_b32_e32 v38, vcc_lo
	ds_add_u64 v0, v[38:39]
	s_trap 2
.LBB18_777:                             ;   in Loop: Header=BB18_746 Depth=3
	s_or_b64 exec, exec, s[58:59]
	s_trap 2
	ds_read_b64 v[0:1], v0
	v_lshl_add_u64 v[46:47], v[46:47], 0, v[36:37]
	s_waitcnt lgkmcnt(0)
	v_cmp_lt_u64_e32 vcc, v[0:1], v[46:47]
	s_and_saveexec_b64 s[58:59], vcc
	s_cbranch_execz .LBB18_786
; %bb.778:                              ;   in Loop: Header=BB18_746 Depth=3
	s_mov_b32 s97, 0
	s_mov_b64 s[60:61], 0
                                        ; implicit-def: $sgpr62_sgpr63
                                        ; implicit-def: $sgpr64_sgpr65
	s_branch .LBB18_780
.LBB18_779:                             ;   in Loop: Header=BB18_780 Depth=4
	s_or_b64 exec, exec, s[68:69]
	s_and_b64 vcc, exec, vcc
	s_or_b64 s[60:61], vcc, s[60:61]
	s_andn2_b64 vcc, s[62:63], exec
	s_and_b64 s[62:63], s[64:65], exec
	s_or_b64 s[62:63], vcc, s[62:63]
	s_andn2_b64 exec, exec, s[60:61]
	s_cbranch_execz .LBB18_784
.LBB18_780:                             ;   Parent Loop BB18_47 Depth=1
                                        ;     Parent Loop BB18_743 Depth=2
                                        ;       Parent Loop BB18_746 Depth=3
                                        ; =>      This Inner Loop Header: Depth=4
	s_add_i32 s97, s97, 1
	s_cmpk_lg_i32 s97, 0x2710
	s_cselect_b64 s[66:67], -1, 0
	s_and_b64 vcc, exec, s[66:67]
                                        ; implicit-def: $sgpr68_sgpr69
	s_cbranch_vccnz .LBB18_782
; %bb.781:                              ;   in Loop: Header=BB18_780 Depth=4
	s_trap 2
	ds_read_b64 v[0:1], v0
	s_andn2_b64 s[66:67], s[66:67], exec
	s_mov_b32 s97, 0
	s_mov_b64 s[68:69], -1
	s_waitcnt vmcnt(0) lgkmcnt(0)
	flat_load_dword v0, v[0:1] sc0 sc1
	s_waitcnt vmcnt(0) lgkmcnt(0)
	buffer_inv sc0 sc1
	v_cmp_eq_u32_e32 vcc, 0, v0
	s_and_b64 vcc, vcc, exec
	s_or_b64 s[66:67], s[66:67], vcc
.LBB18_782:                             ;   in Loop: Header=BB18_780 Depth=4
	s_andn2_b64 s[64:65], s[64:65], exec
	s_and_b64 s[68:69], s[68:69], exec
	s_mov_b64 vcc, -1
	s_or_b64 s[64:65], s[64:65], s[68:69]
	s_and_saveexec_b64 s[68:69], s[66:67]
	s_cbranch_execz .LBB18_779
; %bb.783:                              ;   in Loop: Header=BB18_780 Depth=4
	s_sleep 1
	s_trap 2
	ds_read_b64 v[0:1], v0
	s_andn2_b64 s[64:65], s[64:65], exec
	s_waitcnt lgkmcnt(0)
	v_cmp_ge_u64_e32 vcc, v[0:1], v[46:47]
	s_orn2_b64 vcc, vcc, exec
	s_branch .LBB18_779
.LBB18_784:                             ;   in Loop: Header=BB18_746 Depth=3
	s_or_b64 exec, exec, s[60:61]
	s_and_saveexec_b64 vcc, s[62:63]
	s_xor_b64 vcc, exec, vcc
	s_cbranch_execz .LBB18_786
; %bb.785:                              ;   in Loop: Header=BB18_746 Depth=3
	ds_write_b32 v0, v15
	s_trap 2
.LBB18_786:                             ;   in Loop: Header=BB18_746 Depth=3
	s_or_b64 exec, exec, s[58:59]
	;;#ASMSTART
	s_wakeup
	;;#ASMEND
.LBB18_787:                             ;   in Loop: Header=BB18_746 Depth=3
	s_or_b64 exec, exec, s[26:27]
.LBB18_788:                             ;   in Loop: Header=BB18_746 Depth=3
	s_andn2_saveexec_b64 s[24:25], s[24:25]
	s_cbranch_execz .LBB18_790
; %bb.789:                              ;   in Loop: Header=BB18_746 Depth=3
	s_waitcnt lgkmcnt(0)
	s_barrier
.LBB18_790:                             ;   in Loop: Header=BB18_746 Depth=3
	s_or_b64 exec, exec, s[24:25]
.LBB18_791:                             ;   in Loop: Header=BB18_746 Depth=3
	s_or_b64 exec, exec, s[22:23]
	s_trap 2
	ds_read_b32 v0, v0
	v_and_b32_e32 v1, 0x4000, v57
	v_cmp_ne_u32_e32 vcc, 0, v1
	s_xor_b64 s[22:23], s[2:3], -1
	s_and_b64 s[24:25], s[22:23], vcc
	s_and_saveexec_b64 s[22:23], s[24:25]
	s_cbranch_execz .LBB18_810
; %bb.792:                              ;   in Loop: Header=BB18_746 Depth=3
	s_and_saveexec_b64 s[24:25], s[38:39]
	s_xor_b64 s[24:25], exec, s[24:25]
	s_cbranch_execz .LBB18_807
; %bb.793:                              ;   in Loop: Header=BB18_746 Depth=3
	s_and_saveexec_b64 s[26:27], s[12:13]
	s_cbranch_execz .LBB18_806
; %bb.794:                              ;   in Loop: Header=BB18_746 Depth=3
	s_mov_b64 s[60:61], exec
	v_mbcnt_lo_u32_b32 v1, s60, 0
	v_mbcnt_hi_u32_b32 v1, s61, v1
	v_cmp_eq_u32_e32 vcc, 0, v1
	s_waitcnt lgkmcnt(0)
	s_and_saveexec_b64 s[58:59], vcc
	s_cbranch_execz .LBB18_796
; %bb.795:                              ;   in Loop: Header=BB18_746 Depth=3
	s_bcnt1_i32_b64 vcc_lo, s[60:61]
	v_mov_b32_e32 v38, vcc_lo
	ds_add_u64 v0, v[38:39]
	s_trap 2
.LBB18_796:                             ;   in Loop: Header=BB18_746 Depth=3
	s_or_b64 exec, exec, s[58:59]
	s_trap 2
	ds_read_b64 v[2:3], v0
	v_lshl_add_u64 v[46:47], v[46:47], 0, v[36:37]
	s_waitcnt lgkmcnt(0)
	v_cmp_lt_u64_e32 vcc, v[2:3], v[46:47]
	s_and_saveexec_b64 s[58:59], vcc
	s_cbranch_execz .LBB18_805
; %bb.797:                              ;   in Loop: Header=BB18_746 Depth=3
	s_mov_b32 s97, 0
	s_mov_b64 s[60:61], 0
                                        ; implicit-def: $sgpr62_sgpr63
                                        ; implicit-def: $sgpr64_sgpr65
	s_branch .LBB18_799
.LBB18_798:                             ;   in Loop: Header=BB18_799 Depth=4
	s_or_b64 exec, exec, s[68:69]
	s_and_b64 vcc, exec, vcc
	s_or_b64 s[60:61], vcc, s[60:61]
	s_andn2_b64 vcc, s[62:63], exec
	s_and_b64 s[62:63], s[64:65], exec
	s_or_b64 s[62:63], vcc, s[62:63]
	s_andn2_b64 exec, exec, s[60:61]
	s_cbranch_execz .LBB18_803
.LBB18_799:                             ;   Parent Loop BB18_47 Depth=1
                                        ;     Parent Loop BB18_743 Depth=2
                                        ;       Parent Loop BB18_746 Depth=3
                                        ; =>      This Inner Loop Header: Depth=4
	s_add_i32 s97, s97, 1
	s_cmpk_lg_i32 s97, 0x2710
	s_cselect_b64 s[66:67], -1, 0
	s_and_b64 vcc, exec, s[66:67]
                                        ; implicit-def: $sgpr68_sgpr69
	s_cbranch_vccnz .LBB18_801
; %bb.800:                              ;   in Loop: Header=BB18_799 Depth=4
	s_trap 2
	ds_read_b64 v[2:3], v0
	s_andn2_b64 s[66:67], s[66:67], exec
	s_mov_b32 s97, 0
	s_mov_b64 s[68:69], -1
	s_waitcnt vmcnt(0) lgkmcnt(0)
	flat_load_dword v1, v[2:3] sc0 sc1
	s_waitcnt vmcnt(0) lgkmcnt(0)
	buffer_inv sc0 sc1
	v_cmp_eq_u32_e32 vcc, 0, v1
	s_and_b64 vcc, vcc, exec
	s_or_b64 s[66:67], s[66:67], vcc
.LBB18_801:                             ;   in Loop: Header=BB18_799 Depth=4
	s_andn2_b64 s[64:65], s[64:65], exec
	s_and_b64 s[68:69], s[68:69], exec
	s_mov_b64 vcc, -1
	s_or_b64 s[64:65], s[64:65], s[68:69]
	s_and_saveexec_b64 s[68:69], s[66:67]
	s_cbranch_execz .LBB18_798
; %bb.802:                              ;   in Loop: Header=BB18_799 Depth=4
	s_sleep 1
	s_trap 2
	ds_read_b64 v[2:3], v0
	s_andn2_b64 s[64:65], s[64:65], exec
	s_waitcnt lgkmcnt(0)
	v_cmp_ge_u64_e32 vcc, v[2:3], v[46:47]
	s_orn2_b64 vcc, vcc, exec
	s_branch .LBB18_798
.LBB18_803:                             ;   in Loop: Header=BB18_746 Depth=3
	s_or_b64 exec, exec, s[60:61]
	s_and_saveexec_b64 vcc, s[62:63]
	s_xor_b64 vcc, exec, vcc
	s_cbranch_execz .LBB18_805
; %bb.804:                              ;   in Loop: Header=BB18_746 Depth=3
	ds_write_b32 v0, v15
	s_trap 2
.LBB18_805:                             ;   in Loop: Header=BB18_746 Depth=3
	s_or_b64 exec, exec, s[58:59]
	;;#ASMSTART
	s_wakeup
	;;#ASMEND
.LBB18_806:                             ;   in Loop: Header=BB18_746 Depth=3
	s_or_b64 exec, exec, s[26:27]
.LBB18_807:                             ;   in Loop: Header=BB18_746 Depth=3
	s_andn2_saveexec_b64 s[24:25], s[24:25]
	s_cbranch_execz .LBB18_809
; %bb.808:                              ;   in Loop: Header=BB18_746 Depth=3
	s_waitcnt lgkmcnt(0)
	s_barrier
.LBB18_809:                             ;   in Loop: Header=BB18_746 Depth=3
	s_or_b64 exec, exec, s[24:25]
.LBB18_810:                             ;   in Loop: Header=BB18_746 Depth=3
	s_or_b64 exec, exec, s[22:23]
	s_trap 2
	s_waitcnt lgkmcnt(0)
	ds_read_b64 v[2:3], v0
	v_mov_b32_e32 v61, 0
	s_waitcnt lgkmcnt(0)
	v_readfirstlane_b32 s22, v2
	v_readfirstlane_b32 s23, v3
	s_cmp_eq_u64 s[22:23], 0
	s_cselect_b64 s[22:23], -1, 0
	s_or_b64 s[22:23], s[22:23], s[22:23]
	s_and_b64 vcc, exec, s[22:23]
	s_cbranch_vccnz .LBB18_875
; %bb.811:                              ;   in Loop: Header=BB18_746 Depth=3
	s_trap 2
	ds_read_b64 v[2:3], v0
	v_cmp_eq_u32_e64 s[22:23], 0, v0
	s_waitcnt lgkmcnt(0)
	v_cmp_ne_u64_e32 vcc, 0, v[2:3]
	v_cndmask_b32_e64 v61, 0, v60, s[22:23]
	s_cbranch_vccz .LBB18_818
; %bb.812:                              ;   in Loop: Header=BB18_746 Depth=3
	s_trap 2
	ds_read_b64 v[6:7], v0
	s_mov_b64 s[24:25], -1
	s_and_saveexec_b64 s[22:23], s[16:17]
	s_cbranch_execz .LBB18_814
; %bb.813:                              ;   in Loop: Header=BB18_746 Depth=3
	ds_read_b32 v0, v0 offset:720
	s_waitcnt lgkmcnt(0)
	v_and_b32_e32 v0, 15, v0
	v_cmp_eq_u32_e32 vcc, 0, v0
	s_orn2_b64 s[24:25], vcc, exec
.LBB18_814:                             ;   in Loop: Header=BB18_746 Depth=3
	s_or_b64 exec, exec, s[22:23]
	s_and_saveexec_b64 s[22:23], s[18:19]
	s_cbranch_execz .LBB18_816
; %bb.815:                              ;   in Loop: Header=BB18_746 Depth=3
	ds_read_b32 v0, v0 offset:784
	s_waitcnt lgkmcnt(0)
	v_and_b32_e32 v0, 15, v0
	v_cmp_eq_u32_e32 vcc, 0, v0
	s_and_b64 s[26:27], s[24:25], vcc
	s_andn2_b64 s[24:25], s[24:25], exec
	s_and_b64 s[26:27], s[26:27], exec
	s_or_b64 s[24:25], s[24:25], s[26:27]
.LBB18_816:                             ;   in Loop: Header=BB18_746 Depth=3
	s_or_b64 exec, exec, s[22:23]
	s_xor_b64 s[24:25], s[24:25], -1
	v_cndmask_b32_e64 v0, 0, 1, s[24:25]
	v_lshlrev_b32_e32 v51, 1, v61
	s_mov_b64 s[22:23], -1
	;;#ASMSTART
	;;#ASMEND
	v_mov_b32_e32 v2, 0
	v_cmp_ne_u32_e32 vcc, 0, v0
	s_cbranch_vccz .LBB18_819
; %bb.817:                              ;   in Loop: Header=BB18_746 Depth=3
	v_accvgpr_write_b32 a26, v8
	v_mov_b32_e32 v1, v56
	s_waitcnt vmcnt(0)
	v_mov_b32_e32 v8, v34
	s_and_saveexec_b64 s[26:27], s[22:23]
	s_cbranch_execnz .LBB18_834
	s_branch .LBB18_845
.LBB18_818:                             ;   in Loop: Header=BB18_746 Depth=3
	s_cbranch_execnz .LBB18_846
	s_branch .LBB18_875
.LBB18_819:                             ;   in Loop: Header=BB18_746 Depth=3
	v_ashrrev_i32_e32 v0, 31, v51
	v_lshrrev_b32_e32 v0, 20, v0
	v_add_u32_e32 v0, v51, v0
	v_ashrrev_i32_e32 v1, 12, v0
	s_waitcnt vmcnt(0)
	v_sub_u32_e32 v0, v1, v34
	v_cmp_lt_i32_e32 vcc, 0, v0
	s_and_saveexec_b64 s[22:23], vcc
	s_cbranch_execz .LBB18_823
; %bb.820:                              ;   in Loop: Header=BB18_746 Depth=3
	v_accvgpr_write_b32 a15, v11
	v_accvgpr_write_b32 a0, v8
	;; [unrolled: 1-line block ×3, first 2 shown]
	s_trap 2
	ds_read_b128 v[8:11], v0
	ds_read_b64 v[4:5], v0
	v_accvgpr_write_b32 a4, v40
	v_accvgpr_write_b32 a3, v39
	;; [unrolled: 1-line block ×3, first 2 shown]
	s_mov_b64 s[24:25], 0
	s_waitcnt lgkmcnt(0)
	v_lshl_add_u64 v[54:55], v[8:9], 0, v[18:19]
	v_lshl_add_u64 v[44:45], v[10:11], 0, v[18:19]
	v_mov_b64_e32 v[30:31], v[6:7]
.LBB18_821:                             ;   Parent Loop BB18_47 Depth=1
                                        ;     Parent Loop BB18_743 Depth=2
                                        ;       Parent Loop BB18_746 Depth=3
                                        ; =>      This Inner Loop Header: Depth=4
	v_lshl_add_u64 v[20:21], v[18:19], 0, v[4:5]
	v_lshl_add_u64 v[2:3], v[18:19], 0, v[30:31]
	global_load_dwordx4 v[8:11], v[20:21], off nt
	global_load_dwordx4 v[12:15], v[20:21], off offset:1024 nt
	global_load_dwordx4 v[36:39], v[2:3], off offset:1024 nt
	;; [unrolled: 1-line block ×4, first 2 shown]
	s_nop 0
	global_load_dwordx4 v[20:23], v[20:21], off offset:3072 nt
	s_nop 0
	global_load_dwordx4 v[24:27], v[2:3], off offset:3072 nt
	global_load_dwordx4 v[40:43], v[2:3], off nt
	s_waitcnt vmcnt(0)
	v_mul_f16_e32 v2, v8, v40
	v_mul_f16_sdwa v3, v8, v40 dst_sel:WORD_1 dst_unused:UNUSED_PAD src0_sel:WORD_1 src1_sel:WORD_1
	v_mul_f16_e32 v28, v9, v41
	v_or_b32_e32 v40, v3, v2
	v_mul_f16_e32 v2, v10, v42
	v_mul_f16_sdwa v3, v10, v42 dst_sel:WORD_1 dst_unused:UNUSED_PAD src0_sel:WORD_1 src1_sel:WORD_1
	v_mul_f16_sdwa v29, v9, v41 dst_sel:WORD_1 dst_unused:UNUSED_PAD src0_sel:WORD_1 src1_sel:WORD_1
	v_or_b32_e32 v42, v3, v2
	v_mul_f16_e32 v2, v12, v36
	v_mul_f16_sdwa v3, v12, v36 dst_sel:WORD_1 dst_unused:UNUSED_PAD src0_sel:WORD_1 src1_sel:WORD_1
	v_or_b32_e32 v41, v29, v28
	v_mul_f16_e32 v28, v11, v43
	;; [unrolled: 3-line block ×9, first 2 shown]
	v_mul_f16_sdwa v3, v20, v24 dst_sel:WORD_1 dst_unused:UNUSED_PAD src0_sel:WORD_1 src1_sel:WORD_1
	v_mul_f16_e32 v24, v21, v25
	v_mul_f16_sdwa v25, v21, v25 dst_sel:WORD_1 dst_unused:UNUSED_PAD src0_sel:WORD_1 src1_sel:WORD_1
	v_or_b32_e32 v33, v29, v28
	v_mul_f16_e32 v28, v19, v35
	v_mul_f16_sdwa v29, v19, v35 dst_sel:WORD_1 dst_unused:UNUSED_PAD src0_sel:WORD_1 src1_sel:WORD_1
	v_or_b32_e32 v25, v25, v24
	v_or_b32_e32 v24, v3, v2
	v_mul_f16_e32 v2, v22, v26
	v_mul_f16_sdwa v3, v22, v26 dst_sel:WORD_1 dst_unused:UNUSED_PAD src0_sel:WORD_1 src1_sel:WORD_1
	v_mul_f16_e32 v26, v23, v27
	v_mul_f16_sdwa v27, v23, v27 dst_sel:WORD_1 dst_unused:UNUSED_PAD src0_sel:WORD_1 src1_sel:WORD_1
	v_or_b32_e32 v35, v29, v28
	v_or_b32_e32 v27, v27, v26
	;; [unrolled: 1-line block ×3, first 2 shown]
	global_store_dwordx4 v[54:55], v[40:43], off nt
	global_store_dwordx4 v[54:55], v[36:39], off offset:1024 nt
	global_store_dwordx4 v[54:55], v[32:35], off offset:2048 nt
	;; [unrolled: 1-line block ×3, first 2 shown]
	global_store_dwordx4 v[44:45], v[8:11], off nt
	global_store_dwordx4 v[44:45], v[12:15], off offset:1024 nt
	global_store_dwordx4 v[44:45], v[16:19], off offset:2048 nt
	scratch_load_dwordx2 v[2:3], off, s33 offset:184 ; 8-byte Folded Reload
	v_accvgpr_read_b32 v37, a31
	v_accvgpr_read_b32 v36, a30
	v_sub_u32_e32 v0, v0, v36
	v_accvgpr_read_b32 v18, a50
	v_cmp_gt_i32_e32 vcc, 1, v0
	v_accvgpr_read_b32 v19, a51
	global_store_dwordx4 v[44:45], v[20:23], off offset:3072 nt
	s_or_b64 s[24:25], vcc, s[24:25]
	s_waitcnt vmcnt(1)
	v_lshl_add_u64 v[54:55], v[54:55], 0, v[2:3]
	v_lshl_add_u64 v[44:45], v[44:45], 0, v[2:3]
	;; [unrolled: 1-line block ×4, first 2 shown]
	s_andn2_b64 exec, exec, s[24:25]
	s_cbranch_execnz .LBB18_821
; %bb.822:                              ;   in Loop: Header=BB18_746 Depth=3
	s_or_b64 exec, exec, s[24:25]
	scratch_load_dword v28, off, s33 offset:204 ; 4-byte Folded Reload
	scratch_load_dword v34, off, s33 offset:200 ; 4-byte Folded Reload
	scratch_load_dwordx2 v[22:23], off, s33 offset:192 ; 8-byte Folded Reload
	v_accvgpr_mov_b32 a17, a11
	v_accvgpr_read_b32 v41, a5
	v_accvgpr_read_b32 v26, a38
	;; [unrolled: 1-line block ×7, first 2 shown]
	v_accvgpr_mov_b32 a16, a10
	v_accvgpr_read_b32 v16, a20
	v_accvgpr_read_b32 v40, a4
	;; [unrolled: 1-line block ×9, first 2 shown]
	v_mov_b32_e32 v15, 1
	v_accvgpr_read_b32 v11, a15
	v_accvgpr_read_b32 v43, a12
	;; [unrolled: 1-line block ×3, first 2 shown]
.LBB18_823:                             ;   in Loop: Header=BB18_746 Depth=3
	s_or_b64 exec, exec, s[22:23]
	v_lshlrev_b32_e32 v20, 12, v1
	v_accvgpr_write_b32 a26, v8
	v_cmp_ne_u32_e32 vcc, v51, v20
	s_mov_b64 s[22:23], 0
	v_mov_b32_e32 v2, 0
                                        ; implicit-def: $vgpr1
                                        ; implicit-def: $vgpr8
	s_and_saveexec_b64 s[58:59], vcc
	s_cbranch_execz .LBB18_833
; %bb.824:                              ;   in Loop: Header=BB18_746 Depth=3
	scratch_load_dword v1, off, s33 offset:212 ; 4-byte Folded Reload
	v_lshlrev_b32_e32 v0, 6, v0
	v_sub_u32_e32 v3, v51, v20
	v_ashrrev_i32_e32 v5, 31, v3
	v_lshrrev_b32_e32 v5, 22, v5
	v_add_u32_e32 v5, v3, v5
	s_waitcnt vmcnt(0)
	v_and_b32_e32 v22, 0xfffffc00, v5
	v_sub_u32_e32 v24, v3, v22
	v_ashrrev_i32_e32 v8, 10, v5
	v_cmp_lt_i32_e64 s[22:23], 15, v24
	v_sub_u32_e32 v0, v1, v0
	v_ashrrev_i32_e32 v1, 31, v0
	v_lshrrev_b32_e32 v1, 26, v1
	v_add_u32_e32 v1, v0, v1
	v_ashrrev_i32_e32 v4, 6, v1
	v_and_b32_e32 v1, 0xffffffc0, v1
	v_sub_u32_e32 v0, v0, v1
	v_lshlrev_b32_e32 v1, 4, v0
	v_lshl_add_u32 v2, v4, 10, v1
	v_sub_u32_e32 v1, v3, v2
	v_addc_co_u32_e64 v3, vcc, 0, v8, s[22:23]
	v_sub_u32_e32 v23, v3, v4
	v_cmp_lt_i32_e32 vcc, 15, v1
	s_and_saveexec_b64 s[60:61], vcc
	s_cbranch_execz .LBB18_830
; %bb.825:                              ;   in Loop: Header=BB18_746 Depth=3
	v_mov_b64_e32 v[54:55], v[10:11]
	s_trap 2
	ds_read_b64 v[4:5], v0
	ds_read_b128 v[8:11], v0
	v_add_u32_e32 v2, v2, v20
	v_ashrrev_i32_e32 v3, 31, v2
	v_mov_b32_e32 v38, v16
	s_waitcnt lgkmcnt(1)
	v_lshl_add_u64 v[4:5], v[4:5], 0, v[2:3]
	v_lshl_add_u64 v[12:13], v[2:3], 0, v[6:7]
	s_waitcnt lgkmcnt(0)
	v_lshl_add_u64 v[14:15], v[8:9], 0, v[2:3]
	v_lshl_add_u64 v[16:17], v[10:11], 0, v[2:3]
	s_mov_b64 s[62:63], 0
.LBB18_826:                             ;   Parent Loop BB18_47 Depth=1
                                        ;     Parent Loop BB18_743 Depth=2
                                        ;       Parent Loop BB18_746 Depth=3
                                        ; =>      This Loop Header: Depth=4
                                        ;           Child Loop BB18_827 Depth 5
	global_load_dwordx4 v[8:11], v[4:5], off nt
	global_load_dwordx4 v[26:29], v[12:13], off nt
	s_mov_b64 s[66:67], -1
	s_mov_b64 s[64:65], 0
	s_waitcnt vmcnt(0)
	v_mul_f16_e32 v2, v8, v26
	v_mul_f16_sdwa v3, v8, v26 dst_sel:WORD_1 dst_unused:UNUSED_PAD src0_sel:WORD_1 src1_sel:WORD_1
	v_mul_f16_e32 v18, v9, v27
	v_mul_f16_sdwa v19, v9, v27 dst_sel:WORD_1 dst_unused:UNUSED_PAD src0_sel:WORD_1 src1_sel:WORD_1
	v_mul_f16_e32 v25, v10, v28
	v_mul_f16_sdwa v26, v10, v28 dst_sel:WORD_1 dst_unused:UNUSED_PAD src0_sel:WORD_1 src1_sel:WORD_1
	v_mul_f16_e32 v21, v11, v29
	v_mul_f16_sdwa v27, v11, v29 dst_sel:WORD_1 dst_unused:UNUSED_PAD src0_sel:WORD_1 src1_sel:WORD_1
	v_or_b32_e32 v19, v19, v18
	v_or_b32_e32 v2, v3, v2
	;; [unrolled: 1-line block ×4, first 2 shown]
.LBB18_827:                             ;   Parent Loop BB18_47 Depth=1
                                        ;     Parent Loop BB18_743 Depth=2
                                        ;       Parent Loop BB18_746 Depth=3
                                        ;         Parent Loop BB18_826 Depth=4
                                        ; =>        This Inner Loop Header: Depth=5
	v_cndmask_b32_e64 v3, 0, 1, s[66:67]
	v_cndmask_b32_e64 v27, v9, v19, s[66:67]
	v_readfirstlane_b32 s24, v3
	s_cmp_lg_u32 s24, 1
	s_cselect_b64 vcc, -1, 0
	s_cmp_eq_u32 s64, 1
	s_cselect_b64 s[24:25], -1, 0
	v_cndmask_b32_e64 v26, v8, v2, s[66:67]
	v_cndmask_b32_e64 v29, v11, v21, s[66:67]
	;; [unrolled: 1-line block ×3, first 2 shown]
	v_cndmask_b32_e32 v31, v15, v17, vcc
	v_cndmask_b32_e32 v30, v14, v16, vcc
	v_cndmask_b32_e64 v33, v15, v17, s[24:25]
	s_cmp_eq_u32 s64, 0
	v_cndmask_b32_e64 v32, v14, v16, s[24:25]
	global_store_dwordx4 v[30:31], v[26:29], off nt
	s_cselect_b64 s[26:27], -1, 0
	s_mov_b64 s[66:67], 0
	v_lshl_add_u64 v[26:27], v[32:33], 0, s[40:41]
	s_mov_b64 s[64:65], 1
	s_and_b64 vcc, exec, vcc
	v_cndmask_b32_e64 v17, v17, v27, s[24:25]
	v_cndmask_b32_e64 v16, v16, v26, s[24:25]
	;; [unrolled: 1-line block ×4, first 2 shown]
	s_cbranch_vccz .LBB18_827
; %bb.828:                              ;   in Loop: Header=BB18_826 Depth=4
	v_accvgpr_read_b32 v2, a36
	v_accvgpr_read_b32 v32, a46
	v_sub_u32_e32 v1, v1, v50
	v_accvgpr_read_b32 v3, a37
	v_accvgpr_read_b32 v33, a47
	v_cmp_gt_i32_e32 vcc, 16, v1
	v_lshl_add_u64 v[14:15], v[14:15], 0, v[2:3]
	v_lshl_add_u64 v[16:17], v[16:17], 0, v[2:3]
	;; [unrolled: 1-line block ×4, first 2 shown]
	s_or_b64 s[62:63], vcc, s[62:63]
	v_sub_u32_e32 v23, v23, v36
	s_andn2_b64 exec, exec, s[62:63]
	s_cbranch_execnz .LBB18_826
; %bb.829:                              ;   in Loop: Header=BB18_746 Depth=3
	s_or_b64 exec, exec, s[62:63]
	scratch_load_dword v28, off, s33 offset:204 ; 4-byte Folded Reload
	v_accvgpr_read_b32 v26, a38
	v_accvgpr_read_b32 v30, a42
	;; [unrolled: 1-line block ×8, first 2 shown]
	v_mov_b32_e32 v15, 1
	v_mov_b64_e32 v[10:11], v[54:55]
	v_mov_b32_e32 v16, v38
.LBB18_830:                             ;   in Loop: Header=BB18_746 Depth=3
	s_or_b64 exec, exec, s[60:61]
	v_and_b32_e32 v4, 14, v51
	v_cndmask_b32_e64 v51, v24, v4, s[22:23]
	v_cmp_ne_u32_e32 vcc, 0, v51
	s_mov_b64 s[24:25], 0
	v_mov_b32_e32 v2, 0
                                        ; implicit-def: $vgpr1
                                        ; implicit-def: $vgpr8
	s_and_saveexec_b64 s[26:27], vcc
	s_cbranch_execz .LBB18_832
; %bb.831:                              ;   in Loop: Header=BB18_746 Depth=3
	v_sub_u32_e32 v1, v24, v4
	v_cndmask_b32_e64 v1, 0, v1, s[22:23]
	v_cmp_lt_i32_e32 vcc, 0, v23
	v_add3_u32 v2, v22, v20, v1
	s_mov_b64 s[24:25], exec
	v_cndmask_b32_e32 v1, 0, v36, vcc
	v_sub_u32_e32 v1, v1, v23
	v_lshl_add_u32 v1, v1, 6, v0
	v_ashrrev_i32_e32 v0, 31, v1
	v_lshrrev_b32_e32 v0, 26, v0
	v_add_u32_e32 v0, v1, v0
	v_ashrrev_i32_e32 v8, 6, v0
.LBB18_832:                             ;   in Loop: Header=BB18_746 Depth=3
	s_or_b64 exec, exec, s[26:27]
	scratch_load_dwordx2 v[22:23], off, s33 offset:192 ; 8-byte Folded Reload
	v_accvgpr_read_b32 v24, a48
	s_and_b64 s[22:23], s[24:25], exec
	v_accvgpr_read_b32 v25, a49
.LBB18_833:                             ;   in Loop: Header=BB18_746 Depth=3
	s_or_b64 exec, exec, s[58:59]
	scratch_load_dwordx2 v[20:21], off, s33 offset:184 ; 8-byte Folded Reload
	s_and_saveexec_b64 s[26:27], s[22:23]
	s_cbranch_execz .LBB18_845
.LBB18_834:                             ;   in Loop: Header=BB18_746 Depth=3
	v_ashrrev_i32_e32 v0, 31, v51
	v_lshrrev_b32_e32 v0, 21, v0
	v_add_u32_e32 v0, v51, v0
	v_ashrrev_i32_e32 v17, 11, v0
	v_accvgpr_write_b32 a15, v11
	v_sub_u32_e32 v0, v17, v8
	v_ashrrev_i32_e32 v3, 31, v1
	v_mov_b32_e32 v38, v16
	v_accvgpr_write_b32 a14, v10
	v_cmp_lt_i32_e32 vcc, 0, v0
	v_lshrrev_b32_e32 v16, 26, v3
	s_and_saveexec_b64 s[22:23], vcc
	s_cbranch_execz .LBB18_838
; %bb.835:                              ;   in Loop: Header=BB18_746 Depth=3
	v_add_u32_e32 v3, v1, v16
	s_trap 2
	v_and_b32_e32 v3, 0x7fffffc0, v3
	ds_read_b64 v[4:5], v0
	ds_read_b128 v[10:13], v0
	v_sub_u32_e32 v3, v1, v3
	v_lshlrev_b32_e32 v3, 1, v3
	v_lshlrev_b32_e32 v8, 11, v8
	v_add3_u32 v8, v3, v2, v8
	v_accvgpr_write_b32 a27, v61
	v_accvgpr_write_b32 a0, v60
	;; [unrolled: 1-line block ×3, first 2 shown]
	v_ashrrev_i32_e32 v9, 31, v8
	v_accvgpr_read_b32 v61, a45
	v_accvgpr_write_b32 a3, v39
	v_accvgpr_write_b32 a5, v41
	s_waitcnt lgkmcnt(0)
	v_lshl_add_u64 v[10:11], v[10:11], 0, v[8:9]
	v_lshl_add_u64 v[12:13], v[12:13], 0, v[8:9]
	s_mov_b64 s[24:25], 0
	v_mov_b64_e32 v[14:15], v[6:7]
	v_mov_b64_e32 v[44:45], v[36:37]
	v_accvgpr_read_b32 v60, a44
.LBB18_836:                             ;   Parent Loop BB18_47 Depth=1
                                        ;     Parent Loop BB18_743 Depth=2
                                        ;       Parent Loop BB18_746 Depth=3
                                        ; =>      This Inner Loop Header: Depth=4
	v_lshl_add_u64 v[26:27], v[8:9], 0, v[14:15]
	s_waitcnt vmcnt(0)
	v_lshl_add_u64 v[28:29], v[8:9], 0, v[4:5]
	flat_load_ushort v18, v[28:29] nt
	flat_load_ushort v19, v[28:29] offset:128 nt
	flat_load_ushort v20, v[28:29] offset:256 nt
	;; [unrolled: 1-line block ×14, first 2 shown]
	flat_load_ushort v36, v[26:27] nt
	flat_load_ushort v37, v[28:29] offset:1024 nt
	flat_load_ushort v38, v[28:29] offset:1152 nt
	;; [unrolled: 1-line block ×7, first 2 shown]
	s_nop 0
	flat_load_ushort v28, v[28:29] offset:1920 nt
	s_nop 0
	flat_load_ushort v29, v[26:27] offset:1024 nt
	flat_load_ushort v53, v[26:27] offset:1152 nt
	;; [unrolled: 1-line block ×7, first 2 shown]
	s_nop 0
	flat_load_ushort v26, v[26:27] offset:1920 nt
	v_sub_u32_e32 v0, v0, v44
	v_cmp_gt_i32_e32 vcc, 1, v0
	v_lshl_add_u64 v[14:15], v[14:15], 0, v[60:61]
	v_lshl_add_u64 v[4:5], v[4:5], 0, v[60:61]
	s_or_b64 s[24:25], vcc, s[24:25]
	s_waitcnt vmcnt(0) lgkmcnt(0)
	v_mul_f16_e32 v3, v3, v20
	v_mul_f16_e32 v30, v30, v21
	;; [unrolled: 1-line block ×16, first 2 shown]
	flat_store_short v[10:11], v27 nt
	flat_store_short v[10:11], v35 offset:128 nt
	flat_store_short v[10:11], v3 offset:256 nt
	;; [unrolled: 1-line block ×15, first 2 shown]
	flat_store_short v[12:13], v18 nt
	flat_store_short v[12:13], v19 offset:128 nt
	flat_store_short v[12:13], v20 offset:256 nt
	;; [unrolled: 1-line block ×15, first 2 shown]
	v_lshl_add_u64 v[10:11], v[10:11], 0, v[60:61]
	v_lshl_add_u64 v[12:13], v[12:13], 0, v[60:61]
	s_andn2_b64 exec, exec, s[24:25]
	s_cbranch_execnz .LBB18_836
; %bb.837:                              ;   in Loop: Header=BB18_746 Depth=3
	s_or_b64 exec, exec, s[24:25]
	scratch_load_dword v50, off, s33 offset:208 ; 4-byte Folded Reload
	scratch_load_dword v28, off, s33 offset:204 ; 4-byte Folded Reload
	;; [unrolled: 1-line block ×3, first 2 shown]
	scratch_load_dwordx2 v[22:23], off, s33 offset:192 ; 8-byte Folded Reload
	scratch_load_dwordx2 v[20:21], off, s33 offset:184 ; 8-byte Folded Reload
	v_accvgpr_read_b32 v49, a23
	v_accvgpr_read_b32 v53, a25
	;; [unrolled: 1-line block ×14, first 2 shown]
	v_mov_b64_e32 v[36:37], v[44:45]
	v_accvgpr_read_b32 v27, a39
	v_accvgpr_read_b32 v31, a43
	v_accvgpr_read_b32 v33, a47
	v_accvgpr_read_b32 v25, a49
	v_accvgpr_read_b32 v19, a51
	v_accvgpr_read_b32 v60, a0
	v_accvgpr_read_b32 v61, a27
.LBB18_838:                             ;   in Loop: Header=BB18_746 Depth=3
	s_or_b64 exec, exec, s[22:23]
	v_lshlrev_b32_e32 v4, 11, v17
	v_cmp_ne_u32_e32 vcc, v51, v4
	s_and_saveexec_b64 s[58:59], vcc
	s_cbranch_execz .LBB18_844
; %bb.839:                              ;   in Loop: Header=BB18_746 Depth=3
	v_add_u32_e32 v3, v1, v16
	v_and_b32_e32 v3, 0xffffffc0, v3
	v_sub_u32_e32 v1, v1, v3
	v_lshlrev_b32_e32 v0, 6, v0
	v_sub_u32_e32 v0, v1, v0
	v_ashrrev_i32_e32 v1, 31, v0
	v_lshrrev_b32_e32 v1, 26, v1
	v_add_u32_e32 v1, v0, v1
	v_and_b32_e32 v3, 0x7fffffc0, v1
	v_sub_u32_e32 v0, v0, v3
	v_lshlrev_b32_e32 v1, 1, v1
	v_and_b32_e32 v1, 0xffffff80, v1
	v_lshlrev_b32_e32 v0, 1, v0
	v_add3_u32 v1, v1, v0, v4
	v_sub_u32_e32 v0, v51, v1
	v_cmp_lt_i32_e32 vcc, 1, v0
	s_and_b64 exec, exec, vcc
	s_cbranch_execz .LBB18_844
; %bb.840:                              ;   in Loop: Header=BB18_746 Depth=3
	s_trap 2
	ds_read_b64 v[4:5], v0
	ds_read_b128 v[8:11], v0
	v_add_u32_e32 v2, v1, v2
	v_ashrrev_i32_e32 v3, 31, v2
	s_waitcnt lgkmcnt(0)
	v_lshl_add_u64 v[6:7], v[2:3], 0, v[6:7]
	v_lshl_add_u64 v[4:5], v[4:5], 0, v[2:3]
	;; [unrolled: 1-line block ×4, first 2 shown]
	s_mov_b64 s[60:61], 0
.LBB18_841:                             ;   Parent Loop BB18_47 Depth=1
                                        ;     Parent Loop BB18_743 Depth=2
                                        ;       Parent Loop BB18_746 Depth=3
                                        ; =>      This Loop Header: Depth=4
                                        ;           Child Loop BB18_842 Depth 5
	flat_load_ushort v1, v[4:5] nt
	flat_load_ushort v2, v[6:7] nt
	s_mov_b64 s[64:65], -1
	s_mov_b64 s[62:63], 0
	s_waitcnt vmcnt(0) lgkmcnt(0)
	v_mul_f16_e32 v2, v1, v2
.LBB18_842:                             ;   Parent Loop BB18_47 Depth=1
                                        ;     Parent Loop BB18_743 Depth=2
                                        ;       Parent Loop BB18_746 Depth=3
                                        ;         Parent Loop BB18_841 Depth=4
                                        ; =>        This Inner Loop Header: Depth=5
	v_cndmask_b32_e64 v12, 0, 1, s[64:65]
	v_cndmask_b32_e64 v3, v1, v2, s[64:65]
	v_readfirstlane_b32 s22, v12
	s_cmp_lg_u32 s22, 1
	s_cselect_b64 vcc, -1, 0
	s_cmp_eq_u32 s62, 1
	s_cselect_b64 s[22:23], -1, 0
	v_cndmask_b32_e32 v13, v9, v11, vcc
	v_cndmask_b32_e32 v12, v8, v10, vcc
	v_cndmask_b32_e64 v15, v9, v11, s[22:23]
	s_cmp_eq_u32 s62, 0
	v_cndmask_b32_e64 v14, v8, v10, s[22:23]
	flat_store_short v[12:13], v3 nt
	v_lshl_add_u64 v[12:13], v[14:15], 0, s[42:43]
	s_cselect_b64 s[24:25], -1, 0
	s_mov_b64 s[64:65], 0
	s_mov_b64 s[62:63], 1
	s_and_b64 vcc, exec, vcc
	v_cndmask_b32_e64 v11, v11, v13, s[22:23]
	v_cndmask_b32_e64 v10, v10, v12, s[22:23]
	;; [unrolled: 1-line block ×4, first 2 shown]
	s_cbranch_vccz .LBB18_842
; %bb.843:                              ;   in Loop: Header=BB18_841 Depth=4
	v_sub_u32_e32 v0, v0, v28
	v_cmp_gt_i32_e32 vcc, 2, v0
	v_lshl_add_u64 v[8:9], v[8:9], 0, v[26:27]
	v_lshl_add_u64 v[10:11], v[10:11], 0, v[26:27]
	;; [unrolled: 1-line block ×3, first 2 shown]
	s_or_b64 s[60:61], vcc, s[60:61]
	v_lshl_add_u64 v[6:7], v[6:7], 0, v[24:25]
	s_andn2_b64 exec, exec, s[60:61]
	s_cbranch_execnz .LBB18_841
.LBB18_844:                             ;   in Loop: Header=BB18_746 Depth=3
	s_or_b64 exec, exec, s[58:59]
	v_accvgpr_read_b32 v12, a44
	v_accvgpr_read_b32 v10, a14
	;; [unrolled: 1-line block ×3, first 2 shown]
	v_mov_b32_e32 v15, 1
	v_accvgpr_read_b32 v11, a15
	v_mov_b32_e32 v16, v38
.LBB18_845:                             ;   in Loop: Header=BB18_746 Depth=3
	s_or_b64 exec, exec, s[26:27]
	v_accvgpr_read_b32 v8, a26
	s_branch .LBB18_875
.LBB18_846:                             ;   in Loop: Header=BB18_746 Depth=3
	s_mov_b64 s[22:23], -1
	s_and_saveexec_b64 s[24:25], s[16:17]
	s_cbranch_execz .LBB18_848
; %bb.847:                              ;   in Loop: Header=BB18_746 Depth=3
	ds_read_b32 v0, v0 offset:720
	s_waitcnt lgkmcnt(0)
	v_and_b32_e32 v0, 15, v0
	v_cmp_eq_u32_e32 vcc, 0, v0
	s_orn2_b64 s[22:23], vcc, exec
.LBB18_848:                             ;   in Loop: Header=BB18_746 Depth=3
	s_or_b64 exec, exec, s[24:25]
	s_and_saveexec_b64 s[24:25], s[14:15]
	s_cbranch_execz .LBB18_850
; %bb.849:                              ;   in Loop: Header=BB18_746 Depth=3
	ds_read_b32 v0, v0 offset:784
	s_waitcnt lgkmcnt(0)
	v_and_b32_e32 v0, 15, v0
	v_cmp_eq_u32_e32 vcc, 0, v0
	s_and_b64 s[26:27], s[22:23], vcc
	s_andn2_b64 s[22:23], s[22:23], exec
	s_and_b64 s[26:27], s[26:27], exec
	s_or_b64 s[22:23], s[22:23], s[26:27]
.LBB18_850:                             ;   in Loop: Header=BB18_746 Depth=3
	s_or_b64 exec, exec, s[24:25]
	s_xor_b64 s[22:23], s[22:23], -1
	v_cndmask_b32_e64 v0, 0, 1, s[22:23]
	v_lshlrev_b32_e32 v42, 1, v61
	s_mov_b64 s[26:27], -1
	;;#ASMSTART
	;;#ASMEND
	s_waitcnt lgkmcnt(0)
	v_mov_b32_e32 v6, 0
	v_cmp_ne_u32_e32 vcc, 0, v0
	s_cbranch_vccz .LBB18_852
; %bb.851:                              ;   in Loop: Header=BB18_746 Depth=3
	v_mov_b32_e32 v3, v56
	s_waitcnt vmcnt(0)
	v_mov_b32_e32 v4, v34
	s_and_saveexec_b64 s[22:23], s[26:27]
	s_cbranch_execnz .LBB18_865
	s_branch .LBB18_874
.LBB18_852:                             ;   in Loop: Header=BB18_746 Depth=3
	v_ashrrev_i32_e32 v0, 31, v42
	v_lshrrev_b32_e32 v0, 19, v0
	v_add_u32_e32 v0, v42, v0
	v_ashrrev_i32_e32 v0, 13, v0
	s_waitcnt vmcnt(0)
	v_sub_u32_e32 v29, v0, v34
	v_cmp_lt_i32_e32 vcc, 0, v29
	s_and_saveexec_b64 s[24:25], vcc
	s_cbranch_execz .LBB18_856
; %bb.853:                              ;   in Loop: Header=BB18_746 Depth=3
	v_accvgpr_write_b32 a6, v30
	s_trap 2
	v_accvgpr_write_b32 a7, v31
	scratch_load_dwordx2 v[30:31], off, s33 offset:240 ; 8-byte Folded Reload
	ds_read_b64 a[16:17], v0
	v_accvgpr_write_b32 a28, v46
	v_accvgpr_write_b32 a26, v40
	;; [unrolled: 1-line block ×15, first 2 shown]
	s_mov_b64 s[26:27], 0
	v_accvgpr_write_b32 a9, v37
.LBB18_854:                             ;   Parent Loop BB18_47 Depth=1
                                        ;     Parent Loop BB18_743 Depth=2
                                        ;       Parent Loop BB18_746 Depth=3
                                        ; =>      This Inner Loop Header: Depth=4
	s_waitcnt lgkmcnt(0)
	v_accvgpr_read_b32 v0, a16
	v_accvgpr_read_b32 v1, a17
	s_waitcnt vmcnt(0)
	v_lshl_add_u64 v[32:33], v[0:1], 0, v[30:31]
	global_load_dwordx4 v[10:13], v[30:31], off offset:-4096 nt
	global_load_dwordx4 v[20:23], v[30:31], off offset:-3072 nt
	;; [unrolled: 1-line block ×8, first 2 shown]
	s_waitcnt vmcnt(3)
	v_mul_f16_e32 v0, v14, v10
	v_accvgpr_write_b32 a2, v0
	v_mul_f16_sdwa v0, v14, v10 dst_sel:WORD_1 dst_unused:UNUSED_PAD src0_sel:WORD_1 src1_sel:WORD_1
	v_mul_f16_e32 v8, v15, v11
	v_accvgpr_write_b32 a54, v0
	v_mul_f16_e32 v0, v16, v12
	v_accvgpr_write_b32 a55, v0
	v_mul_f16_sdwa v0, v16, v12 dst_sel:WORD_1 dst_unused:UNUSED_PAD src0_sel:WORD_1 src1_sel:WORD_1
	v_mul_f16_sdwa v9, v15, v11 dst_sel:WORD_1 dst_unused:UNUSED_PAD src0_sel:WORD_1 src1_sel:WORD_1
	v_accvgpr_write_b32 a18, v0
	s_waitcnt vmcnt(2)
	v_mul_f16_e32 v0, v24, v20
	v_accvgpr_write_b32 a19, v0
	v_mul_f16_sdwa v0, v24, v20 dst_sel:WORD_1 dst_unused:UNUSED_PAD src0_sel:WORD_1 src1_sel:WORD_1
	v_mul_f16_e32 v11, v17, v13
	v_accvgpr_write_b32 a41, v0
	v_mul_f16_e32 v0, v26, v22
	v_accvgpr_write_b32 a58, v0
	v_mul_f16_sdwa v0, v26, v22 dst_sel:WORD_1 dst_unused:UNUSED_PAD src0_sel:WORD_1 src1_sel:WORD_1
	v_mul_f16_sdwa v10, v17, v13 dst_sel:WORD_1 dst_unused:UNUSED_PAD src0_sel:WORD_1 src1_sel:WORD_1
	v_accvgpr_write_b32 a59, v0
	s_waitcnt vmcnt(1)
	v_mul_f16_e32 v0, v44, v34
	v_accvgpr_write_b32 a60, v0
	v_mul_f16_sdwa v0, v44, v34 dst_sel:WORD_1 dst_unused:UNUSED_PAD src0_sel:WORD_1 src1_sel:WORD_1
	v_mul_f16_e32 v13, v25, v21
	v_accvgpr_write_b32 a61, v0
	v_mul_f16_e32 v0, v46, v36
	v_accvgpr_write_b32 a34, v0
	s_waitcnt vmcnt(0)
	v_mul_f16_e32 v0, v58, v40
	v_mul_f16_sdwa v12, v25, v21 dst_sel:WORD_1 dst_unused:UNUSED_PAD src0_sel:WORD_1 src1_sel:WORD_1
	v_mul_f16_e32 v15, v27, v23
	v_mul_f16_sdwa v14, v27, v23 dst_sel:WORD_1 dst_unused:UNUSED_PAD src0_sel:WORD_1 src1_sel:WORD_1
	v_accvgpr_write_b32 a35, v0
	v_mul_f16_sdwa v0, v58, v40 dst_sel:WORD_1 dst_unused:UNUSED_PAD src0_sel:WORD_1 src1_sel:WORD_1
	v_mul_f16_e32 v20, v59, v41
	v_mul_f16_sdwa v55, v59, v41 dst_sel:WORD_1 dst_unused:UNUSED_PAD src0_sel:WORD_1 src1_sel:WORD_1
	v_mul_f16_e32 v27, v60, v42
	;; [unrolled: 2-line block ×3, first 2 shown]
	v_mul_f16_sdwa v22, v61, v43 dst_sel:WORD_1 dst_unused:UNUSED_PAD src0_sel:WORD_1 src1_sel:WORD_1
	global_load_dwordx4 v[58:61], v[30:31], off nt
	global_load_dwordx4 v[4:7], v[32:33], off nt
	v_mul_f16_e32 v17, v45, v35
	v_mul_f16_sdwa v16, v45, v35 dst_sel:WORD_1 dst_unused:UNUSED_PAD src0_sel:WORD_1 src1_sel:WORD_1
	v_mul_f16_e32 v19, v47, v37
	v_mul_f16_sdwa v18, v47, v37 dst_sel:WORD_1 dst_unused:UNUSED_PAD src0_sel:WORD_1 src1_sel:WORD_1
	v_accvgpr_write_b32 a40, v0
	v_mul_f16_sdwa v21, v46, v36 dst_sel:WORD_1 dst_unused:UNUSED_PAD src0_sel:WORD_1 src1_sel:WORD_1
	v_or_b32_e32 v9, v9, v8
	v_or_b32_e32 v11, v10, v11
	;; [unrolled: 1-line block ×8, first 2 shown]
	s_waitcnt vmcnt(0)
	v_mul_f16_e32 v39, v6, v60
	v_mul_f16_sdwa v26, v6, v60 dst_sel:WORD_1 dst_unused:UNUSED_PAD src0_sel:WORD_1 src1_sel:WORD_1
	v_add_co_u32_e32 v6, vcc, 0xfffff000, v32
	v_mul_f16_e32 v44, v4, v58
	v_mul_f16_sdwa v45, v4, v58 dst_sel:WORD_1 dst_unused:UNUSED_PAD src0_sel:WORD_1 src1_sel:WORD_1
	v_mul_f16_e32 v47, v7, v61
	v_mul_f16_sdwa v58, v7, v61 dst_sel:WORD_1 dst_unused:UNUSED_PAD src0_sel:WORD_1 src1_sel:WORD_1
	v_addc_co_u32_e32 v7, vcc, -1, v33, vcc
	v_add_co_u32_e32 v60, vcc, 0xfffff000, v30
	v_mul_f16_e32 v24, v5, v59
	s_nop 0
	v_addc_co_u32_e32 v61, vcc, -1, v31, vcc
	global_load_dwordx4 v[40:43], v[6:7], off offset:-3072 nt
	global_load_dwordx4 v[0:3], v[60:61], off offset:-3072 nt
	v_mul_f16_sdwa v46, v5, v59 dst_sel:WORD_1 dst_unused:UNUSED_PAD src0_sel:WORD_1 src1_sel:WORD_1
	v_or_b32_e32 v26, v26, v39
	v_or_b32_e32 v25, v46, v24
	;; [unrolled: 1-line block ×4, first 2 shown]
	s_waitcnt vmcnt(0)
	v_mul_f16_e32 v37, v40, v0
	v_mul_f16_sdwa v53, v40, v0 dst_sel:WORD_1 dst_unused:UNUSED_PAD src0_sel:WORD_1 src1_sel:WORD_1
	v_mul_f16_e32 v59, v41, v1
	v_mul_f16_sdwa v56, v41, v1 dst_sel:WORD_1 dst_unused:UNUSED_PAD src0_sel:WORD_1 src1_sel:WORD_1
	;; [unrolled: 2-line block ×4, first 2 shown]
	global_load_dwordx4 v[0:3], v[6:7], off offset:-2048 nt
	global_load_dwordx4 v[40:43], v[60:61], off offset:-2048 nt
	s_waitcnt vmcnt(0)
	v_mul_f16_e32 v36, v0, v40
	v_mul_f16_sdwa v28, v0, v40 dst_sel:WORD_1 dst_unused:UNUSED_PAD src0_sel:WORD_1 src1_sel:WORD_1
	v_mul_f16_e32 v5, v1, v41
	v_mul_f16_sdwa v4, v1, v41 dst_sel:WORD_1 dst_unused:UNUSED_PAD src0_sel:WORD_1 src1_sel:WORD_1
	;; [unrolled: 2-line block ×4, first 2 shown]
	global_load_dwordx4 v[0:3], v[6:7], off offset:-1024 nt
	global_load_dwordx4 v[40:43], v[60:61], off offset:-1024 nt
	v_accvgpr_read_b32 v6, a8
	v_accvgpr_read_b32 v7, a9
	v_sub_u32_e32 v29, v29, v6
	v_accvgpr_read_b32 v6, a6
	v_cmp_gt_i32_e64 s[22:23], 1, v29
	v_accvgpr_read_b32 v7, a7
	s_or_b64 s[26:27], s[22:23], s[26:27]
	v_lshl_add_u64 v[30:31], v[30:31], 0, v[6:7]
	v_or_b32_e32 v5, v4, v5
	v_or_b32_e32 v4, v28, v36
	;; [unrolled: 1-line block ×4, first 2 shown]
	s_waitcnt vmcnt(0)
	v_mul_f16_e32 v60, v0, v40
	v_mul_f16_sdwa v40, v0, v40 dst_sel:WORD_1 dst_unused:UNUSED_PAD src0_sel:WORD_1 src1_sel:WORD_1
	v_mul_f16_e32 v61, v1, v41
	v_mul_f16_sdwa v41, v1, v41 dst_sel:WORD_1 dst_unused:UNUSED_PAD src0_sel:WORD_1 src1_sel:WORD_1
	v_accvgpr_read_b32 v0, a2
	v_accvgpr_read_b32 v1, a54
	v_or_b32_e32 v8, v1, v0
	v_accvgpr_read_b32 v0, a55
	v_accvgpr_read_b32 v1, a18
	v_or_b32_e32 v10, v1, v0
	v_accvgpr_read_b32 v0, a19
	v_accvgpr_read_b32 v1, a41
	v_or_b32_e32 v12, v1, v0
	v_accvgpr_read_b32 v0, a58
	v_accvgpr_read_b32 v1, a59
	v_or_b32_e32 v14, v1, v0
	v_accvgpr_read_b32 v0, a60
	v_accvgpr_read_b32 v1, a61
	v_or_b32_e32 v16, v1, v0
	v_accvgpr_read_b32 v0, a34
	v_mul_f16_e32 v49, v2, v42
	v_mul_f16_sdwa v42, v2, v42 dst_sel:WORD_1 dst_unused:UNUSED_PAD src0_sel:WORD_1 src1_sel:WORD_1
	v_or_b32_e32 v18, v21, v0
	v_accvgpr_read_b32 v0, a35
	v_accvgpr_read_b32 v1, a40
	v_or_b32_e32 v2, v38, v57
	v_add_co_u32_e32 v38, vcc, s76, v32
	v_mul_f16_e32 v48, v3, v43
	v_mul_f16_sdwa v43, v3, v43 dst_sel:WORD_1 dst_unused:UNUSED_PAD src0_sel:WORD_1 src1_sel:WORD_1
	v_or_b32_e32 v21, v55, v20
	v_or_b32_e32 v20, v1, v0
	;; [unrolled: 1-line block ×5, first 2 shown]
	v_addc_co_u32_e32 v39, vcc, -1, v33, vcc
	v_or_b32_e32 v35, v41, v61
	v_or_b32_e32 v34, v40, v60
	;; [unrolled: 1-line block ×4, first 2 shown]
	global_store_dwordx4 v[38:39], v[0:3], off offset:-3072 nt
	global_store_dwordx4 v[38:39], v[4:7], off offset:-2048 nt
	;; [unrolled: 1-line block ×7, first 2 shown]
	global_store_dwordx4 v[32:33], v[24:27], off nt
	s_andn2_b64 exec, exec, s[26:27]
	s_cbranch_execnz .LBB18_854
; %bb.855:                              ;   in Loop: Header=BB18_746 Depth=3
	s_or_b64 exec, exec, s[26:27]
	scratch_load_dwordx2 v[58:59], off, s33 offset:232 ; 8-byte Folded Reload
	scratch_load_dword v50, off, s33 offset:208 ; 4-byte Folded Reload
	scratch_load_dword v28, off, s33 offset:204 ; 4-byte Folded Reload
	scratch_load_dword v34, off, s33 offset:200 ; 4-byte Folded Reload
	scratch_load_dwordx2 v[22:23], off, s33 offset:192 ; 8-byte Folded Reload
	scratch_load_dwordx2 v[20:21], off, s33 offset:184 ; 8-byte Folded Reload
	v_accvgpr_read_b32 v10, a14
	v_accvgpr_mov_b32 a17, a11
	v_accvgpr_read_b32 v49, a23
	v_accvgpr_read_b32 v53, a25
	;; [unrolled: 1-line block ×14, first 2 shown]
	v_accvgpr_mov_b32 a16, a10
	v_accvgpr_read_b32 v16, a20
	v_accvgpr_read_b32 v48, a22
	;; [unrolled: 1-line block ×14, first 2 shown]
	v_mov_b32_e32 v15, 1
	v_accvgpr_read_b32 v43, a12
	v_accvgpr_read_b32 v60, a0
	;; [unrolled: 1-line block ×6, first 2 shown]
.LBB18_856:                             ;   in Loop: Header=BB18_746 Depth=3
	s_or_b64 exec, exec, s[24:25]
	v_lshlrev_b32_e32 v0, 13, v0
	v_cmp_ne_u32_e32 vcc, v42, v0
	s_mov_b64 s[26:27], 0
	v_mov_b32_e32 v6, 0
                                        ; implicit-def: $vgpr3
                                        ; implicit-def: $vgpr4
	s_and_saveexec_b64 s[24:25], vcc
	s_cbranch_execz .LBB18_864
; %bb.857:                              ;   in Loop: Header=BB18_746 Depth=3
	scratch_load_dword v2, off, s33 offset:212 ; 4-byte Folded Reload
	v_lshlrev_b32_e32 v1, 6, v29
	v_sub_u32_e32 v3, v42, v0
	v_mov_b64_e32 v[54:55], v[10:11]
	v_accvgpr_write_b32 a0, v8
	s_waitcnt vmcnt(0)
	v_sub_u32_e32 v1, v2, v1
	v_ashrrev_i32_e32 v2, 31, v1
	v_lshrrev_b32_e32 v2, 26, v2
	v_add_u32_e32 v2, v1, v2
	v_ashrrev_i32_e32 v4, 6, v2
	v_and_b32_e32 v2, 0xffffffc0, v2
	v_sub_u32_e32 v1, v1, v2
	v_lshlrev_b32_e32 v2, 4, v1
	v_lshl_add_u32 v6, v4, 10, v2
	v_ashrrev_i32_e32 v2, 31, v3
	v_lshrrev_b32_e32 v2, 22, v2
	v_add_u32_e32 v2, v3, v2
	v_ashrrev_i32_e32 v5, 10, v2
	v_and_b32_e32 v2, 0xfffffc00, v2
	v_sub_u32_e32 v9, v3, v2
	v_cmp_lt_i32_e32 vcc, 15, v9
	v_sub_u32_e32 v10, v3, v6
	s_nop 0
	v_addc_co_u32_e64 v3, s[22:23], 0, v5, vcc
	v_sub_u32_e32 v8, v3, v4
	v_cmp_lt_i32_e64 s[22:23], 15, v10
	s_and_saveexec_b64 s[26:27], s[22:23]
	s_cbranch_execz .LBB18_861
; %bb.858:                              ;   in Loop: Header=BB18_746 Depth=3
	s_trap 2
	ds_read_b64 v[4:5], v0
	v_add_u32_e32 v6, v6, v0
	v_mov_b32_e32 v38, v16
	v_ashrrev_i32_e32 v7, 31, v6
	s_mov_b64 s[58:59], 0
.LBB18_859:                             ;   Parent Loop BB18_47 Depth=1
                                        ;     Parent Loop BB18_743 Depth=2
                                        ;       Parent Loop BB18_746 Depth=3
                                        ; =>      This Inner Loop Header: Depth=4
	s_waitcnt lgkmcnt(0)
	v_lshl_add_u64 v[20:21], v[4:5], 0, v[6:7]
	global_load_dwordx4 v[12:15], v[6:7], off nt
	global_load_dwordx4 v[16:19], v[20:21], off nt
	v_sub_u32_e32 v10, v10, v50
	v_cmp_gt_i32_e64 s[22:23], 16, v10
	v_lshl_add_u64 v[6:7], v[6:7], 0, v[32:33]
	v_sub_u32_e32 v8, v8, v36
	s_or_b64 s[58:59], s[22:23], s[58:59]
	s_waitcnt vmcnt(0)
	v_mul_f16_e32 v3, v16, v12
	v_mul_f16_sdwa v11, v16, v12 dst_sel:WORD_1 dst_unused:UNUSED_PAD src0_sel:WORD_1 src1_sel:WORD_1
	v_mul_f16_e32 v12, v17, v13
	v_mul_f16_sdwa v13, v17, v13 dst_sel:WORD_1 dst_unused:UNUSED_PAD src0_sel:WORD_1 src1_sel:WORD_1
	;; [unrolled: 2-line block ×4, first 2 shown]
	v_or_b32_e32 v13, v13, v12
	v_or_b32_e32 v12, v11, v3
	;; [unrolled: 1-line block ×4, first 2 shown]
	global_store_dwordx4 v[20:21], v[12:15], off nt
	s_andn2_b64 exec, exec, s[58:59]
	s_cbranch_execnz .LBB18_859
; %bb.860:                              ;   in Loop: Header=BB18_746 Depth=3
	s_or_b64 exec, exec, s[58:59]
	scratch_load_dwordx2 v[20:21], off, s33 offset:184 ; 8-byte Folded Reload
	v_accvgpr_read_b32 v12, a44
	v_accvgpr_read_b32 v18, a50
	;; [unrolled: 1-line block ×4, first 2 shown]
	v_mov_b32_e32 v15, 1
	v_mov_b32_e32 v16, v38
.LBB18_861:                             ;   in Loop: Header=BB18_746 Depth=3
	s_or_b64 exec, exec, s[26:27]
	v_and_b32_e32 v5, 14, v42
	v_cndmask_b32_e32 v42, v9, v5, vcc
	s_mov_b64 s[26:27], 0
	v_mov_b32_e32 v6, 0
	v_cmp_ne_u32_e64 s[22:23], 0, v42
                                        ; implicit-def: $vgpr3
                                        ; implicit-def: $vgpr4
	s_mov_b64 s[58:59], exec
	s_and_b64 s[22:23], s[58:59], s[22:23]
	v_mov_b64_e32 v[10:11], v[54:55]
	s_mov_b64 exec, s[22:23]
	s_cbranch_execz .LBB18_863
; %bb.862:                              ;   in Loop: Header=BB18_746 Depth=3
	v_sub_u32_e32 v3, v9, v5
	v_cndmask_b32_e32 v3, 0, v3, vcc
	v_cmp_lt_i32_e32 vcc, 0, v8
	v_add3_u32 v6, v2, v0, v3
	s_mov_b64 s[26:27], exec
	v_cndmask_b32_e32 v0, 0, v36, vcc
	v_sub_u32_e32 v0, v0, v8
	v_lshl_add_u32 v3, v0, 6, v1
	v_ashrrev_i32_e32 v0, 31, v3
	v_lshrrev_b32_e32 v0, 26, v0
	v_add_u32_e32 v0, v3, v0
	v_ashrrev_i32_e32 v4, 6, v0
.LBB18_863:                             ;   in Loop: Header=BB18_746 Depth=3
	s_or_b64 exec, exec, s[58:59]
	s_and_b64 s[26:27], s[26:27], exec
	v_accvgpr_read_b32 v8, a0
.LBB18_864:                             ;   in Loop: Header=BB18_746 Depth=3
	s_or_b64 exec, exec, s[24:25]
	s_and_saveexec_b64 s[22:23], s[26:27]
	s_cbranch_execz .LBB18_874
.LBB18_865:                             ;   in Loop: Header=BB18_746 Depth=3
	v_ashrrev_i32_e32 v0, 31, v42
	v_lshrrev_b32_e32 v0, 21, v0
	v_add_u32_e32 v0, v42, v0
	v_ashrrev_i32_e32 v0, 11, v0
	v_sub_u32_e32 v5, v0, v4
	v_accvgpr_write_b32 a0, v8
	v_cmp_lt_i32_e32 vcc, 0, v5
	s_and_saveexec_b64 s[24:25], vcc
	s_cbranch_execz .LBB18_869
; %bb.866:                              ;   in Loop: Header=BB18_746 Depth=3
	v_accvgpr_write_b32 a26, v0
	s_trap 2
	ds_read_b64 v[8:9], v0
	v_ashrrev_i32_e32 v0, 31, v3
	v_lshrrev_b32_e32 v0, 26, v0
	v_add_u32_e32 v0, v3, v0
	v_and_b32_e32 v0, 0x7fffffc0, v0
	v_sub_u32_e32 v0, v3, v0
	v_lshlrev_b32_e32 v0, 1, v0
	v_lshlrev_b32_e32 v1, 11, v4
	v_add3_u32 v0, v0, v6, v1
	v_accvgpr_write_b32 a4, v10
	v_ashrrev_i32_e32 v1, 31, v0
	v_accvgpr_write_b32 a14, v16
	v_accvgpr_write_b32 a5, v11
	;; [unrolled: 1-line block ×5, first 2 shown]
	v_lshl_add_u64 v[10:11], v[0:1], 0, s[52:53]
	s_mov_b64 s[26:27], 0
.LBB18_867:                             ;   Parent Loop BB18_47 Depth=1
                                        ;     Parent Loop BB18_743 Depth=2
                                        ;       Parent Loop BB18_746 Depth=3
                                        ; =>      This Inner Loop Header: Depth=4
	s_waitcnt lgkmcnt(0)
	v_lshl_add_u64 v[12:13], v[8:9], 0, v[10:11]
	v_add_co_u32_e32 v0, vcc, 0xfffff880, v12
	s_nop 1
	v_addc_co_u32_e32 v1, vcc, -1, v13, vcc
	flat_load_ushort v16, v[0:1] nt
	v_add_co_u32_e32 v0, vcc, 0xfffff880, v10
	s_nop 1
	v_addc_co_u32_e32 v1, vcc, -1, v11, vcc
	flat_load_ushort v18, v[0:1] nt
	v_add_co_u32_e32 v0, vcc, 0xfffff900, v12
	s_waitcnt vmcnt(0) lgkmcnt(0)
	v_mul_f16_e32 v3, v16, v18
	v_addc_co_u32_e32 v1, vcc, -1, v13, vcc
	flat_load_ushort v17, v[0:1] nt
	v_add_co_u32_e32 v0, vcc, 0xfffff900, v10
	s_nop 1
	v_addc_co_u32_e32 v1, vcc, -1, v11, vcc
	flat_load_ushort v20, v[0:1] nt
	v_add_co_u32_e32 v0, vcc, 0xfffff980, v12
	s_nop 1
	;; [unrolled: 4-line block ×11, first 2 shown]
	v_addc_co_u32_e32 v1, vcc, -1, v11, vcc
	v_add_co_u32_e32 v14, vcc, s74, v12
	flat_load_ushort v32, v[0:1] nt
	s_nop 0
	v_addc_co_u32_e32 v15, vcc, -1, v13, vcc
	v_add_co_u32_e32 v0, vcc, s74, v10
	flat_load_ushort v31, v[14:15] nt
	s_nop 0
	v_addc_co_u32_e32 v1, vcc, -1, v11, vcc
	flat_load_ushort v33, v[0:1] nt
	v_add_co_u32_e32 v0, vcc, 0xfffffc80, v12
	s_nop 1
	v_addc_co_u32_e32 v1, vcc, -1, v13, vcc
	flat_load_ushort v34, v[0:1] nt
	v_add_co_u32_e32 v0, vcc, 0xfffffc80, v10
	;; [unrolled: 4-line block ×14, first 2 shown]
	s_nop 1
	v_addc_co_u32_e32 v1, vcc, -1, v11, vcc
	flat_load_ushort v4, v[0:1] nt
	flat_load_ushort v29, v[12:13] nt
	;; [unrolled: 1-line block ×3, first 2 shown]
	v_add_co_u32_e32 v0, vcc, s87, v12
	s_nop 1
	v_addc_co_u32_e32 v1, vcc, -1, v13, vcc
	flat_store_short v[0:1], v3 nt
	v_add_co_u32_e32 v0, vcc, s88, v12
	s_waitcnt vmcnt(0) lgkmcnt(0)
	v_mul_f16_e32 v3, v17, v20
	v_addc_co_u32_e32 v1, vcc, -1, v13, vcc
	flat_store_short v[0:1], v3 nt
	v_add_co_u32_e32 v0, vcc, s89, v12
	v_mul_f16_e32 v3, v19, v22
	s_nop 0
	v_addc_co_u32_e32 v1, vcc, -1, v13, vcc
	flat_store_short v[0:1], v3 nt
	v_add_co_u32_e32 v0, vcc, s90, v12
	v_mul_f16_e32 v3, v21, v24
	s_nop 0
	v_addc_co_u32_e32 v1, vcc, -1, v13, vcc
	flat_store_short v[0:1], v3 nt
	v_add_co_u32_e32 v0, vcc, s91, v12
	v_mul_f16_e32 v3, v23, v26
	s_nop 0
	v_addc_co_u32_e32 v1, vcc, -1, v13, vcc
	flat_store_short v[0:1], v3 nt
	v_add_co_u32_e32 v0, vcc, s92, v12
	v_mul_f16_e32 v3, v25, v30
	s_nop 0
	v_addc_co_u32_e32 v1, vcc, -1, v13, vcc
	flat_store_short v[0:1], v3 nt
	v_add_co_u32_e32 v0, vcc, s93, v12
	v_mul_f16_e32 v3, v27, v32
	s_nop 0
	v_addc_co_u32_e32 v1, vcc, -1, v13, vcc
	flat_store_short v[0:1], v3 nt
	v_mul_f16_e32 v0, v31, v33
	flat_store_short v[14:15], v0 nt
	v_add_co_u32_e32 v0, vcc, s94, v12
	v_mul_f16_e32 v3, v34, v36
	s_nop 0
	v_addc_co_u32_e32 v1, vcc, -1, v13, vcc
	flat_store_short v[0:1], v3 nt
	v_add_co_u32_e32 v0, vcc, s95, v12
	v_mul_f16_e32 v3, v35, v38
	s_nop 0
	v_addc_co_u32_e32 v1, vcc, -1, v13, vcc
	;; [unrolled: 5-line block ×6, first 2 shown]
	flat_store_short v[0:1], v3 nt
	v_add_co_u32_e32 v0, vcc, 0xffffff80, v12
	v_accvgpr_read_b32 v37, a31
	v_mul_f16_e32 v3, v7, v4
	v_addc_co_u32_e32 v1, vcc, -1, v13, vcc
	v_accvgpr_read_b32 v36, a30
	flat_store_short v[0:1], v3 nt
	v_mul_f16_e32 v0, v29, v2
	flat_store_short v[12:13], v0 nt
	v_accvgpr_read_b32 v12, a44
	v_sub_u32_e32 v5, v5, v36
	v_accvgpr_read_b32 v13, a45
	v_cmp_gt_i32_e32 vcc, 1, v5
	v_lshl_add_u64 v[10:11], v[10:11], 0, v[12:13]
	s_or_b64 s[26:27], vcc, s[26:27]
	s_andn2_b64 exec, exec, s[26:27]
	s_cbranch_execnz .LBB18_867
; %bb.868:                              ;   in Loop: Header=BB18_746 Depth=3
	s_or_b64 exec, exec, s[26:27]
	scratch_load_dword v34, off, s33 offset:200 ; 4-byte Folded Reload
	scratch_load_dwordx2 v[22:23], off, s33 offset:192 ; 8-byte Folded Reload
	scratch_load_dwordx2 v[20:21], off, s33 offset:184 ; 8-byte Folded Reload
	v_accvgpr_mov_b32 a17, a11
	v_accvgpr_read_b32 v26, a38
	v_accvgpr_read_b32 v30, a42
	v_accvgpr_read_b32 v32, a46
	v_accvgpr_read_b32 v24, a48
	v_accvgpr_read_b32 v18, a50
	v_accvgpr_read_b32 v11, a5
	v_accvgpr_mov_b32 a16, a10
	v_accvgpr_read_b32 v39, a3
	v_accvgpr_read_b32 v35, a21
	;; [unrolled: 1-line block ×7, first 2 shown]
	v_mov_b32_e32 v15, 1
	v_accvgpr_read_b32 v10, a4
	v_accvgpr_read_b32 v16, a14
	;; [unrolled: 1-line block ×5, first 2 shown]
.LBB18_869:                             ;   in Loop: Header=BB18_746 Depth=3
	s_or_b64 exec, exec, s[24:25]
	v_lshlrev_b32_e32 v0, 11, v0
	v_cmp_ne_u32_e32 vcc, v42, v0
	s_and_saveexec_b64 s[24:25], vcc
	s_cbranch_execz .LBB18_873
; %bb.870:                              ;   in Loop: Header=BB18_746 Depth=3
	v_ashrrev_i32_e32 v1, 31, v3
	v_lshrrev_b32_e32 v1, 26, v1
	v_add_u32_e32 v1, v3, v1
	v_and_b32_e32 v1, 0xffffffc0, v1
	v_sub_u32_e32 v1, v3, v1
	v_lshlrev_b32_e32 v2, 6, v5
	v_sub_u32_e32 v1, v1, v2
	v_ashrrev_i32_e32 v2, 31, v1
	v_lshrrev_b32_e32 v2, 26, v2
	v_add_u32_e32 v2, v1, v2
	v_and_b32_e32 v3, 0x7fffffc0, v2
	v_sub_u32_e32 v1, v1, v3
	v_lshlrev_b32_e32 v2, 1, v2
	v_and_b32_e32 v2, 0xffffff80, v2
	v_lshlrev_b32_e32 v1, 1, v1
	v_add3_u32 v1, v2, v1, v0
	v_sub_u32_e32 v0, v42, v1
	v_cmp_lt_i32_e32 vcc, 1, v0
	s_and_b64 exec, exec, vcc
	s_cbranch_execz .LBB18_873
; %bb.871:                              ;   in Loop: Header=BB18_746 Depth=3
	s_trap 2
	ds_read_b64 v[4:5], v0
	v_add_u32_e32 v6, v1, v6
	v_ashrrev_i32_e32 v7, 31, v6
	s_mov_b64 s[26:27], 0
.LBB18_872:                             ;   Parent Loop BB18_47 Depth=1
                                        ;     Parent Loop BB18_743 Depth=2
                                        ;       Parent Loop BB18_746 Depth=3
                                        ; =>      This Inner Loop Header: Depth=4
	s_waitcnt lgkmcnt(0)
	v_lshl_add_u64 v[2:3], v[4:5], 0, v[6:7]
	flat_load_ushort v1, v[6:7] nt
	flat_load_ushort v8, v[2:3] nt
	s_waitcnt vmcnt(0)
	v_sub_u32_e32 v0, v0, v28
	v_cmp_gt_i32_e32 vcc, 2, v0
	v_lshl_add_u64 v[6:7], v[6:7], 0, v[24:25]
	s_or_b64 s[26:27], vcc, s[26:27]
	s_waitcnt lgkmcnt(0)
	v_mul_f16_e32 v1, v8, v1
	flat_store_short v[2:3], v1 nt
	s_andn2_b64 exec, exec, s[26:27]
	s_cbranch_execnz .LBB18_872
.LBB18_873:                             ;   in Loop: Header=BB18_746 Depth=3
	s_or_b64 exec, exec, s[24:25]
	v_accvgpr_read_b32 v8, a0
.LBB18_874:                             ;   in Loop: Header=BB18_746 Depth=3
	s_or_b64 exec, exec, s[22:23]
.LBB18_875:                             ;   in Loop: Header=BB18_746 Depth=3
	s_and_saveexec_b64 s[22:23], s[4:5]
	s_cbranch_execz .LBB18_894
; %bb.876:                              ;   in Loop: Header=BB18_746 Depth=3
	s_and_saveexec_b64 s[24:25], s[38:39]
	s_xor_b64 s[24:25], exec, s[24:25]
	s_cbranch_execz .LBB18_891
; %bb.877:                              ;   in Loop: Header=BB18_746 Depth=3
	s_and_saveexec_b64 s[26:27], s[12:13]
	s_cbranch_execz .LBB18_890
; %bb.878:                              ;   in Loop: Header=BB18_746 Depth=3
	s_mov_b64 s[60:61], exec
	v_mbcnt_lo_u32_b32 v0, s60, 0
	v_mbcnt_hi_u32_b32 v0, s61, v0
	v_cmp_eq_u32_e32 vcc, 0, v0
	s_waitcnt lgkmcnt(0)
	s_and_saveexec_b64 s[58:59], vcc
	s_cbranch_execz .LBB18_880
; %bb.879:                              ;   in Loop: Header=BB18_746 Depth=3
	s_bcnt1_i32_b64 vcc_lo, s[60:61]
	v_mov_b32_e32 v38, vcc_lo
	ds_add_u64 v0, v[38:39]
	s_trap 2
.LBB18_880:                             ;   in Loop: Header=BB18_746 Depth=3
	s_or_b64 exec, exec, s[58:59]
	s_trap 2
	ds_read_b64 v[0:1], v0
	v_lshl_add_u64 v[46:47], v[46:47], 0, v[36:37]
	s_waitcnt lgkmcnt(0)
	v_cmp_lt_u64_e32 vcc, v[0:1], v[46:47]
	s_and_saveexec_b64 s[58:59], vcc
	s_cbranch_execz .LBB18_889
; %bb.881:                              ;   in Loop: Header=BB18_746 Depth=3
	s_mov_b32 s97, 0
	s_mov_b64 s[60:61], 0
                                        ; implicit-def: $sgpr62_sgpr63
                                        ; implicit-def: $sgpr64_sgpr65
	s_branch .LBB18_883
.LBB18_882:                             ;   in Loop: Header=BB18_883 Depth=4
	s_or_b64 exec, exec, s[68:69]
	s_and_b64 vcc, exec, vcc
	s_or_b64 s[60:61], vcc, s[60:61]
	s_andn2_b64 vcc, s[62:63], exec
	s_and_b64 s[62:63], s[64:65], exec
	s_or_b64 s[62:63], vcc, s[62:63]
	s_andn2_b64 exec, exec, s[60:61]
	s_cbranch_execz .LBB18_887
.LBB18_883:                             ;   Parent Loop BB18_47 Depth=1
                                        ;     Parent Loop BB18_743 Depth=2
                                        ;       Parent Loop BB18_746 Depth=3
                                        ; =>      This Inner Loop Header: Depth=4
	s_add_i32 s97, s97, 1
	s_cmpk_lg_i32 s97, 0x2710
	s_cselect_b64 s[66:67], -1, 0
	s_and_b64 vcc, exec, s[66:67]
                                        ; implicit-def: $sgpr68_sgpr69
	s_cbranch_vccnz .LBB18_885
; %bb.884:                              ;   in Loop: Header=BB18_883 Depth=4
	s_trap 2
	ds_read_b64 v[0:1], v0
	s_andn2_b64 s[66:67], s[66:67], exec
	s_mov_b32 s97, 0
	s_mov_b64 s[68:69], -1
	s_waitcnt vmcnt(0) lgkmcnt(0)
	flat_load_dword v0, v[0:1] sc0 sc1
	s_waitcnt vmcnt(0) lgkmcnt(0)
	buffer_inv sc0 sc1
	v_cmp_eq_u32_e32 vcc, 0, v0
	s_and_b64 vcc, vcc, exec
	s_or_b64 s[66:67], s[66:67], vcc
.LBB18_885:                             ;   in Loop: Header=BB18_883 Depth=4
	s_andn2_b64 s[64:65], s[64:65], exec
	s_and_b64 s[68:69], s[68:69], exec
	s_mov_b64 vcc, -1
	s_or_b64 s[64:65], s[64:65], s[68:69]
	s_and_saveexec_b64 s[68:69], s[66:67]
	s_cbranch_execz .LBB18_882
; %bb.886:                              ;   in Loop: Header=BB18_883 Depth=4
	s_sleep 1
	s_trap 2
	ds_read_b64 v[0:1], v0
	s_andn2_b64 s[64:65], s[64:65], exec
	s_waitcnt lgkmcnt(0)
	v_cmp_ge_u64_e32 vcc, v[0:1], v[46:47]
	s_orn2_b64 vcc, vcc, exec
	s_branch .LBB18_882
.LBB18_887:                             ;   in Loop: Header=BB18_746 Depth=3
	s_or_b64 exec, exec, s[60:61]
	s_and_saveexec_b64 vcc, s[62:63]
	s_xor_b64 vcc, exec, vcc
	s_cbranch_execz .LBB18_889
; %bb.888:                              ;   in Loop: Header=BB18_746 Depth=3
	ds_write_b32 v0, v15
	s_trap 2
.LBB18_889:                             ;   in Loop: Header=BB18_746 Depth=3
	s_or_b64 exec, exec, s[58:59]
	;;#ASMSTART
	s_wakeup
	;;#ASMEND
.LBB18_890:                             ;   in Loop: Header=BB18_746 Depth=3
	s_or_b64 exec, exec, s[26:27]
.LBB18_891:                             ;   in Loop: Header=BB18_746 Depth=3
	s_andn2_saveexec_b64 s[24:25], s[24:25]
	s_cbranch_execz .LBB18_893
; %bb.892:                              ;   in Loop: Header=BB18_746 Depth=3
	s_waitcnt lgkmcnt(0)
	s_barrier
.LBB18_893:                             ;   in Loop: Header=BB18_746 Depth=3
	s_or_b64 exec, exec, s[24:25]
.LBB18_894:                             ;   in Loop: Header=BB18_746 Depth=3
	s_or_b64 exec, exec, s[22:23]
                                        ; implicit-def: $vgpr0
	s_and_saveexec_b64 s[22:23], s[20:21]
	s_xor_b64 s[24:25], exec, s[22:23]
	s_cbranch_execz .LBB18_898
; %bb.895:                              ;   in Loop: Header=BB18_746 Depth=3
	v_and_b32_e32 v1, 16, v57
	v_cmp_lt_i32_e32 vcc, 0, v61
	v_cmp_ne_u32_e64 s[22:23], 0, v1
	v_and_b32_e32 v0, 16, v57
	s_and_b64 s[26:27], s[22:23], vcc
	s_and_saveexec_b64 s[22:23], s[26:27]
	s_cbranch_execz .LBB18_897
; %bb.896:                              ;   in Loop: Header=BB18_746 Depth=3
	v_mov_b32_e32 v0, 1
	buffer_wbl2 sc1
	s_waitcnt vmcnt(0) lgkmcnt(0)
	buffer_inv sc1
.LBB18_897:                             ;   in Loop: Header=BB18_746 Depth=3
	s_or_b64 exec, exec, s[22:23]
	s_andn2_saveexec_b64 s[22:23], s[24:25]
	s_cbranch_execz .LBB18_917
	s_branch .LBB18_899
.LBB18_898:                             ;   in Loop: Header=BB18_746 Depth=3
	s_andn2_saveexec_b64 s[22:23], s[24:25]
	s_cbranch_execz .LBB18_917
.LBB18_899:                             ;   in Loop: Header=BB18_746 Depth=3
	s_and_saveexec_b64 s[24:25], s[38:39]
	s_xor_b64 s[24:25], exec, s[24:25]
	s_cbranch_execz .LBB18_914
; %bb.900:                              ;   in Loop: Header=BB18_746 Depth=3
	s_and_saveexec_b64 s[26:27], s[12:13]
	s_cbranch_execz .LBB18_913
; %bb.901:                              ;   in Loop: Header=BB18_746 Depth=3
	s_mov_b64 s[60:61], exec
	v_mbcnt_lo_u32_b32 v0, s60, 0
	v_mbcnt_hi_u32_b32 v0, s61, v0
	v_cmp_eq_u32_e32 vcc, 0, v0
	;;#ASMSTART
	s_waitcnt lgkmcnt(0) vmcnt(0)
	;;#ASMEND
	s_and_saveexec_b64 s[58:59], vcc
	s_cbranch_execz .LBB18_903
; %bb.902:                              ;   in Loop: Header=BB18_746 Depth=3
	s_bcnt1_i32_b64 vcc_lo, s[60:61]
	v_mov_b32_e32 v38, vcc_lo
	ds_add_u64 v0, v[38:39]
	s_trap 2
.LBB18_903:                             ;   in Loop: Header=BB18_746 Depth=3
	s_or_b64 exec, exec, s[58:59]
	s_trap 2
	ds_read_b64 v[0:1], v0
	v_lshl_add_u64 v[46:47], v[46:47], 0, v[36:37]
	s_waitcnt lgkmcnt(0)
	v_cmp_lt_u64_e32 vcc, v[0:1], v[46:47]
	s_and_saveexec_b64 s[58:59], vcc
	s_cbranch_execz .LBB18_912
; %bb.904:                              ;   in Loop: Header=BB18_746 Depth=3
	s_mov_b32 s97, 0
	s_mov_b64 s[60:61], 0
                                        ; implicit-def: $sgpr62_sgpr63
                                        ; implicit-def: $sgpr64_sgpr65
	s_branch .LBB18_906
.LBB18_905:                             ;   in Loop: Header=BB18_906 Depth=4
	s_or_b64 exec, exec, s[68:69]
	s_and_b64 vcc, exec, vcc
	s_or_b64 s[60:61], vcc, s[60:61]
	s_andn2_b64 vcc, s[62:63], exec
	s_and_b64 s[62:63], s[64:65], exec
	s_or_b64 s[62:63], vcc, s[62:63]
	s_andn2_b64 exec, exec, s[60:61]
	s_cbranch_execz .LBB18_910
.LBB18_906:                             ;   Parent Loop BB18_47 Depth=1
                                        ;     Parent Loop BB18_743 Depth=2
                                        ;       Parent Loop BB18_746 Depth=3
                                        ; =>      This Inner Loop Header: Depth=4
	s_add_i32 s97, s97, 1
	s_cmpk_lg_i32 s97, 0x2710
	s_cselect_b64 s[66:67], -1, 0
	s_and_b64 vcc, exec, s[66:67]
                                        ; implicit-def: $sgpr68_sgpr69
	s_cbranch_vccnz .LBB18_908
; %bb.907:                              ;   in Loop: Header=BB18_906 Depth=4
	s_trap 2
	ds_read_b64 v[0:1], v0
	s_andn2_b64 s[66:67], s[66:67], exec
	s_mov_b32 s97, 0
	s_mov_b64 s[68:69], -1
	s_waitcnt vmcnt(0) lgkmcnt(0)
	flat_load_dword v0, v[0:1] sc0 sc1
	s_waitcnt vmcnt(0) lgkmcnt(0)
	buffer_inv sc0 sc1
	v_cmp_eq_u32_e32 vcc, 0, v0
	s_and_b64 vcc, vcc, exec
	s_or_b64 s[66:67], s[66:67], vcc
.LBB18_908:                             ;   in Loop: Header=BB18_906 Depth=4
	s_andn2_b64 s[64:65], s[64:65], exec
	s_and_b64 s[68:69], s[68:69], exec
	s_mov_b64 vcc, -1
	s_or_b64 s[64:65], s[64:65], s[68:69]
	s_and_saveexec_b64 s[68:69], s[66:67]
	s_cbranch_execz .LBB18_905
; %bb.909:                              ;   in Loop: Header=BB18_906 Depth=4
	s_sleep 1
	s_trap 2
	ds_read_b64 v[0:1], v0
	s_andn2_b64 s[64:65], s[64:65], exec
	s_waitcnt lgkmcnt(0)
	v_cmp_ge_u64_e32 vcc, v[0:1], v[46:47]
	s_orn2_b64 vcc, vcc, exec
	s_branch .LBB18_905
.LBB18_910:                             ;   in Loop: Header=BB18_746 Depth=3
	s_or_b64 exec, exec, s[60:61]
	s_and_saveexec_b64 vcc, s[62:63]
	s_xor_b64 vcc, exec, vcc
	s_cbranch_execz .LBB18_912
; %bb.911:                              ;   in Loop: Header=BB18_746 Depth=3
	ds_write_b32 v0, v15
	s_trap 2
.LBB18_912:                             ;   in Loop: Header=BB18_746 Depth=3
	s_or_b64 exec, exec, s[58:59]
	;;#ASMSTART
	s_wakeup
	;;#ASMEND
.LBB18_913:                             ;   in Loop: Header=BB18_746 Depth=3
	s_or_b64 exec, exec, s[26:27]
.LBB18_914:                             ;   in Loop: Header=BB18_746 Depth=3
	s_andn2_saveexec_b64 s[24:25], s[24:25]
	s_cbranch_execz .LBB18_916
; %bb.915:                              ;   in Loop: Header=BB18_746 Depth=3
	;;#ASMSTART
	s_waitcnt lgkmcnt(0) vmcnt(0)
	;;#ASMEND
	s_barrier
.LBB18_916:                             ;   in Loop: Header=BB18_746 Depth=3
	s_or_b64 exec, exec, s[24:25]
	v_and_b32_e32 v0, 16, v57
.LBB18_917:                             ;   in Loop: Header=BB18_746 Depth=3
	s_or_b64 exec, exec, s[22:23]
	v_cmp_ne_u32_e32 vcc, 0, v0
	s_xor_b64 s[22:23], s[6:7], -1
	s_and_b64 s[24:25], vcc, s[22:23]
	s_and_saveexec_b64 s[22:23], s[24:25]
	s_cbranch_execz .LBB18_919
; %bb.918:                              ;   in Loop: Header=BB18_746 Depth=3
	flat_store_dword v[52:53], v15 sc0 sc1
.LBB18_919:                             ;   in Loop: Header=BB18_746 Depth=3
	s_or_b64 exec, exec, s[22:23]
	v_and_b32_e32 v0, 48, v57
	v_cmp_ne_u32_e32 vcc, 0, v0
	s_and_saveexec_b64 s[22:23], vcc
	s_cbranch_execz .LBB18_745
; %bb.920:                              ;   in Loop: Header=BB18_746 Depth=3
	v_lshl_add_u64 v[10:11], v[10:11], 0, 2
	s_waitcnt vmcnt(0)
	flat_store_dwordx2 v[58:59], v[10:11] sc0 sc1
	s_branch .LBB18_745
.LBB18_921:                             ;   in Loop: Header=BB18_743 Depth=2
	s_or_b64 exec, exec, s[28:29]
	v_cmp_gt_i32_e32 vcc, 2, v0
	s_and_saveexec_b64 s[24:25], vcc
	s_cbranch_execz .LBB18_995
.LBB18_922:                             ;   in Loop: Header=BB18_743 Depth=2
	v_cmp_eq_u32_e64 s[22:23], 0, v0
	s_mov_b64 s[26:27], 0
	s_branch .LBB18_924
.LBB18_923:                             ;   in Loop: Header=BB18_924 Depth=3
	s_or_b64 exec, exec, s[22:23]
	v_add_u32_e32 v8, v60, v8
	s_mov_b64 s[22:23], 0
	s_andn2_b64 exec, exec, s[26:27]
	s_cbranch_execz .LBB18_996
.LBB18_924:                             ;   Parent Loop BB18_47 Depth=1
                                        ;     Parent Loop BB18_743 Depth=2
                                        ; =>    This Loop Header: Depth=3
                                        ;         Child Loop BB18_930 Depth 4
                                        ;         Child Loop BB18_960 Depth 4
	;; [unrolled: 1-line block ×3, first 2 shown]
	v_and_b32_e32 v0, 12, v57
	s_mov_b64 s[54:55], -1
	v_cmp_ne_u32_e32 vcc, 0, v0
	s_and_saveexec_b64 s[28:29], vcc
	s_cbranch_execz .LBB18_936
; %bb.925:                              ;   in Loop: Header=BB18_924 Depth=3
	v_and_b32_e32 v38, 8, v57
	v_lshl_add_u64 v[0:1], v[40:41], 0, v[38:39]
	v_lshl_add_u64 v[4:5], v[10:11], 0, 2
	v_cmp_lt_u64_e32 vcc, v[0:1], v[4:5]
	v_mov_b32_e32 v0, 1
	s_and_saveexec_b64 s[54:55], vcc
	s_cbranch_execz .LBB18_935
; %bb.926:                              ;   in Loop: Header=BB18_924 Depth=3
	s_mov_b64 s[56:57], 0
	v_mov_b32_e32 v0, 0
                                        ; implicit-def: $sgpr58_sgpr59
	s_branch .LBB18_930
.LBB18_927:                             ;   in Loop: Header=BB18_930 Depth=4
	s_or_b64 exec, exec, s[66:67]
	v_mov_b32_e32 v1, 0
	s_orn2_b64 s[64:65], s[64:65], exec
.LBB18_928:                             ;   in Loop: Header=BB18_930 Depth=4
	s_or_b64 exec, exec, s[62:63]
	s_andn2_b64 vcc, s[58:59], exec
	s_and_b64 s[58:59], s[64:65], exec
	s_or_b64 s[58:59], vcc, s[58:59]
	v_mov_b32_e32 v0, v1
.LBB18_929:                             ;   in Loop: Header=BB18_930 Depth=4
	s_or_b64 exec, exec, s[60:61]
	s_waitcnt vmcnt(0) lgkmcnt(0)
	v_lshl_add_u64 v[2:3], v[40:41], 0, v[38:39]
	v_cmp_ge_u64_e32 vcc, v[2:3], v[4:5]
	s_xor_b64 s[60:61], s[58:59], -1
	s_or_b64 vcc, s[60:61], vcc
	s_and_b64 vcc, exec, vcc
	s_or_b64 s[56:57], vcc, s[56:57]
	s_andn2_b64 exec, exec, s[56:57]
	s_cbranch_execz .LBB18_934
.LBB18_930:                             ;   Parent Loop BB18_47 Depth=1
                                        ;     Parent Loop BB18_743 Depth=2
                                        ;       Parent Loop BB18_924 Depth=3
                                        ; =>      This Inner Loop Header: Depth=4
	s_sleep 1
	s_waitcnt vmcnt(0)
	flat_load_dwordx2 v[40:41], v[58:59] sc0 sc1
	v_and_b32_e32 v1, 64, v57
	v_cmp_eq_u32_e32 vcc, 0, v1
	s_andn2_b64 s[58:59], s[58:59], exec
	s_and_saveexec_b64 s[60:61], vcc
	s_cbranch_execz .LBB18_929
; %bb.931:                              ;   in Loop: Header=BB18_930 Depth=4
	v_add_u32_e32 v1, 1, v0
	v_cmp_lt_i32_e32 vcc, s84, v0
	s_mov_b64 s[64:65], -1
	s_and_saveexec_b64 s[62:63], vcc
	s_cbranch_execz .LBB18_928
; %bb.932:                              ;   in Loop: Header=BB18_930 Depth=4
	s_trap 2
	ds_read_b64 v[0:1], v0
	s_waitcnt vmcnt(0) lgkmcnt(0)
	flat_load_dword v0, v[0:1] sc0 sc1
	s_waitcnt vmcnt(0) lgkmcnt(0)
	buffer_inv sc0 sc1
	v_cmp_ne_u32_e32 vcc, 0, v0
	s_and_saveexec_b64 s[66:67], vcc
	s_cbranch_execz .LBB18_927
; %bb.933:                              ;   in Loop: Header=BB18_930 Depth=4
	v_or_b32_e32 v57, 64, v57
	s_xor_b64 s[64:65], exec, -1
	ds_write_b32 v0, v0
	s_trap 2
	s_branch .LBB18_927
.LBB18_934:                             ;   in Loop: Header=BB18_924 Depth=3
	s_or_b64 exec, exec, s[56:57]
	v_and_b32_e32 v0, 12, v57
.LBB18_935:                             ;   in Loop: Header=BB18_924 Depth=3
	s_or_b64 exec, exec, s[54:55]
	v_cmp_eq_u32_e32 vcc, 0, v0
	s_orn2_b64 s[54:55], vcc, exec
	;;#ASMSTART
	s_wakeup
	;;#ASMEND
.LBB18_936:                             ;   in Loop: Header=BB18_924 Depth=3
	s_or_b64 exec, exec, s[28:29]
	s_xor_b64 s[22:23], s[22:23], -1
	s_and_b64 s[22:23], exec, s[22:23]
	s_or_b64 s[26:27], s[22:23], s[26:27]
	v_sub_u32_e32 v0, v43, v8
	s_xor_b64 s[22:23], s[54:55], -1
	v_min_i32_e32 v60, v60, v0
	s_and_saveexec_b64 s[28:29], s[22:23]
	s_cbranch_execz .LBB18_952
; %bb.937:                              ;   in Loop: Header=BB18_924 Depth=3
	v_and_b32_e32 v0, 0x108, v57
	v_cmp_ne_u32_e32 vcc, s86, v0
	v_and_b32_e32 v2, 7, v10
	s_and_saveexec_b64 s[22:23], vcc
	s_xor_b64 s[22:23], exec, s[22:23]
	s_andn2_saveexec_b64 s[22:23], s[22:23]
	s_cbranch_execz .LBB18_939
; %bb.938:                              ;   in Loop: Header=BB18_924 Depth=3
	v_accvgpr_read_b32 v0, a16
	v_accvgpr_read_b32 v1, a17
	v_ashrrev_i32_e32 v61, 31, v60
	v_mad_u64_u32 v[0:1], vcc, v2, 24, v[0:1]
	v_lshlrev_b64 v[4:5], 1, v[60:61]
	flat_store_dwordx2 v[0:1], v[4:5] offset:8
.LBB18_939:                             ;   in Loop: Header=BB18_924 Depth=3
	s_or_b64 exec, exec, s[22:23]
	v_and_b32_e32 v0, 0x100, v57
	v_cmp_ne_u32_e32 vcc, 0, v0
	s_mov_b64 s[22:23], -1
                                        ; implicit-def: $vgpr4_vgpr5
	s_and_saveexec_b64 s[54:55], vcc
	s_cbranch_execz .LBB18_943
; %bb.940:                              ;   in Loop: Header=BB18_924 Depth=3
	v_accvgpr_read_b32 v0, a16
	v_accvgpr_read_b32 v1, a17
	s_waitcnt lgkmcnt(0)
	v_mad_u64_u32 v[6:7], s[22:23], v2, 24, v[0:1]
	v_mov_b32_e32 v0, v7
	v_mad_u64_u32 v[0:1], s[22:23], v39, 24, v[0:1]
	v_mov_b32_e32 v7, v0
	flat_load_dword v0, v[6:7]
                                        ; implicit-def: $vgpr4_vgpr5
	s_waitcnt vmcnt(0) lgkmcnt(0)
	v_cmp_ne_u32_e32 vcc, 1, v0
	v_cmp_eq_u32_e64 s[22:23], 1, v0
	s_and_saveexec_b64 s[56:57], s[22:23]
	s_cbranch_execz .LBB18_942
; %bb.941:                              ;   in Loop: Header=BB18_924 Depth=3
	flat_load_dword v0, v[6:7] offset:4 sc0 sc1
	s_waitcnt vmcnt(0) lgkmcnt(0)
	v_ashrrev_i32_e32 v1, 31, v0
	v_lshrrev_b64 v[4:5], 1, v[0:1]
.LBB18_942:                             ;   in Loop: Header=BB18_924 Depth=3
	s_or_b64 exec, exec, s[56:57]
	s_orn2_b64 s[22:23], vcc, exec
.LBB18_943:                             ;   in Loop: Header=BB18_924 Depth=3
	s_or_b64 exec, exec, s[54:55]
	s_and_saveexec_b64 vcc, s[22:23]
; %bb.944:                              ;   in Loop: Header=BB18_924 Depth=3
	v_mul_lo_u32 v0, v39, v16
	v_mul_lo_u32 v1, v2, v35
	v_mad_u64_u32 v[4:5], s[22:23], v2, v16, 0
	v_add3_u32 v5, v5, v1, v0
; %bb.945:                              ;   in Loop: Header=BB18_924 Depth=3
	s_or_b64 exec, exec, vcc
	v_lshl_add_u64 v[0:1], v[4:5], 1, v[48:49]
	s_trap 2
	ds_write_b64 v0, v[0:1]
	v_and_b32_e32 v0, 0x2000, v57
	v_cmp_ne_u32_e32 vcc, 0, v0
	s_and_saveexec_b64 s[22:23], vcc
	s_cbranch_execz .LBB18_947
; %bb.946:                              ;   in Loop: Header=BB18_924 Depth=3
	ds_read_b64 v[0:1], v0 offset:584
	s_waitcnt lgkmcnt(0)
	v_lshl_add_u64 v[0:1], v[0:1], 0, 1
	ds_write_b64 v0, v[0:1] offset:584
.LBB18_947:                             ;   in Loop: Header=BB18_924 Depth=3
	s_or_b64 exec, exec, s[22:23]
	v_lshl_add_u64 v[10:11], v[10:11], 0, 2
	s_or_b64 exec, exec, s[28:29]
	s_and_saveexec_b64 s[22:23], s[4:5]
	s_cbranch_execnz .LBB18_953
.LBB18_948:                             ;   in Loop: Header=BB18_924 Depth=3
	s_or_b64 exec, exec, s[22:23]
                                        ; implicit-def: $vgpr0
	s_and_saveexec_b64 s[22:23], s[20:21]
	s_xor_b64 s[22:23], exec, s[22:23]
	s_cbranch_execz .LBB18_971
.LBB18_949:                             ;   in Loop: Header=BB18_924 Depth=3
	s_trap 2
	ds_read_b32 v1, v0
	v_cmp_lt_i32_e32 vcc, 0, v60
	v_and_b32_e32 v2, 16, v57
	v_and_b32_e32 v0, 16, v57
	s_waitcnt lgkmcnt(0)
	v_readfirstlane_b32 s28, v1
	s_cmp_eq_u32 s28, 0
	s_cselect_b64 s[28:29], -1, 0
	s_and_b64 s[28:29], vcc, s[28:29]
	v_cmp_ne_u32_e32 vcc, 0, v2
	s_and_b64 vcc, vcc, s[28:29]
	s_and_saveexec_b64 s[28:29], vcc
	s_cbranch_execz .LBB18_951
; %bb.950:                              ;   in Loop: Header=BB18_924 Depth=3
	v_mov_b32_e32 v0, 1
	buffer_wbl2 sc1
	s_waitcnt vmcnt(0)
	buffer_inv sc1
.LBB18_951:                             ;   in Loop: Header=BB18_924 Depth=3
	s_or_b64 exec, exec, s[28:29]
	s_andn2_saveexec_b64 s[22:23], s[22:23]
	s_cbranch_execz .LBB18_990
	s_branch .LBB18_972
.LBB18_952:                             ;   in Loop: Header=BB18_924 Depth=3
	s_or_b64 exec, exec, s[28:29]
	s_and_saveexec_b64 s[22:23], s[4:5]
	s_cbranch_execz .LBB18_948
.LBB18_953:                             ;   in Loop: Header=BB18_924 Depth=3
	s_and_saveexec_b64 s[28:29], s[38:39]
	s_xor_b64 s[28:29], exec, s[28:29]
	s_cbranch_execz .LBB18_968
; %bb.954:                              ;   in Loop: Header=BB18_924 Depth=3
	s_and_saveexec_b64 s[54:55], s[12:13]
	s_cbranch_execz .LBB18_967
; %bb.955:                              ;   in Loop: Header=BB18_924 Depth=3
	s_mov_b64 s[58:59], exec
	v_mbcnt_lo_u32_b32 v0, s58, 0
	v_mbcnt_hi_u32_b32 v0, s59, v0
	v_cmp_eq_u32_e32 vcc, 0, v0
	s_waitcnt lgkmcnt(0)
	s_and_saveexec_b64 s[56:57], vcc
	s_cbranch_execz .LBB18_957
; %bb.956:                              ;   in Loop: Header=BB18_924 Depth=3
	s_bcnt1_i32_b64 vcc_lo, s[58:59]
	v_mov_b32_e32 v38, vcc_lo
	ds_add_u64 v0, v[38:39]
	s_trap 2
.LBB18_957:                             ;   in Loop: Header=BB18_924 Depth=3
	s_or_b64 exec, exec, s[56:57]
	s_trap 2
	ds_read_b64 v[0:1], v0
	v_lshl_add_u64 v[46:47], v[46:47], 0, v[36:37]
	s_waitcnt lgkmcnt(0)
	v_cmp_lt_u64_e32 vcc, v[0:1], v[46:47]
	s_and_saveexec_b64 s[56:57], vcc
	s_cbranch_execz .LBB18_966
; %bb.958:                              ;   in Loop: Header=BB18_924 Depth=3
	s_mov_b32 s68, 0
	s_mov_b64 s[58:59], 0
                                        ; implicit-def: $sgpr60_sgpr61
                                        ; implicit-def: $sgpr62_sgpr63
	s_branch .LBB18_960
.LBB18_959:                             ;   in Loop: Header=BB18_960 Depth=4
	s_or_b64 exec, exec, s[66:67]
	s_and_b64 vcc, exec, vcc
	s_or_b64 s[58:59], vcc, s[58:59]
	s_andn2_b64 vcc, s[60:61], exec
	s_and_b64 s[60:61], s[62:63], exec
	s_or_b64 s[60:61], vcc, s[60:61]
	s_andn2_b64 exec, exec, s[58:59]
	s_cbranch_execz .LBB18_964
.LBB18_960:                             ;   Parent Loop BB18_47 Depth=1
                                        ;     Parent Loop BB18_743 Depth=2
                                        ;       Parent Loop BB18_924 Depth=3
                                        ; =>      This Inner Loop Header: Depth=4
	s_add_i32 s68, s68, 1
	s_cmpk_lg_i32 s68, 0x2710
	s_cselect_b64 s[64:65], -1, 0
	s_and_b64 vcc, exec, s[64:65]
                                        ; implicit-def: $sgpr66_sgpr67
	s_cbranch_vccnz .LBB18_962
; %bb.961:                              ;   in Loop: Header=BB18_960 Depth=4
	s_trap 2
	ds_read_b64 v[0:1], v0
	s_andn2_b64 s[64:65], s[64:65], exec
	s_mov_b32 s68, 0
	s_mov_b64 s[66:67], -1
	s_waitcnt vmcnt(0) lgkmcnt(0)
	flat_load_dword v0, v[0:1] sc0 sc1
	s_waitcnt vmcnt(0) lgkmcnt(0)
	buffer_inv sc0 sc1
	v_cmp_eq_u32_e32 vcc, 0, v0
	s_and_b64 vcc, vcc, exec
	s_or_b64 s[64:65], s[64:65], vcc
.LBB18_962:                             ;   in Loop: Header=BB18_960 Depth=4
	s_andn2_b64 s[62:63], s[62:63], exec
	s_and_b64 s[66:67], s[66:67], exec
	s_mov_b64 vcc, -1
	s_or_b64 s[62:63], s[62:63], s[66:67]
	s_and_saveexec_b64 s[66:67], s[64:65]
	s_cbranch_execz .LBB18_959
; %bb.963:                              ;   in Loop: Header=BB18_960 Depth=4
	s_sleep 1
	s_trap 2
	ds_read_b64 v[0:1], v0
	s_andn2_b64 s[62:63], s[62:63], exec
	s_waitcnt lgkmcnt(0)
	v_cmp_ge_u64_e32 vcc, v[0:1], v[46:47]
	s_orn2_b64 vcc, vcc, exec
	s_branch .LBB18_959
.LBB18_964:                             ;   in Loop: Header=BB18_924 Depth=3
	s_or_b64 exec, exec, s[58:59]
	s_and_saveexec_b64 vcc, s[60:61]
	s_xor_b64 vcc, exec, vcc
	s_cbranch_execz .LBB18_966
; %bb.965:                              ;   in Loop: Header=BB18_924 Depth=3
	ds_write_b32 v0, v15
	s_trap 2
.LBB18_966:                             ;   in Loop: Header=BB18_924 Depth=3
	s_or_b64 exec, exec, s[56:57]
	;;#ASMSTART
	s_wakeup
	;;#ASMEND
.LBB18_967:                             ;   in Loop: Header=BB18_924 Depth=3
	s_or_b64 exec, exec, s[54:55]
.LBB18_968:                             ;   in Loop: Header=BB18_924 Depth=3
	s_andn2_saveexec_b64 s[28:29], s[28:29]
	s_cbranch_execz .LBB18_970
; %bb.969:                              ;   in Loop: Header=BB18_924 Depth=3
	s_waitcnt lgkmcnt(0)
	s_barrier
.LBB18_970:                             ;   in Loop: Header=BB18_924 Depth=3
	s_or_b64 exec, exec, s[28:29]
	s_or_b64 exec, exec, s[22:23]
                                        ; implicit-def: $vgpr0
	s_and_saveexec_b64 s[22:23], s[20:21]
	s_xor_b64 s[22:23], exec, s[22:23]
	s_cbranch_execnz .LBB18_949
.LBB18_971:                             ;   in Loop: Header=BB18_924 Depth=3
	s_andn2_saveexec_b64 s[22:23], s[22:23]
	s_cbranch_execz .LBB18_990
.LBB18_972:                             ;   in Loop: Header=BB18_924 Depth=3
	s_and_saveexec_b64 s[28:29], s[38:39]
	s_xor_b64 s[28:29], exec, s[28:29]
	s_cbranch_execz .LBB18_987
; %bb.973:                              ;   in Loop: Header=BB18_924 Depth=3
	s_and_saveexec_b64 s[54:55], s[12:13]
	s_cbranch_execz .LBB18_986
; %bb.974:                              ;   in Loop: Header=BB18_924 Depth=3
	s_mov_b64 s[58:59], exec
	v_mbcnt_lo_u32_b32 v0, s58, 0
	v_mbcnt_hi_u32_b32 v0, s59, v0
	v_cmp_eq_u32_e32 vcc, 0, v0
	;;#ASMSTART
	s_waitcnt lgkmcnt(0) vmcnt(0)
	;;#ASMEND
	s_and_saveexec_b64 s[56:57], vcc
	s_cbranch_execz .LBB18_976
; %bb.975:                              ;   in Loop: Header=BB18_924 Depth=3
	s_bcnt1_i32_b64 vcc_lo, s[58:59]
	v_mov_b32_e32 v38, vcc_lo
	ds_add_u64 v0, v[38:39]
	s_trap 2
.LBB18_976:                             ;   in Loop: Header=BB18_924 Depth=3
	s_or_b64 exec, exec, s[56:57]
	s_trap 2
	ds_read_b64 v[0:1], v0
	v_lshl_add_u64 v[46:47], v[46:47], 0, v[36:37]
	s_waitcnt lgkmcnt(0)
	v_cmp_lt_u64_e32 vcc, v[0:1], v[46:47]
	s_and_saveexec_b64 s[56:57], vcc
	s_cbranch_execz .LBB18_985
; %bb.977:                              ;   in Loop: Header=BB18_924 Depth=3
	s_mov_b32 s68, 0
	s_mov_b64 s[58:59], 0
                                        ; implicit-def: $sgpr60_sgpr61
                                        ; implicit-def: $sgpr62_sgpr63
	s_branch .LBB18_979
.LBB18_978:                             ;   in Loop: Header=BB18_979 Depth=4
	s_or_b64 exec, exec, s[66:67]
	s_and_b64 vcc, exec, vcc
	s_or_b64 s[58:59], vcc, s[58:59]
	s_andn2_b64 vcc, s[60:61], exec
	s_and_b64 s[60:61], s[62:63], exec
	s_or_b64 s[60:61], vcc, s[60:61]
	s_andn2_b64 exec, exec, s[58:59]
	s_cbranch_execz .LBB18_983
.LBB18_979:                             ;   Parent Loop BB18_47 Depth=1
                                        ;     Parent Loop BB18_743 Depth=2
                                        ;       Parent Loop BB18_924 Depth=3
                                        ; =>      This Inner Loop Header: Depth=4
	s_add_i32 s68, s68, 1
	s_cmpk_lg_i32 s68, 0x2710
	s_cselect_b64 s[64:65], -1, 0
	s_and_b64 vcc, exec, s[64:65]
                                        ; implicit-def: $sgpr66_sgpr67
	s_cbranch_vccnz .LBB18_981
; %bb.980:                              ;   in Loop: Header=BB18_979 Depth=4
	s_trap 2
	ds_read_b64 v[0:1], v0
	s_andn2_b64 s[64:65], s[64:65], exec
	s_mov_b32 s68, 0
	s_mov_b64 s[66:67], -1
	s_waitcnt vmcnt(0) lgkmcnt(0)
	flat_load_dword v0, v[0:1] sc0 sc1
	s_waitcnt vmcnt(0) lgkmcnt(0)
	buffer_inv sc0 sc1
	v_cmp_eq_u32_e32 vcc, 0, v0
	s_and_b64 vcc, vcc, exec
	s_or_b64 s[64:65], s[64:65], vcc
.LBB18_981:                             ;   in Loop: Header=BB18_979 Depth=4
	s_andn2_b64 s[62:63], s[62:63], exec
	s_and_b64 s[66:67], s[66:67], exec
	s_mov_b64 vcc, -1
	s_or_b64 s[62:63], s[62:63], s[66:67]
	s_and_saveexec_b64 s[66:67], s[64:65]
	s_cbranch_execz .LBB18_978
; %bb.982:                              ;   in Loop: Header=BB18_979 Depth=4
	s_sleep 1
	s_trap 2
	ds_read_b64 v[0:1], v0
	s_andn2_b64 s[62:63], s[62:63], exec
	s_waitcnt lgkmcnt(0)
	v_cmp_ge_u64_e32 vcc, v[0:1], v[46:47]
	s_orn2_b64 vcc, vcc, exec
	s_branch .LBB18_978
.LBB18_983:                             ;   in Loop: Header=BB18_924 Depth=3
	s_or_b64 exec, exec, s[58:59]
	s_and_saveexec_b64 vcc, s[60:61]
	s_xor_b64 vcc, exec, vcc
	s_cbranch_execz .LBB18_985
; %bb.984:                              ;   in Loop: Header=BB18_924 Depth=3
	ds_write_b32 v0, v15
	s_trap 2
.LBB18_985:                             ;   in Loop: Header=BB18_924 Depth=3
	s_or_b64 exec, exec, s[56:57]
	;;#ASMSTART
	s_wakeup
	;;#ASMEND
.LBB18_986:                             ;   in Loop: Header=BB18_924 Depth=3
	s_or_b64 exec, exec, s[54:55]
.LBB18_987:                             ;   in Loop: Header=BB18_924 Depth=3
	s_andn2_saveexec_b64 s[28:29], s[28:29]
	s_cbranch_execz .LBB18_989
; %bb.988:                              ;   in Loop: Header=BB18_924 Depth=3
	;;#ASMSTART
	s_waitcnt lgkmcnt(0) vmcnt(0)
	;;#ASMEND
	s_barrier
.LBB18_989:                             ;   in Loop: Header=BB18_924 Depth=3
	s_or_b64 exec, exec, s[28:29]
	v_and_b32_e32 v0, 16, v57
.LBB18_990:                             ;   in Loop: Header=BB18_924 Depth=3
	s_or_b64 exec, exec, s[22:23]
	v_cmp_ne_u32_e32 vcc, 0, v0
	s_xor_b64 s[22:23], s[6:7], -1
	s_and_b64 s[28:29], vcc, s[22:23]
	s_and_saveexec_b64 s[22:23], s[28:29]
	s_cbranch_execz .LBB18_992
; %bb.991:                              ;   in Loop: Header=BB18_924 Depth=3
	flat_store_dword v[52:53], v15 sc0 sc1
.LBB18_992:                             ;   in Loop: Header=BB18_924 Depth=3
	s_or_b64 exec, exec, s[22:23]
	v_and_b32_e32 v0, 48, v57
	v_cmp_ne_u32_e32 vcc, 0, v0
	s_and_saveexec_b64 s[22:23], vcc
	s_cbranch_execz .LBB18_923
; %bb.993:                              ;   in Loop: Header=BB18_924 Depth=3
	v_lshl_add_u64 v[10:11], v[10:11], 0, 2
	s_waitcnt vmcnt(0)
	flat_store_dwordx2 v[58:59], v[10:11] sc0 sc1
	s_branch .LBB18_923
.LBB18_994:                             ;   in Loop: Header=BB18_743 Depth=2
	s_or_b64 exec, exec, s[54:55]
	s_or_b64 exec, exec, s[28:29]
	v_cmp_gt_i32_e32 vcc, 2, v0
	s_and_saveexec_b64 s[24:25], vcc
	s_cbranch_execnz .LBB18_922
.LBB18_995:                             ;   in Loop: Header=BB18_743 Depth=2
	s_or_b64 exec, exec, s[24:25]
	s_add_i32 s22, s70, 1
	s_cmp_eq_u32 s70, s83
	s_cbranch_scc0 .LBB18_997
	s_branch .LBB18_998
.LBB18_996:                             ;   in Loop: Header=BB18_743 Depth=2
	s_or_b64 exec, exec, s[26:27]
	s_or_b64 exec, exec, s[24:25]
	s_add_i32 s22, s70, 1
	s_cmp_eq_u32 s70, s83
	s_cbranch_scc1 .LBB18_998
.LBB18_997:                             ;   in Loop: Header=BB18_743 Depth=2
	s_mov_b32 s70, s22
	s_branch .LBB18_743
.LBB18_998:                             ;   in Loop: Header=BB18_47 Depth=1
	scratch_load_dwordx2 v[2:3], off, s33 offset:224 ; 8-byte Folded Reload
	s_waitcnt lgkmcnt(0)
	v_mov_b32_e32 v6, 0
	s_waitcnt vmcnt(0)
	v_mul_lo_u32 v0, v3, s81
	v_mul_lo_u32 v1, v2, s82
	v_mad_u64_u32 v[4:5], s[22:23], v2, s81, 0
	v_add3_u32 v5, v5, v1, v0
	scratch_load_dwordx2 v[0:1], off, s33 offset:216 ; 8-byte Folded Reload
	s_waitcnt vmcnt(0)
	v_sub_co_u32_e32 v0, vcc, v0, v4
	s_nop 1
	v_subb_co_u32_e32 v1, vcc, v1, v5, vcc
	v_cmp_lt_i64_e32 vcc, v[2:3], v[0:1]
	s_nop 1
	v_cndmask_b32_e32 v0, v0, v2, vcc
	v_max_i32_e32 v60, 0, v0
	v_add_u32_e32 v1, 31, v60
	v_ashrrev_i32_e32 v2, 31, v1
	v_lshrrev_b32_e32 v2, 27, v2
	v_add_u32_e32 v1, v1, v2
	v_ashrrev_i32_e32 v1, 5, v1
	v_lshlrev_b32_e32 v1, 4, v1
	v_cmp_lt_i32_e32 vcc, 0, v0
	v_max_i32_e32 v61, s80, v1
	s_and_b64 s[22:23], s[50:51], vcc
	v_mov_b32_e32 v0, 0
	s_and_saveexec_b64 s[24:25], s[22:23]
	s_cbranch_execz .LBB18_1138
; %bb.999:                              ;   in Loop: Header=BB18_47 Depth=1
	v_accvgpr_read_b32 v0, a62
	v_accvgpr_read_b32 v1, a63
	v_lshl_add_u64 v[0:1], v[4:5], 0, v[0:1]
	v_lshlrev_b64 v[0:1], 1, v[0:1]
	v_accvgpr_write_b32 a33, v1
	s_mov_b32 s70, 1
	s_mov_b64 s[28:29], -1
	s_mov_b64 s[26:27], 0
	v_mov_b32_e32 v6, 0
	v_accvgpr_write_b32 a32, v0
	s_branch .LBB18_1001
.LBB18_1000:                            ;   in Loop: Header=BB18_1001 Depth=2
	s_or_b64 exec, exec, s[22:23]
	v_add_u32_e32 v6, v61, v6
	v_cmp_ge_i32_e32 vcc, v6, v60
	s_xor_b64 s[22:23], s[28:29], -1
	s_or_b64 s[22:23], s[22:23], vcc
	s_and_b64 s[22:23], exec, s[22:23]
	s_or_b64 s[26:27], s[22:23], s[26:27]
	s_mov_b64 s[28:29], 0
	v_mov_b32_e32 v0, s70
	s_mov_b32 s70, 2
	s_andn2_b64 exec, exec, s[26:27]
	s_cbranch_execz .LBB18_1137
.LBB18_1001:                            ;   Parent Loop BB18_47 Depth=1
                                        ; =>  This Loop Header: Depth=2
                                        ;       Child Loop BB18_1009 Depth 3
                                        ;       Child Loop BB18_1033 Depth 3
	;; [unrolled: 1-line block ×9, first 2 shown]
	s_and_saveexec_b64 s[22:23], s[0:1]
	s_cbranch_execz .LBB18_1003
; %bb.1002:                             ;   in Loop: Header=BB18_1001 Depth=2
	s_trap 2
	v_mov_b32_e32 v54, v6
	v_mov_b64_e32 v[6:7], v[10:11]
	ds_read_b128 v[8:11], v0
	v_accvgpr_read_b32 v4, a32
	v_ashrrev_i32_e32 v55, 31, v54
	v_accvgpr_read_b32 v5, a33
	v_lshlrev_b64 v[0:1], 1, v[54:55]
	s_waitcnt lgkmcnt(0)
	v_lshl_add_u64 v[2:3], v[8:9], 0, v[4:5]
	v_lshl_add_u64 v[4:5], v[10:11], 0, v[4:5]
	v_lshl_add_u64 v[2:3], v[2:3], 0, v[0:1]
	ds_write_b64 v0, v[2:3]
	v_lshl_add_u64 v[0:1], v[4:5], 0, v[0:1]
	v_cmp_ne_u64_e32 vcc, 0, v[10:11]
	v_mov_b64_e32 v[10:11], v[6:7]
	v_mov_b32_e32 v6, v54
	v_cndmask_b32_e32 v1, 0, v1, vcc
	v_cndmask_b32_e32 v0, 0, v0, vcc
	ds_write_b64 v0, v[0:1]
.LBB18_1003:                            ;   in Loop: Header=BB18_1001 Depth=2
	s_or_b64 exec, exec, s[22:23]
	v_and_b32_e32 v0, 4, v57
	v_cmp_ne_u32_e32 vcc, 0, v0
	s_mov_b64 s[54:55], -1
	s_and_saveexec_b64 s[22:23], vcc
	s_cbranch_execz .LBB18_1013
; %bb.1004:                             ;   in Loop: Header=BB18_1001 Depth=2
	v_lshl_add_u64 v[4:5], v[10:11], 0, 2
	v_cmp_lt_u64_e32 vcc, v[40:41], v[4:5]
	v_mov_b32_e32 v0, 1
	s_and_saveexec_b64 s[54:55], vcc
	s_cbranch_execz .LBB18_1024
; %bb.1005:                             ;   in Loop: Header=BB18_1001 Depth=2
	s_mov_b64 s[56:57], 0
	v_mov_b32_e32 v0, 0
                                        ; implicit-def: $sgpr58_sgpr59
	s_branch .LBB18_1009
.LBB18_1006:                            ;   in Loop: Header=BB18_1009 Depth=3
	s_or_b64 exec, exec, s[66:67]
	v_mov_b32_e32 v1, 0
	s_orn2_b64 s[64:65], s[64:65], exec
.LBB18_1007:                            ;   in Loop: Header=BB18_1009 Depth=3
	s_or_b64 exec, exec, s[62:63]
	s_andn2_b64 vcc, s[58:59], exec
	s_and_b64 s[58:59], s[64:65], exec
	s_or_b64 s[58:59], vcc, s[58:59]
	v_mov_b32_e32 v0, v1
.LBB18_1008:                            ;   in Loop: Header=BB18_1009 Depth=3
	s_or_b64 exec, exec, s[60:61]
	s_waitcnt vmcnt(0) lgkmcnt(0)
	v_cmp_ge_u64_e32 vcc, v[40:41], v[4:5]
	s_xor_b64 s[60:61], s[58:59], -1
	s_or_b64 vcc, s[60:61], vcc
	s_and_b64 vcc, exec, vcc
	s_or_b64 s[56:57], vcc, s[56:57]
	s_andn2_b64 exec, exec, s[56:57]
	s_cbranch_execz .LBB18_1023
.LBB18_1009:                            ;   Parent Loop BB18_47 Depth=1
                                        ;     Parent Loop BB18_1001 Depth=2
                                        ; =>    This Inner Loop Header: Depth=3
	s_sleep 1
	s_waitcnt vmcnt(0)
	flat_load_dwordx2 v[40:41], v[58:59] sc0 sc1
	v_and_b32_e32 v1, 64, v57
	v_cmp_eq_u32_e32 vcc, 0, v1
	s_andn2_b64 s[58:59], s[58:59], exec
	s_and_saveexec_b64 s[60:61], vcc
	s_cbranch_execz .LBB18_1008
; %bb.1010:                             ;   in Loop: Header=BB18_1009 Depth=3
	v_add_u32_e32 v1, 1, v0
	v_cmp_lt_i32_e32 vcc, s84, v0
	s_mov_b64 s[64:65], -1
	s_and_saveexec_b64 s[62:63], vcc
	s_cbranch_execz .LBB18_1007
; %bb.1011:                             ;   in Loop: Header=BB18_1009 Depth=3
	s_trap 2
	ds_read_b64 v[0:1], v0
	s_waitcnt vmcnt(0) lgkmcnt(0)
	flat_load_dword v0, v[0:1] sc0 sc1
	s_waitcnt vmcnt(0) lgkmcnt(0)
	buffer_inv sc0 sc1
	v_cmp_ne_u32_e32 vcc, 0, v0
	s_and_saveexec_b64 s[66:67], vcc
	s_cbranch_execz .LBB18_1006
; %bb.1012:                             ;   in Loop: Header=BB18_1009 Depth=3
	v_or_b32_e32 v57, 64, v57
	s_xor_b64 s[64:65], exec, -1
	ds_write_b32 v0, v0
	s_trap 2
	s_branch .LBB18_1006
.LBB18_1013:                            ;   in Loop: Header=BB18_1001 Depth=2
	s_or_b64 exec, exec, s[22:23]
	s_xor_b64 s[22:23], s[54:55], -1
	s_and_saveexec_b64 s[54:55], s[22:23]
	s_cbranch_execz .LBB18_1025
.LBB18_1014:                            ;   in Loop: Header=BB18_1001 Depth=2
	v_and_b32_e32 v0, 0x100, v57
	v_cmp_ne_u32_e32 vcc, 0, v0
	v_and_b32_e32 v0, 7, v10
	s_mov_b64 s[22:23], -1
                                        ; implicit-def: $vgpr4_vgpr5
	s_and_saveexec_b64 s[56:57], vcc
	s_cbranch_execz .LBB18_1018
; %bb.1015:                             ;   in Loop: Header=BB18_1001 Depth=2
	v_accvgpr_read_b32 v2, a16
	v_accvgpr_read_b32 v3, a17
	v_mad_u64_u32 v[8:9], s[22:23], v0, 24, v[2:3]
	flat_load_dword v1, v[8:9]
                                        ; implicit-def: $vgpr4_vgpr5
	s_waitcnt vmcnt(0) lgkmcnt(0)
	v_cmp_ne_u32_e32 vcc, 1, v1
	v_cmp_eq_u32_e64 s[22:23], 1, v1
	s_and_saveexec_b64 s[58:59], s[22:23]
	s_cbranch_execz .LBB18_1017
; %bb.1016:                             ;   in Loop: Header=BB18_1001 Depth=2
	flat_load_dword v2, v[8:9] offset:4 sc0 sc1
	s_waitcnt vmcnt(0) lgkmcnt(0)
	v_ashrrev_i32_e32 v3, 31, v2
	v_lshrrev_b64 v[4:5], 1, v[2:3]
.LBB18_1017:                            ;   in Loop: Header=BB18_1001 Depth=2
	s_or_b64 exec, exec, s[58:59]
	s_orn2_b64 s[22:23], vcc, exec
.LBB18_1018:                            ;   in Loop: Header=BB18_1001 Depth=2
	s_or_b64 exec, exec, s[56:57]
	s_and_saveexec_b64 vcc, s[22:23]
; %bb.1019:                             ;   in Loop: Header=BB18_1001 Depth=2
	v_mad_i64_i32 v[4:5], s[22:23], v0, v16, 0
; %bb.1020:                             ;   in Loop: Header=BB18_1001 Depth=2
	s_or_b64 exec, exec, vcc
	v_lshl_add_u64 v[0:1], v[4:5], 1, v[48:49]
	ds_write_b64 v0, v[0:1] offset:720
	v_and_b32_e32 v0, 0x2000, v57
	v_cmp_ne_u32_e32 vcc, 0, v0
	s_and_saveexec_b64 s[22:23], vcc
	s_cbranch_execz .LBB18_1022
; %bb.1021:                             ;   in Loop: Header=BB18_1001 Depth=2
	ds_read_b64 v[0:1], v0 offset:584
	s_waitcnt lgkmcnt(0)
	v_lshl_add_u64 v[0:1], v[0:1], 0, 1
	ds_write_b64 v0, v[0:1] offset:584
.LBB18_1022:                            ;   in Loop: Header=BB18_1001 Depth=2
	s_or_b64 exec, exec, s[22:23]
	v_lshl_add_u64 v[10:11], v[10:11], 0, 2
	s_or_b64 exec, exec, s[54:55]
	s_and_saveexec_b64 s[22:23], s[4:5]
	s_cbranch_execz .LBB18_1044
	s_branch .LBB18_1026
.LBB18_1023:                            ;   in Loop: Header=BB18_1001 Depth=2
	s_or_b64 exec, exec, s[56:57]
	v_and_b32_e32 v0, 4, v57
.LBB18_1024:                            ;   in Loop: Header=BB18_1001 Depth=2
	s_or_b64 exec, exec, s[54:55]
	v_cmp_eq_u32_e32 vcc, 0, v0
	s_orn2_b64 s[54:55], vcc, exec
	;;#ASMSTART
	s_wakeup
	;;#ASMEND
	s_or_b64 exec, exec, s[22:23]
	s_xor_b64 s[22:23], s[54:55], -1
	s_and_saveexec_b64 s[54:55], s[22:23]
	s_cbranch_execnz .LBB18_1014
.LBB18_1025:                            ;   in Loop: Header=BB18_1001 Depth=2
	s_or_b64 exec, exec, s[54:55]
	s_and_saveexec_b64 s[22:23], s[4:5]
	s_cbranch_execz .LBB18_1044
.LBB18_1026:                            ;   in Loop: Header=BB18_1001 Depth=2
	s_and_saveexec_b64 vcc, s[38:39]
	s_xor_b64 s[54:55], exec, vcc
	s_cbranch_execz .LBB18_1041
; %bb.1027:                             ;   in Loop: Header=BB18_1001 Depth=2
	s_and_saveexec_b64 s[56:57], s[12:13]
	s_cbranch_execz .LBB18_1040
; %bb.1028:                             ;   in Loop: Header=BB18_1001 Depth=2
	s_mov_b64 s[60:61], exec
	v_mbcnt_lo_u32_b32 v0, s60, 0
	v_mbcnt_hi_u32_b32 v0, s61, v0
	v_cmp_eq_u32_e32 vcc, 0, v0
	s_waitcnt lgkmcnt(0)
	s_and_saveexec_b64 s[58:59], vcc
	s_cbranch_execz .LBB18_1030
; %bb.1029:                             ;   in Loop: Header=BB18_1001 Depth=2
	s_bcnt1_i32_b64 vcc_lo, s[60:61]
	v_mov_b32_e32 v38, vcc_lo
	ds_add_u64 v0, v[38:39]
	s_trap 2
.LBB18_1030:                            ;   in Loop: Header=BB18_1001 Depth=2
	s_or_b64 exec, exec, s[58:59]
	s_trap 2
	ds_read_b64 v[0:1], v0
	v_lshl_add_u64 v[46:47], v[46:47], 0, v[36:37]
	s_waitcnt lgkmcnt(0)
	v_cmp_lt_u64_e32 vcc, v[0:1], v[46:47]
	s_and_saveexec_b64 s[58:59], vcc
	s_cbranch_execz .LBB18_1039
; %bb.1031:                             ;   in Loop: Header=BB18_1001 Depth=2
	s_mov_b32 s71, 0
	s_mov_b64 s[60:61], 0
                                        ; implicit-def: $sgpr62_sgpr63
                                        ; implicit-def: $sgpr64_sgpr65
	s_branch .LBB18_1033
.LBB18_1032:                            ;   in Loop: Header=BB18_1033 Depth=3
	s_or_b64 exec, exec, s[68:69]
	s_and_b64 vcc, exec, vcc
	s_or_b64 s[60:61], vcc, s[60:61]
	s_andn2_b64 vcc, s[62:63], exec
	s_and_b64 s[62:63], s[64:65], exec
	s_or_b64 s[62:63], vcc, s[62:63]
	s_andn2_b64 exec, exec, s[60:61]
	s_cbranch_execz .LBB18_1037
.LBB18_1033:                            ;   Parent Loop BB18_47 Depth=1
                                        ;     Parent Loop BB18_1001 Depth=2
                                        ; =>    This Inner Loop Header: Depth=3
	s_add_i32 s71, s71, 1
	s_cmpk_lg_i32 s71, 0x2710
	s_cselect_b64 s[66:67], -1, 0
	s_and_b64 vcc, exec, s[66:67]
                                        ; implicit-def: $sgpr68_sgpr69
	s_cbranch_vccnz .LBB18_1035
; %bb.1034:                             ;   in Loop: Header=BB18_1033 Depth=3
	s_trap 2
	ds_read_b64 v[0:1], v0
	s_andn2_b64 s[66:67], s[66:67], exec
	s_mov_b32 s71, 0
	s_mov_b64 s[68:69], -1
	s_waitcnt lgkmcnt(0)
	flat_load_dword v0, v[0:1] sc0 sc1
	s_waitcnt vmcnt(0) lgkmcnt(0)
	buffer_inv sc0 sc1
	v_cmp_eq_u32_e32 vcc, 0, v0
	s_and_b64 vcc, vcc, exec
	s_or_b64 s[66:67], s[66:67], vcc
.LBB18_1035:                            ;   in Loop: Header=BB18_1033 Depth=3
	s_andn2_b64 s[64:65], s[64:65], exec
	s_and_b64 s[68:69], s[68:69], exec
	s_mov_b64 vcc, -1
	s_or_b64 s[64:65], s[64:65], s[68:69]
	s_and_saveexec_b64 s[68:69], s[66:67]
	s_cbranch_execz .LBB18_1032
; %bb.1036:                             ;   in Loop: Header=BB18_1033 Depth=3
	s_sleep 1
	s_trap 2
	ds_read_b64 v[0:1], v0
	s_andn2_b64 s[64:65], s[64:65], exec
	s_waitcnt lgkmcnt(0)
	v_cmp_ge_u64_e32 vcc, v[0:1], v[46:47]
	s_orn2_b64 vcc, vcc, exec
	s_branch .LBB18_1032
.LBB18_1037:                            ;   in Loop: Header=BB18_1001 Depth=2
	s_or_b64 exec, exec, s[60:61]
	s_and_saveexec_b64 vcc, s[62:63]
	s_xor_b64 vcc, exec, vcc
	s_cbranch_execz .LBB18_1039
; %bb.1038:                             ;   in Loop: Header=BB18_1001 Depth=2
	ds_write_b32 v0, v15
	s_trap 2
.LBB18_1039:                            ;   in Loop: Header=BB18_1001 Depth=2
	s_or_b64 exec, exec, s[58:59]
	;;#ASMSTART
	s_wakeup
	;;#ASMEND
.LBB18_1040:                            ;   in Loop: Header=BB18_1001 Depth=2
	s_or_b64 exec, exec, s[56:57]
.LBB18_1041:                            ;   in Loop: Header=BB18_1001 Depth=2
	s_andn2_saveexec_b64 vcc, s[54:55]
	s_cbranch_execz .LBB18_1043
; %bb.1042:                             ;   in Loop: Header=BB18_1001 Depth=2
	s_waitcnt lgkmcnt(0)
	s_barrier
.LBB18_1043:                            ;   in Loop: Header=BB18_1001 Depth=2
	s_or_b64 exec, exec, vcc
.LBB18_1044:                            ;   in Loop: Header=BB18_1001 Depth=2
	s_or_b64 exec, exec, s[22:23]
	s_trap 2
	ds_read_b32 v1, v0
	v_and_b32_e32 v0, 0x4000, v57
	v_cmp_ne_u32_e32 vcc, 0, v0
	s_xor_b64 s[22:23], s[2:3], -1
	s_and_b64 vcc, s[22:23], vcc
	s_and_saveexec_b64 s[22:23], vcc
	s_cbranch_execz .LBB18_1063
; %bb.1045:                             ;   in Loop: Header=BB18_1001 Depth=2
	s_and_saveexec_b64 vcc, s[38:39]
	s_xor_b64 s[54:55], exec, vcc
	s_cbranch_execz .LBB18_1060
; %bb.1046:                             ;   in Loop: Header=BB18_1001 Depth=2
	s_and_saveexec_b64 s[56:57], s[12:13]
	s_cbranch_execz .LBB18_1059
; %bb.1047:                             ;   in Loop: Header=BB18_1001 Depth=2
	s_mov_b64 s[60:61], exec
	v_mbcnt_lo_u32_b32 v0, s60, 0
	v_mbcnt_hi_u32_b32 v0, s61, v0
	v_cmp_eq_u32_e32 vcc, 0, v0
	s_waitcnt lgkmcnt(0)
	s_and_saveexec_b64 s[58:59], vcc
	s_cbranch_execz .LBB18_1049
; %bb.1048:                             ;   in Loop: Header=BB18_1001 Depth=2
	s_bcnt1_i32_b64 vcc_lo, s[60:61]
	v_mov_b32_e32 v38, vcc_lo
	ds_add_u64 v0, v[38:39]
	s_trap 2
.LBB18_1049:                            ;   in Loop: Header=BB18_1001 Depth=2
	s_or_b64 exec, exec, s[58:59]
	s_trap 2
	ds_read_b64 v[2:3], v0
	v_lshl_add_u64 v[46:47], v[46:47], 0, v[36:37]
	s_waitcnt lgkmcnt(0)
	v_cmp_lt_u64_e32 vcc, v[2:3], v[46:47]
	s_and_saveexec_b64 s[58:59], vcc
	s_cbranch_execz .LBB18_1058
; %bb.1050:                             ;   in Loop: Header=BB18_1001 Depth=2
	s_mov_b32 s71, 0
	s_mov_b64 s[60:61], 0
                                        ; implicit-def: $sgpr62_sgpr63
                                        ; implicit-def: $sgpr64_sgpr65
	s_branch .LBB18_1052
.LBB18_1051:                            ;   in Loop: Header=BB18_1052 Depth=3
	s_or_b64 exec, exec, s[68:69]
	s_and_b64 vcc, exec, vcc
	s_or_b64 s[60:61], vcc, s[60:61]
	s_andn2_b64 vcc, s[62:63], exec
	s_and_b64 s[62:63], s[64:65], exec
	s_or_b64 s[62:63], vcc, s[62:63]
	s_andn2_b64 exec, exec, s[60:61]
	s_cbranch_execz .LBB18_1056
.LBB18_1052:                            ;   Parent Loop BB18_47 Depth=1
                                        ;     Parent Loop BB18_1001 Depth=2
                                        ; =>    This Inner Loop Header: Depth=3
	s_add_i32 s71, s71, 1
	s_cmpk_lg_i32 s71, 0x2710
	s_cselect_b64 s[66:67], -1, 0
	s_and_b64 vcc, exec, s[66:67]
                                        ; implicit-def: $sgpr68_sgpr69
	s_cbranch_vccnz .LBB18_1054
; %bb.1053:                             ;   in Loop: Header=BB18_1052 Depth=3
	s_trap 2
	ds_read_b64 v[2:3], v0
	s_andn2_b64 s[66:67], s[66:67], exec
	s_mov_b32 s71, 0
	s_mov_b64 s[68:69], -1
	s_waitcnt lgkmcnt(0)
	flat_load_dword v0, v[2:3] sc0 sc1
	s_waitcnt vmcnt(0) lgkmcnt(0)
	buffer_inv sc0 sc1
	v_cmp_eq_u32_e32 vcc, 0, v0
	s_and_b64 vcc, vcc, exec
	s_or_b64 s[66:67], s[66:67], vcc
.LBB18_1054:                            ;   in Loop: Header=BB18_1052 Depth=3
	s_andn2_b64 s[64:65], s[64:65], exec
	s_and_b64 s[68:69], s[68:69], exec
	s_mov_b64 vcc, -1
	s_or_b64 s[64:65], s[64:65], s[68:69]
	s_and_saveexec_b64 s[68:69], s[66:67]
	s_cbranch_execz .LBB18_1051
; %bb.1055:                             ;   in Loop: Header=BB18_1052 Depth=3
	s_sleep 1
	s_trap 2
	ds_read_b64 v[2:3], v0
	s_andn2_b64 s[64:65], s[64:65], exec
	s_waitcnt lgkmcnt(0)
	v_cmp_ge_u64_e32 vcc, v[2:3], v[46:47]
	s_orn2_b64 vcc, vcc, exec
	s_branch .LBB18_1051
.LBB18_1056:                            ;   in Loop: Header=BB18_1001 Depth=2
	s_or_b64 exec, exec, s[60:61]
	s_and_saveexec_b64 vcc, s[62:63]
	s_xor_b64 vcc, exec, vcc
	s_cbranch_execz .LBB18_1058
; %bb.1057:                             ;   in Loop: Header=BB18_1001 Depth=2
	ds_write_b32 v0, v15
	s_trap 2
.LBB18_1058:                            ;   in Loop: Header=BB18_1001 Depth=2
	s_or_b64 exec, exec, s[58:59]
	;;#ASMSTART
	s_wakeup
	;;#ASMEND
.LBB18_1059:                            ;   in Loop: Header=BB18_1001 Depth=2
	s_or_b64 exec, exec, s[56:57]
.LBB18_1060:                            ;   in Loop: Header=BB18_1001 Depth=2
	s_andn2_saveexec_b64 vcc, s[54:55]
	s_cbranch_execz .LBB18_1062
; %bb.1061:                             ;   in Loop: Header=BB18_1001 Depth=2
	s_waitcnt lgkmcnt(0)
	s_barrier
.LBB18_1062:                            ;   in Loop: Header=BB18_1001 Depth=2
	s_or_b64 exec, exec, vcc
.LBB18_1063:                            ;   in Loop: Header=BB18_1001 Depth=2
	s_or_b64 exec, exec, s[22:23]
	s_trap 2
	ds_read_b64 v[2:3], v0
	v_sub_u32_e32 v0, v60, v6
	v_min_i32_e32 v61, v61, v0
	v_mov_b32_e32 v29, 0
	s_waitcnt lgkmcnt(0)
	v_readfirstlane_b32 s22, v2
	v_readfirstlane_b32 s23, v3
	s_cmp_eq_u64 s[22:23], 0
	s_cselect_b64 s[22:23], -1, 0
	s_or_b64 s[22:23], s[22:23], s[22:23]
	s_and_b64 vcc, exec, s[22:23]
	s_cbranch_vccnz .LBB18_1079
; %bb.1064:                             ;   in Loop: Header=BB18_1001 Depth=2
	s_trap 2
	ds_read_b64 v[54:55], v0
	s_mov_b64 s[22:23], -1
	s_and_saveexec_b64 s[54:55], s[16:17]
	s_cbranch_execz .LBB18_1066
; %bb.1065:                             ;   in Loop: Header=BB18_1001 Depth=2
	ds_read_b32 v0, v0 offset:720
	s_waitcnt lgkmcnt(0)
	v_and_b32_e32 v0, 15, v0
	v_cmp_eq_u32_e32 vcc, 0, v0
	s_orn2_b64 s[22:23], vcc, exec
.LBB18_1066:                            ;   in Loop: Header=BB18_1001 Depth=2
	s_or_b64 exec, exec, s[54:55]
	s_and_saveexec_b64 s[54:55], s[14:15]
	s_cbranch_execz .LBB18_1068
; %bb.1067:                             ;   in Loop: Header=BB18_1001 Depth=2
	ds_read_b32 v0, v0 offset:784
	s_waitcnt lgkmcnt(0)
	v_and_b32_e32 v0, 15, v0
	v_cmp_eq_u32_e32 vcc, 0, v0
	s_and_b64 vcc, s[22:23], vcc
	s_andn2_b64 s[22:23], s[22:23], exec
	s_and_b64 vcc, vcc, exec
	s_or_b64 s[22:23], s[22:23], vcc
.LBB18_1068:                            ;   in Loop: Header=BB18_1001 Depth=2
	s_or_b64 exec, exec, s[54:55]
	v_cmp_eq_u32_e32 vcc, 0, v1
	s_xor_b64 s[22:23], s[22:23], -1
	v_cndmask_b32_e64 v1, 0, 1, s[22:23]
	v_cndmask_b32_e32 v29, 0, v61, vcc
	s_waitcnt lgkmcnt(0)
	v_accvgpr_write_b32 a52, v54
	v_mov_b32_e32 v0, 0
	v_lshlrev_b32_e32 v51, 1, v29
	s_mov_b64 s[56:57], -1
	;;#ASMSTART
	;;#ASMEND
	v_accvgpr_write_b32 a53, v55
	v_cmp_ne_u32_e32 vcc, 0, v1
	s_cbranch_vccz .LBB18_1091
; %bb.1069:                             ;   in Loop: Header=BB18_1001 Depth=2
	v_mov_b32_e32 v1, v56
	s_waitcnt vmcnt(0)
	v_mov_b32_e32 v8, v34
	s_and_saveexec_b64 s[22:23], s[56:57]
	s_cbranch_execz .LBB18_1104
.LBB18_1070:                            ;   in Loop: Header=BB18_1001 Depth=2
	v_ashrrev_i32_e32 v2, 31, v51
	v_lshrrev_b32_e32 v2, 21, v2
	v_add_u32_e32 v2, v51, v2
	v_ashrrev_i32_e32 v17, 11, v2
	v_accvgpr_write_b32 a4, v10
	v_sub_u32_e32 v7, v17, v8
	v_ashrrev_i32_e32 v2, 31, v1
	v_accvgpr_write_b32 a0, v6
	v_accvgpr_write_b32 a14, v16
	;; [unrolled: 1-line block ×3, first 2 shown]
	v_cmp_lt_i32_e32 vcc, 0, v7
	v_lshrrev_b32_e32 v16, 26, v2
	s_and_saveexec_b64 s[54:55], vcc
	s_cbranch_execz .LBB18_1074
; %bb.1071:                             ;   in Loop: Header=BB18_1001 Depth=2
	s_trap 2
	ds_read_b64 v[4:5], v0
	v_add_u32_e32 v2, v1, v16
	v_and_b32_e32 v2, 0x7fffffc0, v2
	v_sub_u32_e32 v2, v1, v2
	v_lshlrev_b32_e32 v2, 1, v2
	v_lshlrev_b32_e32 v3, 11, v8
	v_add3_u32 v8, v2, v0, v3
	v_mov_b64_e32 v[44:45], v[12:13]
	v_accvgpr_read_b32 v12, a52
	v_accvgpr_write_b32 a12, v51
	v_accvgpr_write_b32 a3, v29
	v_mov_b32_e32 v55, v39
	v_ashrrev_i32_e32 v9, 31, v8
	s_mov_b64 s[56:57], 0
	s_waitcnt lgkmcnt(0)
	v_mov_b64_e32 v[10:11], v[4:5]
	v_accvgpr_read_b32 v13, a53
	v_mov_b64_e32 v[42:43], v[36:37]
.LBB18_1072:                            ;   Parent Loop BB18_47 Depth=1
                                        ;     Parent Loop BB18_1001 Depth=2
                                        ; =>    This Inner Loop Header: Depth=3
	v_lshl_add_u64 v[18:19], v[8:9], 0, v[10:11]
	v_lshl_add_u64 v[14:15], v[8:9], 0, v[12:13]
	flat_load_ushort v2, v[18:19] nt
	flat_load_ushort v3, v[18:19] offset:128 nt
	flat_load_ushort v6, v[18:19] offset:256 nt
	s_waitcnt vmcnt(0)
	flat_load_ushort v20, v[18:19] offset:384 nt
	flat_load_ushort v21, v[18:19] offset:512 nt
	;; [unrolled: 1-line block ×5, first 2 shown]
	flat_load_ushort v25, v[14:15] nt
	flat_load_ushort v26, v[14:15] offset:128 nt
	flat_load_ushort v27, v[14:15] offset:256 nt
	;; [unrolled: 1-line block ×14, first 2 shown]
	s_nop 0
	flat_load_ushort v18, v[18:19] offset:1920 nt
	s_nop 0
	flat_load_ushort v19, v[14:15] offset:1024 nt
	flat_load_ushort v48, v[14:15] offset:1152 nt
	;; [unrolled: 1-line block ×8, first 2 shown]
	v_sub_u32_e32 v7, v7, v42
	v_cmp_gt_i32_e32 vcc, 1, v7
	v_lshl_add_u64 v[14:15], v[8:9], 0, v[4:5]
	v_lshl_add_u64 v[12:13], v[12:13], 0, v[44:45]
	;; [unrolled: 1-line block ×4, first 2 shown]
	s_or_b64 s[56:57], vcc, s[56:57]
	s_waitcnt vmcnt(0) lgkmcnt(0)
	v_mul_f16_e32 v2, v2, v25
	v_mul_f16_e32 v3, v3, v26
	;; [unrolled: 1-line block ×16, first 2 shown]
	flat_store_short v[14:15], v2 nt
	flat_store_short v[14:15], v3 offset:128 nt
	flat_store_short v[14:15], v6 offset:256 nt
	;; [unrolled: 1-line block ×15, first 2 shown]
	s_andn2_b64 exec, exec, s[56:57]
	s_cbranch_execnz .LBB18_1072
; %bb.1073:                             ;   in Loop: Header=BB18_1001 Depth=2
	s_or_b64 exec, exec, s[56:57]
	scratch_load_dword v50, off, s33 offset:208 ; 4-byte Folded Reload
	scratch_load_dword v28, off, s33 offset:204 ; 4-byte Folded Reload
	;; [unrolled: 1-line block ×3, first 2 shown]
	scratch_load_dwordx2 v[22:23], off, s33 offset:192 ; 8-byte Folded Reload
	scratch_load_dwordx2 v[20:21], off, s33 offset:184 ; 8-byte Folded Reload
	v_accvgpr_read_b32 v49, a23
	v_accvgpr_read_b32 v53, a25
	;; [unrolled: 1-line block ×9, first 2 shown]
	v_mov_b32_e32 v39, v55
	v_accvgpr_read_b32 v35, a21
	v_mov_b64_e32 v[36:37], v[42:43]
	v_accvgpr_read_b32 v27, a39
	v_accvgpr_read_b32 v31, a43
	v_mov_b64_e32 v[12:13], v[44:45]
	v_accvgpr_read_b32 v33, a47
	v_accvgpr_read_b32 v25, a49
	;; [unrolled: 1-line block ×3, first 2 shown]
	v_mov_b32_e32 v15, 1
	v_accvgpr_read_b32 v29, a3
	v_accvgpr_read_b32 v51, a12
.LBB18_1074:                            ;   in Loop: Header=BB18_1001 Depth=2
	s_or_b64 exec, exec, s[54:55]
	v_lshlrev_b32_e32 v4, 11, v17
	v_cmp_ne_u32_e32 vcc, v51, v4
	s_mov_b64 s[54:55], exec
	v_accvgpr_read_b32 v55, a53
	s_and_b64 vcc, s[54:55], vcc
	v_accvgpr_read_b32 v54, a52
	s_mov_b64 exec, vcc
	s_cbranch_execz .LBB18_1078
; %bb.1075:                             ;   in Loop: Header=BB18_1001 Depth=2
	v_add_u32_e32 v2, v1, v16
	v_and_b32_e32 v2, 0xffffffc0, v2
	v_sub_u32_e32 v1, v1, v2
	v_lshlrev_b32_e32 v2, 6, v7
	v_sub_u32_e32 v1, v1, v2
	v_ashrrev_i32_e32 v2, 31, v1
	v_lshrrev_b32_e32 v2, 26, v2
	v_add_u32_e32 v2, v1, v2
	v_and_b32_e32 v3, 0x7fffffc0, v2
	v_sub_u32_e32 v1, v1, v3
	v_lshlrev_b32_e32 v2, 1, v2
	v_and_b32_e32 v2, 0xffffff80, v2
	v_lshlrev_b32_e32 v1, 1, v1
	v_add3_u32 v7, v2, v1, v4
	v_sub_u32_e32 v1, v51, v7
	v_cmp_lt_i32_e32 vcc, 1, v1
	s_and_b64 exec, exec, vcc
	s_cbranch_execz .LBB18_1078
; %bb.1076:                             ;   in Loop: Header=BB18_1001 Depth=2
	s_trap 2
	ds_read_b64 v[4:5], v0
	v_add_u32_e32 v8, v7, v0
	v_ashrrev_i32_e32 v9, 31, v8
	s_mov_b64 s[56:57], 0
.LBB18_1077:                            ;   Parent Loop BB18_47 Depth=1
                                        ;     Parent Loop BB18_1001 Depth=2
                                        ; =>    This Inner Loop Header: Depth=3
	v_lshl_add_u64 v[2:3], v[54:55], 0, v[8:9]
	s_waitcnt lgkmcnt(0)
	v_lshl_add_u64 v[10:11], v[4:5], 0, v[8:9]
	flat_load_ushort v0, v[10:11] nt
	s_nop 0
	flat_load_ushort v2, v[2:3] nt
	s_waitcnt vmcnt(0)
	v_sub_u32_e32 v1, v1, v28
	v_cmp_gt_i32_e32 vcc, 2, v1
	v_lshl_add_u64 v[8:9], v[8:9], 0, v[24:25]
	s_or_b64 s[56:57], vcc, s[56:57]
	s_waitcnt lgkmcnt(0)
	v_mul_f16_e32 v0, v0, v2
	flat_store_short v[10:11], v0 nt
	s_andn2_b64 exec, exec, s[56:57]
	s_cbranch_execnz .LBB18_1077
.LBB18_1078:                            ;   in Loop: Header=BB18_1001 Depth=2
	s_or_b64 exec, exec, s[54:55]
	v_accvgpr_read_b32 v11, a5
	v_accvgpr_read_b32 v10, a4
	v_accvgpr_read_b32 v16, a14
	v_accvgpr_read_b32 v6, a0
	s_or_b64 exec, exec, s[22:23]
	s_and_saveexec_b64 s[22:23], s[4:5]
	s_cbranch_execz .LBB18_1105
	s_branch .LBB18_1080
.LBB18_1079:                            ;   in Loop: Header=BB18_1001 Depth=2
	s_and_saveexec_b64 s[22:23], s[4:5]
	s_cbranch_execz .LBB18_1105
.LBB18_1080:                            ;   in Loop: Header=BB18_1001 Depth=2
	s_and_saveexec_b64 vcc, s[38:39]
	s_xor_b64 s[54:55], exec, vcc
	s_cbranch_execz .LBB18_1113
; %bb.1081:                             ;   in Loop: Header=BB18_1001 Depth=2
	s_and_saveexec_b64 s[56:57], s[12:13]
	s_cbranch_execz .LBB18_1112
; %bb.1082:                             ;   in Loop: Header=BB18_1001 Depth=2
	s_mov_b64 s[60:61], exec
	v_mbcnt_lo_u32_b32 v0, s60, 0
	v_mbcnt_hi_u32_b32 v0, s61, v0
	v_cmp_eq_u32_e32 vcc, 0, v0
	s_waitcnt lgkmcnt(0)
	s_and_saveexec_b64 s[58:59], vcc
	s_cbranch_execz .LBB18_1084
; %bb.1083:                             ;   in Loop: Header=BB18_1001 Depth=2
	s_bcnt1_i32_b64 vcc_lo, s[60:61]
	v_mov_b32_e32 v38, vcc_lo
	ds_add_u64 v0, v[38:39]
	s_trap 2
.LBB18_1084:                            ;   in Loop: Header=BB18_1001 Depth=2
	s_or_b64 exec, exec, s[58:59]
	s_trap 2
	ds_read_b64 v[0:1], v0
	v_lshl_add_u64 v[46:47], v[46:47], 0, v[36:37]
	s_waitcnt lgkmcnt(0)
	v_cmp_lt_u64_e32 vcc, v[0:1], v[46:47]
	s_and_saveexec_b64 s[58:59], vcc
	s_cbranch_execz .LBB18_1111
; %bb.1085:                             ;   in Loop: Header=BB18_1001 Depth=2
	s_mov_b32 s71, 0
	s_mov_b64 s[60:61], 0
                                        ; implicit-def: $sgpr62_sgpr63
                                        ; implicit-def: $sgpr64_sgpr65
	s_branch .LBB18_1087
.LBB18_1086:                            ;   in Loop: Header=BB18_1087 Depth=3
	s_or_b64 exec, exec, s[68:69]
	s_and_b64 vcc, exec, vcc
	s_or_b64 s[60:61], vcc, s[60:61]
	s_andn2_b64 vcc, s[62:63], exec
	s_and_b64 s[62:63], s[64:65], exec
	s_or_b64 s[62:63], vcc, s[62:63]
	s_andn2_b64 exec, exec, s[60:61]
	s_cbranch_execz .LBB18_1109
.LBB18_1087:                            ;   Parent Loop BB18_47 Depth=1
                                        ;     Parent Loop BB18_1001 Depth=2
                                        ; =>    This Inner Loop Header: Depth=3
	s_add_i32 s71, s71, 1
	s_cmpk_lg_i32 s71, 0x2710
	s_cselect_b64 s[66:67], -1, 0
	s_and_b64 vcc, exec, s[66:67]
                                        ; implicit-def: $sgpr68_sgpr69
	s_cbranch_vccnz .LBB18_1089
; %bb.1088:                             ;   in Loop: Header=BB18_1087 Depth=3
	s_trap 2
	ds_read_b64 v[0:1], v0
	s_andn2_b64 s[66:67], s[66:67], exec
	s_mov_b32 s71, 0
	s_mov_b64 s[68:69], -1
	s_waitcnt vmcnt(0) lgkmcnt(0)
	flat_load_dword v0, v[0:1] sc0 sc1
	s_waitcnt vmcnt(0) lgkmcnt(0)
	buffer_inv sc0 sc1
	v_cmp_eq_u32_e32 vcc, 0, v0
	s_and_b64 vcc, vcc, exec
	s_or_b64 s[66:67], s[66:67], vcc
.LBB18_1089:                            ;   in Loop: Header=BB18_1087 Depth=3
	s_andn2_b64 s[64:65], s[64:65], exec
	s_and_b64 s[68:69], s[68:69], exec
	s_mov_b64 vcc, -1
	s_or_b64 s[64:65], s[64:65], s[68:69]
	s_and_saveexec_b64 s[68:69], s[66:67]
	s_cbranch_execz .LBB18_1086
; %bb.1090:                             ;   in Loop: Header=BB18_1087 Depth=3
	s_sleep 1
	s_trap 2
	ds_read_b64 v[0:1], v0
	s_andn2_b64 s[64:65], s[64:65], exec
	s_waitcnt lgkmcnt(0)
	v_cmp_ge_u64_e32 vcc, v[0:1], v[46:47]
	s_orn2_b64 vcc, vcc, exec
	s_branch .LBB18_1086
.LBB18_1091:                            ;   in Loop: Header=BB18_1001 Depth=2
	v_ashrrev_i32_e32 v0, 31, v51
	v_lshrrev_b32_e32 v0, 19, v0
	v_add_u32_e32 v0, v51, v0
	v_ashrrev_i32_e32 v0, 13, v0
	s_waitcnt vmcnt(0)
	v_sub_u32_e32 v7, v0, v34
	v_accvgpr_write_b32 a28, v6
	v_cmp_lt_i32_e32 vcc, 0, v7
	s_and_saveexec_b64 s[22:23], vcc
	s_cbranch_execz .LBB18_1095
; %bb.1092:                             ;   in Loop: Header=BB18_1001 Depth=2
	s_trap 2
	ds_read_b64 v[4:5], v0
	v_accvgpr_write_b32 a26, v46
	v_accvgpr_write_b32 a14, v40
	;; [unrolled: 1-line block ×14, first 2 shown]
	s_mov_b64 s[54:55], 0
	s_waitcnt lgkmcnt(0)
	v_mov_b64_e32 v[44:45], v[4:5]
	v_accvgpr_write_b32 a9, v37
	v_accvgpr_write_b32 a7, v31
.LBB18_1093:                            ;   Parent Loop BB18_47 Depth=1
                                        ;     Parent Loop BB18_1001 Depth=2
                                        ; =>    This Inner Loop Header: Depth=3
	s_waitcnt vmcnt(0)
	v_lshl_add_u64 v[0:1], v[22:23], 0, v[54:55]
	v_lshl_add_u64 v[8:9], v[22:23], 0, v[44:45]
	global_load_dwordx4 v[34:37], v[0:1], off nt
	global_load_dwordx4 v[48:51], v[8:9], off nt
	global_load_dwordx4 v[38:41], v[8:9], off offset:1024 nt
	global_load_dwordx4 v[58:61], v[0:1], off offset:1024 nt
	;; [unrolled: 1-line block ×6, first 2 shown]
	v_add_co_u32_e32 v32, vcc, s85, v8
	s_waitcnt vmcnt(4)
	v_mul_f16_e32 v2, v38, v58
	v_accvgpr_write_b32 a2, v2
	v_mul_f16_sdwa v2, v38, v58 dst_sel:WORD_1 dst_unused:UNUSED_PAD src0_sel:WORD_1 src1_sel:WORD_1
	v_addc_co_u32_e32 v33, vcc, 0, v9, vcc
	v_accvgpr_write_b32 a16, v2
	v_mul_f16_e32 v2, v39, v59
	v_accvgpr_write_b32 a17, v2
	v_mul_f16_sdwa v2, v39, v59 dst_sel:WORD_1 dst_unused:UNUSED_PAD src0_sel:WORD_1 src1_sel:WORD_1
	v_add_co_u32_e32 v30, vcc, s85, v0
	v_accvgpr_write_b32 a18, v2
	v_mul_f16_e32 v2, v40, v60
	v_accvgpr_write_b32 a19, v2
	v_mul_f16_sdwa v2, v40, v60 dst_sel:WORD_1 dst_unused:UNUSED_PAD src0_sel:WORD_1 src1_sel:WORD_1
	v_addc_co_u32_e32 v31, vcc, 0, v1, vcc
	v_accvgpr_write_b32 a34, v2
	v_mul_f16_e32 v2, v41, v61
	v_accvgpr_write_b32 a35, v2
	v_mul_f16_sdwa v2, v41, v61 dst_sel:WORD_1 dst_unused:UNUSED_PAD src0_sel:WORD_1 src1_sel:WORD_1
	v_mul_f16_e32 v0, v48, v34
	v_accvgpr_write_b32 a40, v2
	s_waitcnt vmcnt(2)
	v_mul_f16_e32 v2, v24, v20
	v_accvgpr_write_b32 a41, v2
	v_mul_f16_sdwa v2, v24, v20 dst_sel:WORD_1 dst_unused:UNUSED_PAD src0_sel:WORD_1 src1_sel:WORD_1
	v_mul_f16_sdwa v1, v48, v34 dst_sel:WORD_1 dst_unused:UNUSED_PAD src0_sel:WORD_1 src1_sel:WORD_1
	v_mul_f16_e32 v48, v49, v35
	v_mul_f16_sdwa v49, v49, v35 dst_sel:WORD_1 dst_unused:UNUSED_PAD src0_sel:WORD_1 src1_sel:WORD_1
	v_mul_f16_e32 v34, v50, v36
	;; [unrolled: 2-line block ×3, first 2 shown]
	v_mul_f16_sdwa v37, v51, v37 dst_sel:WORD_1 dst_unused:UNUSED_PAD src0_sel:WORD_1 src1_sel:WORD_1
	v_accvgpr_write_b32 a54, v2
	v_mul_f16_e32 v2, v25, v21
	global_load_dwordx4 v[8:11], v[32:33], off nt
	v_accvgpr_write_b32 a55, v2
	v_mul_f16_sdwa v46, v25, v21 dst_sel:WORD_1 dst_unused:UNUSED_PAD src0_sel:WORD_1 src1_sel:WORD_1
	v_mul_f16_e32 v47, v26, v22
	v_mul_f16_sdwa v43, v26, v22 dst_sel:WORD_1 dst_unused:UNUSED_PAD src0_sel:WORD_1 src1_sel:WORD_1
	v_mul_f16_e32 v41, v27, v23
	v_mul_f16_sdwa v40, v27, v23 dst_sel:WORD_1 dst_unused:UNUSED_PAD src0_sel:WORD_1 src1_sel:WORD_1
	global_load_dwordx4 v[20:23], v[32:33], off offset:1024 nt
	s_waitcnt vmcnt(2)
	v_mul_f16_e32 v52, v12, v16
	v_mul_f16_sdwa v29, v12, v16 dst_sel:WORD_1 dst_unused:UNUSED_PAD src0_sel:WORD_1 src1_sel:WORD_1
	v_mul_f16_e32 v28, v13, v17
	v_mul_f16_sdwa v2, v13, v17 dst_sel:WORD_1 dst_unused:UNUSED_PAD src0_sel:WORD_1 src1_sel:WORD_1
	;; [unrolled: 2-line block ×4, first 2 shown]
	v_or_b32_e32 v59, v49, v48
	v_or_b32_e32 v58, v1, v0
	;; [unrolled: 1-line block ×3, first 2 shown]
	global_load_dwordx4 v[16:19], v[32:33], off offset:2048 nt
	v_or_b32_e32 v60, v35, v34
	global_load_dwordx4 v[12:15], v[32:33], off offset:3072 nt
	global_load_dwordx4 v[48:51], v[30:31], off nt
	global_load_dwordx4 v[36:39], v[30:31], off offset:1024 nt
	s_nop 0
	global_load_dwordx4 v[32:35], v[30:31], off offset:2048 nt
	global_load_dwordx4 v[24:27], v[30:31], off offset:3072 nt
	scratch_load_dwordx2 v[0:1], off, s33 offset:192 ; 8-byte Folded Reload
	v_accvgpr_read_b32 v30, a17
	v_accvgpr_read_b32 v31, a18
	v_or_b32_e32 v42, v53, v42
	s_waitcnt vmcnt(0)
	v_lshl_add_u64 v[0:1], v[0:1], 0, v[4:5]
	global_store_dwordx4 v[0:1], v[58:61], off nt
	s_nop 1
	v_or_b32_e32 v59, v31, v30
	v_accvgpr_read_b32 v30, a2
	v_accvgpr_read_b32 v31, a16
	v_or_b32_e32 v58, v31, v30
	v_accvgpr_read_b32 v30, a35
	v_accvgpr_read_b32 v31, a40
	v_or_b32_e32 v61, v31, v30
	v_accvgpr_read_b32 v30, a19
	v_accvgpr_read_b32 v31, a34
	v_or_b32_e32 v60, v31, v30
	global_store_dwordx4 v[0:1], v[58:61], off offset:1024 nt
	v_accvgpr_read_b32 v30, a55
	v_accvgpr_read_b32 v31, a54
	v_or_b32_e32 v61, v40, v41
	v_or_b32_e32 v41, v2, v28
	;; [unrolled: 1-line block ×3, first 2 shown]
	v_accvgpr_read_b32 v29, a9
	v_accvgpr_read_b32 v28, a8
	v_or_b32_e32 v59, v46, v30
	v_accvgpr_read_b32 v30, a41
	v_sub_u32_e32 v7, v7, v28
	v_accvgpr_read_b32 v29, a7
	v_or_b32_e32 v58, v31, v30
	v_or_b32_e32 v60, v43, v47
	v_accvgpr_read_b32 v28, a6
	v_add_co_u32_e32 v30, vcc, s85, v0
	v_lshl_add_u64 v[54:55], v[54:55], 0, v[28:29]
	v_lshl_add_u64 v[44:45], v[44:45], 0, v[28:29]
	;; [unrolled: 1-line block ×3, first 2 shown]
	v_or_b32_e32 v43, v3, v6
	v_addc_co_u32_e32 v31, vcc, 0, v1, vcc
	global_store_dwordx4 v[0:1], v[58:61], off offset:2048 nt
	global_store_dwordx4 v[0:1], v[40:43], off offset:3072 nt
	v_mul_f16_e32 v0, v8, v48
	v_mul_f16_sdwa v1, v8, v48 dst_sel:WORD_1 dst_unused:UNUSED_PAD src0_sel:WORD_1 src1_sel:WORD_1
	v_mul_f16_e32 v2, v9, v49
	v_mul_f16_sdwa v3, v9, v49 dst_sel:WORD_1 dst_unused:UNUSED_PAD src0_sel:WORD_1 src1_sel:WORD_1
	;; [unrolled: 2-line block ×16, first 2 shown]
	v_or_b32_e32 v9, v3, v2
	v_or_b32_e32 v8, v1, v0
	;; [unrolled: 1-line block ×16, first 2 shown]
	global_store_dwordx4 v[30:31], v[8:11], off nt
	global_store_dwordx4 v[30:31], v[12:15], off offset:1024 nt
	global_store_dwordx4 v[30:31], v[16:19], off offset:2048 nt
	global_store_dwordx4 v[30:31], v[20:23], off offset:3072 nt
	scratch_load_dwordx2 v[22:23], off, s33 offset:192 ; 8-byte Folded Reload
	v_cmp_gt_i32_e32 vcc, 1, v7
	s_or_b64 s[54:55], vcc, s[54:55]
	s_andn2_b64 exec, exec, s[54:55]
	s_cbranch_execnz .LBB18_1093
; %bb.1094:                             ;   in Loop: Header=BB18_1001 Depth=2
	s_or_b64 exec, exec, s[54:55]
	scratch_load_dwordx2 v[58:59], off, s33 offset:232 ; 8-byte Folded Reload
	scratch_load_dword v50, off, s33 offset:208 ; 4-byte Folded Reload
	scratch_load_dword v28, off, s33 offset:204 ; 4-byte Folded Reload
	;; [unrolled: 1-line block ×3, first 2 shown]
	scratch_load_dwordx2 v[20:21], off, s33 offset:184 ; 8-byte Folded Reload
	v_accvgpr_read_b32 v11, a5
	v_accvgpr_mov_b32 a17, a11
	v_accvgpr_read_b32 v49, a23
	v_accvgpr_read_b32 v53, a25
	;; [unrolled: 1-line block ×12, first 2 shown]
	v_accvgpr_mov_b32 a16, a10
	v_accvgpr_read_b32 v16, a20
	v_accvgpr_read_b32 v48, a22
	;; [unrolled: 1-line block ×14, first 2 shown]
	v_mov_b32_e32 v15, 1
	v_accvgpr_read_b32 v60, a0
	v_accvgpr_read_b32 v61, a12
	;; [unrolled: 1-line block ×5, first 2 shown]
.LBB18_1095:                            ;   in Loop: Header=BB18_1001 Depth=2
	s_or_b64 exec, exec, s[22:23]
	v_mov_b64_e32 v[54:55], v[10:11]
	v_lshlrev_b32_e32 v10, 13, v0
	v_cmp_ne_u32_e32 vcc, v51, v10
	s_mov_b64 s[56:57], 0
	v_mov_b32_e32 v0, 0
                                        ; implicit-def: $vgpr1
                                        ; implicit-def: $vgpr8
	s_and_saveexec_b64 s[54:55], vcc
	s_cbranch_execz .LBB18_1103
; %bb.1096:                             ;   in Loop: Header=BB18_1001 Depth=2
	scratch_load_dword v1, off, s33 offset:212 ; 4-byte Folded Reload
	v_lshlrev_b32_e32 v0, 6, v7
	v_sub_u32_e32 v2, v51, v10
	v_ashrrev_i32_e32 v4, 31, v2
	v_lshrrev_b32_e32 v4, 22, v4
	v_add_u32_e32 v4, v2, v4
	v_and_b32_e32 v11, 0xfffffc00, v4
	v_sub_u32_e32 v13, v2, v11
	v_ashrrev_i32_e32 v5, 10, v4
	v_cmp_lt_i32_e32 vcc, 15, v13
	s_waitcnt vmcnt(0)
	v_sub_u32_e32 v0, v1, v0
	v_ashrrev_i32_e32 v1, 31, v0
	v_lshrrev_b32_e32 v1, 26, v1
	v_add_u32_e32 v1, v0, v1
	v_ashrrev_i32_e32 v3, 6, v1
	v_and_b32_e32 v1, 0xffffffc0, v1
	v_sub_u32_e32 v7, v0, v1
	v_lshlrev_b32_e32 v0, 4, v7
	v_lshl_add_u32 v1, v3, 10, v0
	v_sub_u32_e32 v0, v2, v1
	v_addc_co_u32_e64 v2, s[22:23], 0, v5, vcc
	v_sub_u32_e32 v12, v2, v3
	v_cmp_lt_i32_e64 s[22:23], 15, v0
	s_and_saveexec_b64 s[56:57], s[22:23]
	s_cbranch_execz .LBB18_1100
; %bb.1097:                             ;   in Loop: Header=BB18_1001 Depth=2
	s_trap 2
	ds_read_b64 v[4:5], v0
	v_add_u32_e32 v8, v1, v10
	v_accvgpr_read_b32 v42, a52
	v_mov_b32_e32 v38, v16
	v_ashrrev_i32_e32 v9, 31, v8
	s_mov_b64 s[58:59], 0
	v_accvgpr_read_b32 v43, a53
.LBB18_1098:                            ;   Parent Loop BB18_47 Depth=1
                                        ;     Parent Loop BB18_1001 Depth=2
                                        ; =>    This Inner Loop Header: Depth=3
	v_lshl_add_u64 v[18:19], v[42:43], 0, v[8:9]
	s_waitcnt lgkmcnt(0)
	v_lshl_add_u64 v[22:23], v[4:5], 0, v[8:9]
	global_load_dwordx4 v[14:17], v[22:23], off nt
	s_nop 0
	global_load_dwordx4 v[18:21], v[18:19], off nt
	v_sub_u32_e32 v0, v0, v50
	v_cmp_gt_i32_e64 s[22:23], 16, v0
	v_sub_u32_e32 v12, v12, v36
	v_lshl_add_u64 v[8:9], v[8:9], 0, v[32:33]
	s_or_b64 s[58:59], s[22:23], s[58:59]
	s_waitcnt vmcnt(0)
	v_mul_f16_e32 v1, v14, v18
	v_mul_f16_sdwa v2, v14, v18 dst_sel:WORD_1 dst_unused:UNUSED_PAD src0_sel:WORD_1 src1_sel:WORD_1
	v_mul_f16_e32 v3, v15, v19
	v_mul_f16_sdwa v6, v15, v19 dst_sel:WORD_1 dst_unused:UNUSED_PAD src0_sel:WORD_1 src1_sel:WORD_1
	;; [unrolled: 2-line block ×4, first 2 shown]
	v_or_b32_e32 v15, v6, v3
	v_or_b32_e32 v14, v2, v1
	;; [unrolled: 1-line block ×4, first 2 shown]
	global_store_dwordx4 v[22:23], v[14:17], off nt
	s_andn2_b64 exec, exec, s[58:59]
	s_cbranch_execnz .LBB18_1098
; %bb.1099:                             ;   in Loop: Header=BB18_1001 Depth=2
	s_or_b64 exec, exec, s[58:59]
	scratch_load_dwordx2 v[22:23], off, s33 offset:192 ; 8-byte Folded Reload
	scratch_load_dwordx2 v[20:21], off, s33 offset:184 ; 8-byte Folded Reload
	v_accvgpr_read_b32 v18, a50
	v_accvgpr_read_b32 v19, a51
	v_mov_b32_e32 v15, 1
	v_mov_b32_e32 v16, v38
.LBB18_1100:                            ;   in Loop: Header=BB18_1001 Depth=2
	s_or_b64 exec, exec, s[56:57]
	v_and_b32_e32 v4, 14, v51
	v_cndmask_b32_e32 v51, v13, v4, vcc
	v_cmp_ne_u32_e64 s[22:23], 0, v51
	s_mov_b64 s[56:57], 0
	v_mov_b32_e32 v0, 0
                                        ; implicit-def: $vgpr1
                                        ; implicit-def: $vgpr8
	s_and_saveexec_b64 s[58:59], s[22:23]
	s_cbranch_execz .LBB18_1102
; %bb.1101:                             ;   in Loop: Header=BB18_1001 Depth=2
	v_sub_u32_e32 v0, v13, v4
	v_cndmask_b32_e32 v0, 0, v0, vcc
	v_cmp_lt_i32_e32 vcc, 0, v12
	s_mov_b64 s[56:57], exec
	v_add3_u32 v0, v11, v10, v0
	v_cndmask_b32_e32 v1, 0, v36, vcc
	v_sub_u32_e32 v1, v1, v12
	v_lshl_add_u32 v1, v1, 6, v7
	v_ashrrev_i32_e32 v2, 31, v1
	v_lshrrev_b32_e32 v2, 26, v2
	v_add_u32_e32 v2, v1, v2
	v_ashrrev_i32_e32 v8, 6, v2
.LBB18_1102:                            ;   in Loop: Header=BB18_1001 Depth=2
	s_or_b64 exec, exec, s[58:59]
	v_accvgpr_read_b32 v12, a44
	s_and_b64 s[56:57], s[56:57], exec
	v_accvgpr_read_b32 v13, a45
.LBB18_1103:                            ;   in Loop: Header=BB18_1001 Depth=2
	s_or_b64 exec, exec, s[54:55]
	v_mov_b64_e32 v[10:11], v[54:55]
	v_accvgpr_read_b32 v6, a28
	s_and_saveexec_b64 s[22:23], s[56:57]
	s_cbranch_execnz .LBB18_1070
.LBB18_1104:                            ;   in Loop: Header=BB18_1001 Depth=2
	s_or_b64 exec, exec, s[22:23]
	s_and_saveexec_b64 s[22:23], s[4:5]
	s_cbranch_execnz .LBB18_1080
.LBB18_1105:                            ;   in Loop: Header=BB18_1001 Depth=2
	s_or_b64 exec, exec, s[22:23]
	s_and_saveexec_b64 s[22:23], s[20:21]
	s_xor_b64 s[54:55], exec, s[22:23]
	s_cbranch_execz .LBB18_1116
.LBB18_1106:                            ;   in Loop: Header=BB18_1001 Depth=2
	v_and_b32_e32 v0, 16, v57
	v_cmp_lt_i32_e32 vcc, 0, v29
	v_cmp_ne_u32_e64 s[22:23], 0, v0
	s_and_b64 vcc, s[22:23], vcc
	s_and_saveexec_b64 s[22:23], vcc
	s_cbranch_execz .LBB18_1108
; %bb.1107:                             ;   in Loop: Header=BB18_1001 Depth=2
	buffer_wbl2 sc1
	s_waitcnt vmcnt(0) lgkmcnt(0)
	buffer_inv sc1
.LBB18_1108:                            ;   in Loop: Header=BB18_1001 Depth=2
	s_or_b64 exec, exec, s[22:23]
	s_andn2_saveexec_b64 s[22:23], s[54:55]
	s_cbranch_execz .LBB18_1135
	s_branch .LBB18_1117
.LBB18_1109:                            ;   in Loop: Header=BB18_1001 Depth=2
	s_or_b64 exec, exec, s[60:61]
	s_and_saveexec_b64 vcc, s[62:63]
	s_xor_b64 vcc, exec, vcc
	s_cbranch_execz .LBB18_1111
; %bb.1110:                             ;   in Loop: Header=BB18_1001 Depth=2
	ds_write_b32 v0, v15
	s_trap 2
.LBB18_1111:                            ;   in Loop: Header=BB18_1001 Depth=2
	s_or_b64 exec, exec, s[58:59]
	;;#ASMSTART
	s_wakeup
	;;#ASMEND
.LBB18_1112:                            ;   in Loop: Header=BB18_1001 Depth=2
	s_or_b64 exec, exec, s[56:57]
.LBB18_1113:                            ;   in Loop: Header=BB18_1001 Depth=2
	s_andn2_saveexec_b64 vcc, s[54:55]
	s_cbranch_execz .LBB18_1115
; %bb.1114:                             ;   in Loop: Header=BB18_1001 Depth=2
	s_waitcnt lgkmcnt(0)
	s_barrier
.LBB18_1115:                            ;   in Loop: Header=BB18_1001 Depth=2
	s_or_b64 exec, exec, vcc
	s_or_b64 exec, exec, s[22:23]
	s_and_saveexec_b64 s[22:23], s[20:21]
	s_xor_b64 s[54:55], exec, s[22:23]
	s_cbranch_execnz .LBB18_1106
.LBB18_1116:                            ;   in Loop: Header=BB18_1001 Depth=2
	s_andn2_saveexec_b64 s[22:23], s[54:55]
	s_cbranch_execz .LBB18_1135
.LBB18_1117:                            ;   in Loop: Header=BB18_1001 Depth=2
	s_and_saveexec_b64 vcc, s[38:39]
	s_xor_b64 s[54:55], exec, vcc
	s_cbranch_execz .LBB18_1132
; %bb.1118:                             ;   in Loop: Header=BB18_1001 Depth=2
	s_and_saveexec_b64 s[56:57], s[12:13]
	s_cbranch_execz .LBB18_1131
; %bb.1119:                             ;   in Loop: Header=BB18_1001 Depth=2
	s_mov_b64 s[60:61], exec
	v_mbcnt_lo_u32_b32 v0, s60, 0
	v_mbcnt_hi_u32_b32 v0, s61, v0
	v_cmp_eq_u32_e32 vcc, 0, v0
	;;#ASMSTART
	s_waitcnt lgkmcnt(0) vmcnt(0)
	;;#ASMEND
	s_and_saveexec_b64 s[58:59], vcc
	s_cbranch_execz .LBB18_1121
; %bb.1120:                             ;   in Loop: Header=BB18_1001 Depth=2
	s_bcnt1_i32_b64 vcc_lo, s[60:61]
	v_mov_b32_e32 v38, vcc_lo
	ds_add_u64 v0, v[38:39]
	s_trap 2
.LBB18_1121:                            ;   in Loop: Header=BB18_1001 Depth=2
	s_or_b64 exec, exec, s[58:59]
	s_trap 2
	ds_read_b64 v[0:1], v0
	v_lshl_add_u64 v[46:47], v[46:47], 0, v[36:37]
	s_waitcnt lgkmcnt(0)
	v_cmp_lt_u64_e32 vcc, v[0:1], v[46:47]
	s_and_saveexec_b64 s[58:59], vcc
	s_cbranch_execz .LBB18_1130
; %bb.1122:                             ;   in Loop: Header=BB18_1001 Depth=2
	s_mov_b32 s71, 0
	s_mov_b64 s[60:61], 0
                                        ; implicit-def: $sgpr62_sgpr63
                                        ; implicit-def: $sgpr64_sgpr65
	s_branch .LBB18_1124
.LBB18_1123:                            ;   in Loop: Header=BB18_1124 Depth=3
	s_or_b64 exec, exec, s[68:69]
	s_and_b64 vcc, exec, vcc
	s_or_b64 s[60:61], vcc, s[60:61]
	s_andn2_b64 vcc, s[62:63], exec
	s_and_b64 s[62:63], s[64:65], exec
	s_or_b64 s[62:63], vcc, s[62:63]
	s_andn2_b64 exec, exec, s[60:61]
	s_cbranch_execz .LBB18_1128
.LBB18_1124:                            ;   Parent Loop BB18_47 Depth=1
                                        ;     Parent Loop BB18_1001 Depth=2
                                        ; =>    This Inner Loop Header: Depth=3
	s_add_i32 s71, s71, 1
	s_cmpk_lg_i32 s71, 0x2710
	s_cselect_b64 s[66:67], -1, 0
	s_and_b64 vcc, exec, s[66:67]
                                        ; implicit-def: $sgpr68_sgpr69
	s_cbranch_vccnz .LBB18_1126
; %bb.1125:                             ;   in Loop: Header=BB18_1124 Depth=3
	s_trap 2
	ds_read_b64 v[0:1], v0
	s_andn2_b64 s[66:67], s[66:67], exec
	s_mov_b32 s71, 0
	s_mov_b64 s[68:69], -1
	s_waitcnt vmcnt(0) lgkmcnt(0)
	flat_load_dword v0, v[0:1] sc0 sc1
	s_waitcnt vmcnt(0) lgkmcnt(0)
	buffer_inv sc0 sc1
	v_cmp_eq_u32_e32 vcc, 0, v0
	s_and_b64 vcc, vcc, exec
	s_or_b64 s[66:67], s[66:67], vcc
.LBB18_1126:                            ;   in Loop: Header=BB18_1124 Depth=3
	s_andn2_b64 s[64:65], s[64:65], exec
	s_and_b64 s[68:69], s[68:69], exec
	s_mov_b64 vcc, -1
	s_or_b64 s[64:65], s[64:65], s[68:69]
	s_and_saveexec_b64 s[68:69], s[66:67]
	s_cbranch_execz .LBB18_1123
; %bb.1127:                             ;   in Loop: Header=BB18_1124 Depth=3
	s_sleep 1
	s_trap 2
	ds_read_b64 v[0:1], v0
	s_andn2_b64 s[64:65], s[64:65], exec
	s_waitcnt lgkmcnt(0)
	v_cmp_ge_u64_e32 vcc, v[0:1], v[46:47]
	s_orn2_b64 vcc, vcc, exec
	s_branch .LBB18_1123
.LBB18_1128:                            ;   in Loop: Header=BB18_1001 Depth=2
	s_or_b64 exec, exec, s[60:61]
	s_and_saveexec_b64 vcc, s[62:63]
	s_xor_b64 vcc, exec, vcc
	s_cbranch_execz .LBB18_1130
; %bb.1129:                             ;   in Loop: Header=BB18_1001 Depth=2
	ds_write_b32 v0, v15
	s_trap 2
.LBB18_1130:                            ;   in Loop: Header=BB18_1001 Depth=2
	s_or_b64 exec, exec, s[58:59]
	;;#ASMSTART
	s_wakeup
	;;#ASMEND
.LBB18_1131:                            ;   in Loop: Header=BB18_1001 Depth=2
	s_or_b64 exec, exec, s[56:57]
.LBB18_1132:                            ;   in Loop: Header=BB18_1001 Depth=2
	s_andn2_saveexec_b64 vcc, s[54:55]
	s_cbranch_execz .LBB18_1134
; %bb.1133:                             ;   in Loop: Header=BB18_1001 Depth=2
	;;#ASMSTART
	s_waitcnt lgkmcnt(0) vmcnt(0)
	;;#ASMEND
	s_barrier
.LBB18_1134:                            ;   in Loop: Header=BB18_1001 Depth=2
	s_or_b64 exec, exec, vcc
.LBB18_1135:                            ;   in Loop: Header=BB18_1001 Depth=2
	s_or_b64 exec, exec, s[22:23]
	v_and_b32_e32 v0, 32, v57
	v_cmp_ne_u32_e32 vcc, 0, v0
	s_and_saveexec_b64 s[22:23], vcc
	s_cbranch_execz .LBB18_1000
; %bb.1136:                             ;   in Loop: Header=BB18_1001 Depth=2
	v_lshl_add_u64 v[10:11], v[10:11], 0, 2
	s_waitcnt vmcnt(0)
	flat_store_dwordx2 v[58:59], v[10:11] sc0 sc1
	s_branch .LBB18_1000
.LBB18_1137:                            ;   in Loop: Header=BB18_47 Depth=1
	s_or_b64 exec, exec, s[26:27]
.LBB18_1138:                            ;   in Loop: Header=BB18_47 Depth=1
	s_or_b64 exec, exec, s[24:25]
	v_cmp_gt_i32_e32 vcc, 2, v0
	s_and_saveexec_b64 s[24:25], vcc
	s_cbranch_execz .LBB18_46
; %bb.1139:                             ;   in Loop: Header=BB18_47 Depth=1
	v_cmp_eq_u32_e64 s[22:23], 0, v0
	s_mov_b64 s[26:27], 0
	s_branch .LBB18_1141
.LBB18_1140:                            ;   in Loop: Header=BB18_1141 Depth=2
	s_or_b64 exec, exec, s[22:23]
	v_add_u32_e32 v6, v61, v6
	s_mov_b64 s[22:23], 0
	s_andn2_b64 exec, exec, s[26:27]
	s_cbranch_execz .LBB18_45
.LBB18_1141:                            ;   Parent Loop BB18_47 Depth=1
                                        ; =>  This Loop Header: Depth=2
                                        ;       Child Loop BB18_1147 Depth 3
                                        ;       Child Loop BB18_1171 Depth 3
	;; [unrolled: 1-line block ×3, first 2 shown]
	v_and_b32_e32 v0, 4, v57
	s_mov_b64 s[54:55], -1
	v_cmp_ne_u32_e32 vcc, 0, v0
	s_and_saveexec_b64 s[28:29], vcc
	s_cbranch_execz .LBB18_1153
; %bb.1142:                             ;   in Loop: Header=BB18_1141 Depth=2
	v_lshl_add_u64 v[4:5], v[10:11], 0, 2
	v_cmp_lt_u64_e32 vcc, v[40:41], v[4:5]
	v_mov_b32_e32 v0, 1
	s_and_saveexec_b64 s[54:55], vcc
	s_cbranch_execz .LBB18_1152
; %bb.1143:                             ;   in Loop: Header=BB18_1141 Depth=2
	s_mov_b64 s[56:57], 0
	v_mov_b32_e32 v0, 0
                                        ; implicit-def: $sgpr58_sgpr59
	s_branch .LBB18_1147
.LBB18_1144:                            ;   in Loop: Header=BB18_1147 Depth=3
	s_or_b64 exec, exec, s[66:67]
	v_mov_b32_e32 v1, 0
	s_orn2_b64 s[64:65], s[64:65], exec
.LBB18_1145:                            ;   in Loop: Header=BB18_1147 Depth=3
	s_or_b64 exec, exec, s[62:63]
	s_andn2_b64 vcc, s[58:59], exec
	s_and_b64 s[58:59], s[64:65], exec
	s_or_b64 s[58:59], vcc, s[58:59]
	v_mov_b32_e32 v0, v1
.LBB18_1146:                            ;   in Loop: Header=BB18_1147 Depth=3
	s_or_b64 exec, exec, s[60:61]
	s_waitcnt vmcnt(0) lgkmcnt(0)
	v_cmp_ge_u64_e32 vcc, v[40:41], v[4:5]
	s_xor_b64 s[60:61], s[58:59], -1
	s_or_b64 vcc, s[60:61], vcc
	s_and_b64 vcc, exec, vcc
	s_or_b64 s[56:57], vcc, s[56:57]
	s_andn2_b64 exec, exec, s[56:57]
	s_cbranch_execz .LBB18_1151
.LBB18_1147:                            ;   Parent Loop BB18_47 Depth=1
                                        ;     Parent Loop BB18_1141 Depth=2
                                        ; =>    This Inner Loop Header: Depth=3
	s_sleep 1
	s_waitcnt vmcnt(0)
	flat_load_dwordx2 v[40:41], v[58:59] sc0 sc1
	v_and_b32_e32 v1, 64, v57
	v_cmp_eq_u32_e32 vcc, 0, v1
	s_andn2_b64 s[58:59], s[58:59], exec
	s_and_saveexec_b64 s[60:61], vcc
	s_cbranch_execz .LBB18_1146
; %bb.1148:                             ;   in Loop: Header=BB18_1147 Depth=3
	v_add_u32_e32 v1, 1, v0
	v_cmp_lt_i32_e32 vcc, s84, v0
	s_mov_b64 s[64:65], -1
	s_and_saveexec_b64 s[62:63], vcc
	s_cbranch_execz .LBB18_1145
; %bb.1149:                             ;   in Loop: Header=BB18_1147 Depth=3
	s_trap 2
	ds_read_b64 v[0:1], v0
	s_waitcnt vmcnt(0) lgkmcnt(0)
	flat_load_dword v0, v[0:1] sc0 sc1
	s_waitcnt vmcnt(0) lgkmcnt(0)
	buffer_inv sc0 sc1
	v_cmp_ne_u32_e32 vcc, 0, v0
	s_and_saveexec_b64 s[66:67], vcc
	s_cbranch_execz .LBB18_1144
; %bb.1150:                             ;   in Loop: Header=BB18_1147 Depth=3
	v_or_b32_e32 v57, 64, v57
	s_xor_b64 s[64:65], exec, -1
	ds_write_b32 v0, v0
	s_trap 2
	s_branch .LBB18_1144
.LBB18_1151:                            ;   in Loop: Header=BB18_1141 Depth=2
	s_or_b64 exec, exec, s[56:57]
	v_and_b32_e32 v0, 4, v57
.LBB18_1152:                            ;   in Loop: Header=BB18_1141 Depth=2
	s_or_b64 exec, exec, s[54:55]
	v_cmp_eq_u32_e32 vcc, 0, v0
	s_orn2_b64 s[54:55], vcc, exec
	;;#ASMSTART
	s_wakeup
	;;#ASMEND
.LBB18_1153:                            ;   in Loop: Header=BB18_1141 Depth=2
	s_or_b64 exec, exec, s[28:29]
	s_xor_b64 s[22:23], s[22:23], -1
	s_and_b64 s[22:23], exec, s[22:23]
	s_or_b64 s[26:27], s[22:23], s[26:27]
	s_xor_b64 s[22:23], s[54:55], -1
	s_and_saveexec_b64 s[28:29], s[22:23]
	s_cbranch_execz .LBB18_1163
; %bb.1154:                             ;   in Loop: Header=BB18_1141 Depth=2
	v_and_b32_e32 v0, 0x100, v57
	v_cmp_ne_u32_e32 vcc, 0, v0
	v_and_b32_e32 v0, 7, v10
	s_mov_b64 s[22:23], -1
                                        ; implicit-def: $vgpr4_vgpr5
	s_and_saveexec_b64 s[54:55], vcc
	s_cbranch_execz .LBB18_1158
; %bb.1155:                             ;   in Loop: Header=BB18_1141 Depth=2
	v_accvgpr_read_b32 v2, a16
	v_accvgpr_read_b32 v3, a17
	v_mad_u64_u32 v[8:9], s[22:23], v0, 24, v[2:3]
	flat_load_dword v1, v[8:9]
                                        ; implicit-def: $vgpr4_vgpr5
	s_waitcnt vmcnt(0) lgkmcnt(0)
	v_cmp_ne_u32_e32 vcc, 1, v1
	v_cmp_eq_u32_e64 s[22:23], 1, v1
	s_and_saveexec_b64 s[56:57], s[22:23]
	s_cbranch_execz .LBB18_1157
; %bb.1156:                             ;   in Loop: Header=BB18_1141 Depth=2
	flat_load_dword v2, v[8:9] offset:4 sc0 sc1
	s_waitcnt vmcnt(0) lgkmcnt(0)
	v_ashrrev_i32_e32 v3, 31, v2
	v_lshrrev_b64 v[4:5], 1, v[2:3]
.LBB18_1157:                            ;   in Loop: Header=BB18_1141 Depth=2
	s_or_b64 exec, exec, s[56:57]
	s_orn2_b64 s[22:23], vcc, exec
.LBB18_1158:                            ;   in Loop: Header=BB18_1141 Depth=2
	s_or_b64 exec, exec, s[54:55]
	s_and_saveexec_b64 vcc, s[22:23]
; %bb.1159:                             ;   in Loop: Header=BB18_1141 Depth=2
	v_mad_i64_i32 v[4:5], s[22:23], v0, v16, 0
; %bb.1160:                             ;   in Loop: Header=BB18_1141 Depth=2
	s_or_b64 exec, exec, vcc
	v_lshl_add_u64 v[0:1], v[4:5], 1, v[48:49]
	ds_write_b64 v0, v[0:1] offset:720
	v_and_b32_e32 v0, 0x2000, v57
	v_cmp_ne_u32_e32 vcc, 0, v0
	s_and_saveexec_b64 s[22:23], vcc
	s_cbranch_execz .LBB18_1162
; %bb.1161:                             ;   in Loop: Header=BB18_1141 Depth=2
	ds_read_b64 v[0:1], v0 offset:584
	s_waitcnt lgkmcnt(0)
	v_lshl_add_u64 v[0:1], v[0:1], 0, 1
	ds_write_b64 v0, v[0:1] offset:584
.LBB18_1162:                            ;   in Loop: Header=BB18_1141 Depth=2
	s_or_b64 exec, exec, s[22:23]
	v_lshl_add_u64 v[10:11], v[10:11], 0, 2
.LBB18_1163:                            ;   in Loop: Header=BB18_1141 Depth=2
	s_or_b64 exec, exec, s[28:29]
	s_and_saveexec_b64 s[22:23], s[4:5]
	s_cbranch_execz .LBB18_1182
; %bb.1164:                             ;   in Loop: Header=BB18_1141 Depth=2
	s_and_saveexec_b64 s[28:29], s[38:39]
	s_xor_b64 s[28:29], exec, s[28:29]
	s_cbranch_execz .LBB18_1179
; %bb.1165:                             ;   in Loop: Header=BB18_1141 Depth=2
	s_and_saveexec_b64 s[54:55], s[12:13]
	s_cbranch_execz .LBB18_1178
; %bb.1166:                             ;   in Loop: Header=BB18_1141 Depth=2
	s_mov_b64 s[58:59], exec
	v_mbcnt_lo_u32_b32 v0, s58, 0
	v_mbcnt_hi_u32_b32 v0, s59, v0
	v_cmp_eq_u32_e32 vcc, 0, v0
	s_waitcnt lgkmcnt(0)
	s_and_saveexec_b64 s[56:57], vcc
	s_cbranch_execz .LBB18_1168
; %bb.1167:                             ;   in Loop: Header=BB18_1141 Depth=2
	s_bcnt1_i32_b64 vcc_lo, s[58:59]
	v_mov_b32_e32 v38, vcc_lo
	ds_add_u64 v0, v[38:39]
	s_trap 2
.LBB18_1168:                            ;   in Loop: Header=BB18_1141 Depth=2
	s_or_b64 exec, exec, s[56:57]
	s_trap 2
	ds_read_b64 v[0:1], v0
	v_lshl_add_u64 v[46:47], v[46:47], 0, v[36:37]
	s_waitcnt lgkmcnt(0)
	v_cmp_lt_u64_e32 vcc, v[0:1], v[46:47]
	s_and_saveexec_b64 s[56:57], vcc
	s_cbranch_execz .LBB18_1177
; %bb.1169:                             ;   in Loop: Header=BB18_1141 Depth=2
	s_mov_b32 s68, 0
	s_mov_b64 s[58:59], 0
                                        ; implicit-def: $sgpr60_sgpr61
                                        ; implicit-def: $sgpr62_sgpr63
	s_branch .LBB18_1171
.LBB18_1170:                            ;   in Loop: Header=BB18_1171 Depth=3
	s_or_b64 exec, exec, s[66:67]
	s_and_b64 vcc, exec, vcc
	s_or_b64 s[58:59], vcc, s[58:59]
	s_andn2_b64 vcc, s[60:61], exec
	s_and_b64 s[60:61], s[62:63], exec
	s_or_b64 s[60:61], vcc, s[60:61]
	s_andn2_b64 exec, exec, s[58:59]
	s_cbranch_execz .LBB18_1175
.LBB18_1171:                            ;   Parent Loop BB18_47 Depth=1
                                        ;     Parent Loop BB18_1141 Depth=2
                                        ; =>    This Inner Loop Header: Depth=3
	s_add_i32 s68, s68, 1
	s_cmpk_lg_i32 s68, 0x2710
	s_cselect_b64 s[64:65], -1, 0
	s_and_b64 vcc, exec, s[64:65]
                                        ; implicit-def: $sgpr66_sgpr67
	s_cbranch_vccnz .LBB18_1173
; %bb.1172:                             ;   in Loop: Header=BB18_1171 Depth=3
	s_trap 2
	ds_read_b64 v[0:1], v0
	s_andn2_b64 s[64:65], s[64:65], exec
	s_mov_b32 s68, 0
	s_mov_b64 s[66:67], -1
	s_waitcnt vmcnt(0) lgkmcnt(0)
	flat_load_dword v0, v[0:1] sc0 sc1
	s_waitcnt vmcnt(0) lgkmcnt(0)
	buffer_inv sc0 sc1
	v_cmp_eq_u32_e32 vcc, 0, v0
	s_and_b64 vcc, vcc, exec
	s_or_b64 s[64:65], s[64:65], vcc
.LBB18_1173:                            ;   in Loop: Header=BB18_1171 Depth=3
	s_andn2_b64 s[62:63], s[62:63], exec
	s_and_b64 s[66:67], s[66:67], exec
	s_mov_b64 vcc, -1
	s_or_b64 s[62:63], s[62:63], s[66:67]
	s_and_saveexec_b64 s[66:67], s[64:65]
	s_cbranch_execz .LBB18_1170
; %bb.1174:                             ;   in Loop: Header=BB18_1171 Depth=3
	s_sleep 1
	s_trap 2
	ds_read_b64 v[0:1], v0
	s_andn2_b64 s[62:63], s[62:63], exec
	s_waitcnt lgkmcnt(0)
	v_cmp_ge_u64_e32 vcc, v[0:1], v[46:47]
	s_orn2_b64 vcc, vcc, exec
	s_branch .LBB18_1170
.LBB18_1175:                            ;   in Loop: Header=BB18_1141 Depth=2
	s_or_b64 exec, exec, s[58:59]
	s_and_saveexec_b64 vcc, s[60:61]
	s_xor_b64 vcc, exec, vcc
	s_cbranch_execz .LBB18_1177
; %bb.1176:                             ;   in Loop: Header=BB18_1141 Depth=2
	ds_write_b32 v0, v15
	s_trap 2
.LBB18_1177:                            ;   in Loop: Header=BB18_1141 Depth=2
	s_or_b64 exec, exec, s[56:57]
	;;#ASMSTART
	s_wakeup
	;;#ASMEND
.LBB18_1178:                            ;   in Loop: Header=BB18_1141 Depth=2
	s_or_b64 exec, exec, s[54:55]
.LBB18_1179:                            ;   in Loop: Header=BB18_1141 Depth=2
	s_andn2_saveexec_b64 s[28:29], s[28:29]
	s_cbranch_execz .LBB18_1181
; %bb.1180:                             ;   in Loop: Header=BB18_1141 Depth=2
	s_waitcnt lgkmcnt(0)
	s_barrier
.LBB18_1181:                            ;   in Loop: Header=BB18_1141 Depth=2
	s_or_b64 exec, exec, s[28:29]
.LBB18_1182:                            ;   in Loop: Header=BB18_1141 Depth=2
	s_or_b64 exec, exec, s[22:23]
	v_sub_u32_e32 v0, v60, v6
	v_min_i32_e32 v61, v61, v0
	s_and_saveexec_b64 s[22:23], s[20:21]
	s_xor_b64 s[22:23], exec, s[22:23]
	s_cbranch_execz .LBB18_1186
; %bb.1183:                             ;   in Loop: Header=BB18_1141 Depth=2
	s_trap 2
	ds_read_b32 v0, v0
	v_cmp_lt_i32_e32 vcc, 0, v61
	v_and_b32_e32 v1, 16, v57
	s_waitcnt lgkmcnt(0)
	v_readfirstlane_b32 s28, v0
	s_cmp_eq_u32 s28, 0
	s_cselect_b64 s[28:29], -1, 0
	s_and_b64 s[28:29], vcc, s[28:29]
	v_cmp_ne_u32_e32 vcc, 0, v1
	s_and_b64 vcc, vcc, s[28:29]
	s_and_saveexec_b64 s[28:29], vcc
	s_cbranch_execz .LBB18_1185
; %bb.1184:                             ;   in Loop: Header=BB18_1141 Depth=2
	buffer_wbl2 sc1
	s_waitcnt vmcnt(0)
	buffer_inv sc1
.LBB18_1185:                            ;   in Loop: Header=BB18_1141 Depth=2
	s_or_b64 exec, exec, s[28:29]
.LBB18_1186:                            ;   in Loop: Header=BB18_1141 Depth=2
	s_andn2_saveexec_b64 s[22:23], s[22:23]
	s_cbranch_execz .LBB18_1205
; %bb.1187:                             ;   in Loop: Header=BB18_1141 Depth=2
	s_and_saveexec_b64 s[28:29], s[38:39]
	s_xor_b64 s[28:29], exec, s[28:29]
	s_cbranch_execz .LBB18_1202
; %bb.1188:                             ;   in Loop: Header=BB18_1141 Depth=2
	s_and_saveexec_b64 s[54:55], s[12:13]
	s_cbranch_execz .LBB18_1201
; %bb.1189:                             ;   in Loop: Header=BB18_1141 Depth=2
	s_mov_b64 s[58:59], exec
	v_mbcnt_lo_u32_b32 v0, s58, 0
	v_mbcnt_hi_u32_b32 v0, s59, v0
	v_cmp_eq_u32_e32 vcc, 0, v0
	;;#ASMSTART
	s_waitcnt lgkmcnt(0) vmcnt(0)
	;;#ASMEND
	s_and_saveexec_b64 s[56:57], vcc
	s_cbranch_execz .LBB18_1191
; %bb.1190:                             ;   in Loop: Header=BB18_1141 Depth=2
	s_bcnt1_i32_b64 vcc_lo, s[58:59]
	v_mov_b32_e32 v38, vcc_lo
	ds_add_u64 v0, v[38:39]
	s_trap 2
.LBB18_1191:                            ;   in Loop: Header=BB18_1141 Depth=2
	s_or_b64 exec, exec, s[56:57]
	s_trap 2
	ds_read_b64 v[0:1], v0
	v_lshl_add_u64 v[46:47], v[46:47], 0, v[36:37]
	s_waitcnt lgkmcnt(0)
	v_cmp_lt_u64_e32 vcc, v[0:1], v[46:47]
	s_and_saveexec_b64 s[56:57], vcc
	s_cbranch_execz .LBB18_1200
; %bb.1192:                             ;   in Loop: Header=BB18_1141 Depth=2
	s_mov_b32 s68, 0
	s_mov_b64 s[58:59], 0
                                        ; implicit-def: $sgpr60_sgpr61
                                        ; implicit-def: $sgpr62_sgpr63
	s_branch .LBB18_1194
.LBB18_1193:                            ;   in Loop: Header=BB18_1194 Depth=3
	s_or_b64 exec, exec, s[66:67]
	s_and_b64 vcc, exec, vcc
	s_or_b64 s[58:59], vcc, s[58:59]
	s_andn2_b64 vcc, s[60:61], exec
	s_and_b64 s[60:61], s[62:63], exec
	s_or_b64 s[60:61], vcc, s[60:61]
	s_andn2_b64 exec, exec, s[58:59]
	s_cbranch_execz .LBB18_1198
.LBB18_1194:                            ;   Parent Loop BB18_47 Depth=1
                                        ;     Parent Loop BB18_1141 Depth=2
                                        ; =>    This Inner Loop Header: Depth=3
	s_add_i32 s68, s68, 1
	s_cmpk_lg_i32 s68, 0x2710
	s_cselect_b64 s[64:65], -1, 0
	s_and_b64 vcc, exec, s[64:65]
                                        ; implicit-def: $sgpr66_sgpr67
	s_cbranch_vccnz .LBB18_1196
; %bb.1195:                             ;   in Loop: Header=BB18_1194 Depth=3
	s_trap 2
	ds_read_b64 v[0:1], v0
	s_andn2_b64 s[64:65], s[64:65], exec
	s_mov_b32 s68, 0
	s_mov_b64 s[66:67], -1
	s_waitcnt vmcnt(0) lgkmcnt(0)
	flat_load_dword v0, v[0:1] sc0 sc1
	s_waitcnt vmcnt(0) lgkmcnt(0)
	buffer_inv sc0 sc1
	v_cmp_eq_u32_e32 vcc, 0, v0
	s_and_b64 vcc, vcc, exec
	s_or_b64 s[64:65], s[64:65], vcc
.LBB18_1196:                            ;   in Loop: Header=BB18_1194 Depth=3
	s_andn2_b64 s[62:63], s[62:63], exec
	s_and_b64 s[66:67], s[66:67], exec
	s_mov_b64 vcc, -1
	s_or_b64 s[62:63], s[62:63], s[66:67]
	s_and_saveexec_b64 s[66:67], s[64:65]
	s_cbranch_execz .LBB18_1193
; %bb.1197:                             ;   in Loop: Header=BB18_1194 Depth=3
	s_sleep 1
	s_trap 2
	ds_read_b64 v[0:1], v0
	s_andn2_b64 s[62:63], s[62:63], exec
	s_waitcnt lgkmcnt(0)
	v_cmp_ge_u64_e32 vcc, v[0:1], v[46:47]
	s_orn2_b64 vcc, vcc, exec
	s_branch .LBB18_1193
.LBB18_1198:                            ;   in Loop: Header=BB18_1141 Depth=2
	s_or_b64 exec, exec, s[58:59]
	s_and_saveexec_b64 vcc, s[60:61]
	s_xor_b64 vcc, exec, vcc
	s_cbranch_execz .LBB18_1200
; %bb.1199:                             ;   in Loop: Header=BB18_1141 Depth=2
	ds_write_b32 v0, v15
	s_trap 2
.LBB18_1200:                            ;   in Loop: Header=BB18_1141 Depth=2
	s_or_b64 exec, exec, s[56:57]
	;;#ASMSTART
	s_wakeup
	;;#ASMEND
.LBB18_1201:                            ;   in Loop: Header=BB18_1141 Depth=2
	s_or_b64 exec, exec, s[54:55]
.LBB18_1202:                            ;   in Loop: Header=BB18_1141 Depth=2
	s_andn2_saveexec_b64 s[28:29], s[28:29]
	s_cbranch_execz .LBB18_1204
; %bb.1203:                             ;   in Loop: Header=BB18_1141 Depth=2
	;;#ASMSTART
	s_waitcnt lgkmcnt(0) vmcnt(0)
	;;#ASMEND
	s_barrier
.LBB18_1204:                            ;   in Loop: Header=BB18_1141 Depth=2
	s_or_b64 exec, exec, s[28:29]
.LBB18_1205:                            ;   in Loop: Header=BB18_1141 Depth=2
	s_or_b64 exec, exec, s[22:23]
	v_and_b32_e32 v0, 32, v57
	v_cmp_ne_u32_e32 vcc, 0, v0
	s_and_saveexec_b64 s[22:23], vcc
	s_cbranch_execz .LBB18_1140
; %bb.1206:                             ;   in Loop: Header=BB18_1141 Depth=2
	v_lshl_add_u64 v[10:11], v[10:11], 0, 2
	s_waitcnt vmcnt(0)
	flat_store_dwordx2 v[58:59], v[10:11] sc0 sc1
	s_branch .LBB18_1140
.LBB18_1207:
	s_or_b64 exec, exec, s[36:37]
	scratch_load_dwordx2 v[4:5], off, s33 offset:304 ; 8-byte Folded Reload
	v_mov_b64_e32 v[16:17], v[10:11]
.LBB18_1208:
	s_or_b64 exec, exec, s[34:35]
	v_and_b32_e32 v0, 0x800, v57
	v_cmp_eq_u32_e32 vcc, 0, v0
	s_and_saveexec_b64 s[0:1], vcc
	s_cbranch_execz .LBB18_1243
; %bb.1209:
	v_and_b32_e32 v0, 48, v57
	v_cmp_ne_u32_e32 vcc, 0, v0
	s_and_saveexec_b64 s[2:3], vcc
	s_cbranch_execz .LBB18_1211
; %bb.1210:
	s_waitcnt vmcnt(0)
	flat_store_dwordx2 v[4:5], v[16:17] offset:104
.LBB18_1211:
	s_or_b64 exec, exec, s[2:3]
	s_movk_i32 s2, 0x88
	v_and_b32_e32 v0, 0x88, v57
	v_cmp_eq_u32_e32 vcc, s2, v0
	s_and_saveexec_b64 s[2:3], vcc
	s_cbranch_execz .LBB18_1223
; %bb.1212:
	v_add_u32_e32 v0, 6, v16
	v_accvgpr_read_b32 v2, a16
	v_and_b32_e32 v0, 7, v0
	v_accvgpr_read_b32 v3, a17
	v_mad_u64_u32 v[0:1], s[4:5], v0, 24, v[2:3]
	v_lshl_add_u64 v[0:1], v[0:1], 0, 8
	s_mov_b64 s[4:5], 0
	v_mov_b32_e32 v2, 0
	s_movk_i32 s20, 0x270e
                                        ; implicit-def: $sgpr6_sgpr7
	s_branch .LBB18_1217
.LBB18_1213:                            ;   in Loop: Header=BB18_1217 Depth=1
	s_or_b64 exec, exec, s[18:19]
	v_mov_b32_e32 v3, 0
	s_orn2_b64 s[16:17], s[16:17], exec
.LBB18_1214:                            ;   in Loop: Header=BB18_1217 Depth=1
	s_or_b64 exec, exec, s[14:15]
	s_and_b64 s[14:15], s[16:17], exec
	v_mov_b32_e32 v2, v3
.LBB18_1215:                            ;   in Loop: Header=BB18_1217 Depth=1
	s_or_b64 exec, exec, s[12:13]
	s_xor_b64 s[12:13], s[14:15], -1
	s_andn2_b64 s[6:7], s[6:7], exec
	s_and_b64 s[12:13], s[12:13], exec
	s_or_b64 s[6:7], s[6:7], s[12:13]
.LBB18_1216:                            ;   in Loop: Header=BB18_1217 Depth=1
	s_or_b64 exec, exec, s[10:11]
	s_and_b64 s[10:11], exec, s[6:7]
	s_or_b64 s[4:5], s[10:11], s[4:5]
	s_andn2_b64 exec, exec, s[4:5]
	s_cbranch_execz .LBB18_1222
.LBB18_1217:                            ; =>This Inner Loop Header: Depth=1
	s_waitcnt vmcnt(0)
	flat_load_dwordx2 v[4:5], v[0:1] sc0 sc1
	s_waitcnt vmcnt(0)
	s_or_b64 s[6:7], s[6:7], exec
	s_waitcnt lgkmcnt(0)
	v_cmp_ne_u64_e32 vcc, -1, v[4:5]
	s_and_saveexec_b64 s[10:11], vcc
	s_cbranch_execz .LBB18_1216
; %bb.1218:                             ;   in Loop: Header=BB18_1217 Depth=1
	v_and_b32_e32 v3, 64, v57
	v_cmp_eq_u32_e32 vcc, 0, v3
	s_mov_b64 s[14:15], 0
	s_and_saveexec_b64 s[12:13], vcc
	s_cbranch_execz .LBB18_1215
; %bb.1219:                             ;   in Loop: Header=BB18_1217 Depth=1
	v_add_u32_e32 v3, 1, v2
	v_cmp_lt_i32_e32 vcc, s20, v2
	s_mov_b64 s[16:17], -1
	s_and_saveexec_b64 s[14:15], vcc
	s_cbranch_execz .LBB18_1214
; %bb.1220:                             ;   in Loop: Header=BB18_1217 Depth=1
	s_trap 2
	ds_read_b64 v[2:3], v0
	s_waitcnt lgkmcnt(0)
	flat_load_dword v2, v[2:3] sc0 sc1
	s_waitcnt vmcnt(0) lgkmcnt(0)
	buffer_inv sc0 sc1
	v_cmp_ne_u32_e32 vcc, 0, v2
	s_and_saveexec_b64 s[18:19], vcc
	s_cbranch_execz .LBB18_1213
; %bb.1221:                             ;   in Loop: Header=BB18_1217 Depth=1
	v_or_b32_e32 v57, 64, v57
	s_xor_b64 s[16:17], exec, -1
	ds_write_b32 v0, v2
	s_trap 2
	s_branch .LBB18_1213
.LBB18_1222:
	s_or_b64 exec, exec, s[4:5]
.LBB18_1223:
	s_or_b64 exec, exec, s[2:3]
	v_and_b32_e32 v0, 0x2000, v57
	v_cmp_ne_u32_e32 vcc, 0, v0
	s_and_saveexec_b64 s[2:3], vcc
	s_cbranch_execz .LBB18_1225
; %bb.1224:
	s_trap 2
	scratch_load_dwordx2 v[2:3], off, s33 offset:320 ; 8-byte Folded Reload
	ds_read_b64 v[0:1], v0
	s_waitcnt vmcnt(0) lgkmcnt(0)
	flat_store_dwordx2 v[2:3], v[0:1] offset:16
.LBB18_1225:
	s_or_b64 exec, exec, s[2:3]
	scratch_load_dword v0, off, s33 offset:300 ; 4-byte Folded Reload
	s_waitcnt vmcnt(0)
	v_cmp_ne_u32_e32 vcc, 64, v0
	s_and_b64 exec, exec, vcc
	s_cbranch_execz .LBB18_1243
; %bb.1226:
	scratch_load_dword v0, off, s33 offset:300 ; 4-byte Folded Reload
	scratch_load_dword v1, off, s33 offset:316 ; 4-byte Folded Reload
	s_waitcnt vmcnt(0)
	v_cmp_ne_u32_sdwa s[2:3], v1, v0 src0_sel:WORD_0 src1_sel:DWORD
	s_and_saveexec_b64 s[4:5], s[2:3]
	s_xor_b64 s[2:3], exec, s[4:5]
	s_cbranch_execz .LBB18_1241
; %bb.1227:
	scratch_load_dword v0, off, s33 offset:312 ; 4-byte Folded Reload
	s_waitcnt vmcnt(0)
	v_and_b32_e32 v0, 63, v0
	v_cmp_eq_u32_e32 vcc, 0, v0
	s_and_saveexec_b64 s[4:5], vcc
	s_cbranch_execz .LBB18_1240
; %bb.1228:
	s_mov_b64 s[10:11], exec
	v_mbcnt_lo_u32_b32 v0, s10, 0
	v_mbcnt_hi_u32_b32 v0, s11, v0
	v_cmp_eq_u32_e32 vcc, 0, v0
	s_waitcnt lgkmcnt(0)
	s_and_saveexec_b64 s[6:7], vcc
	s_cbranch_execz .LBB18_1230
; %bb.1229:
	s_bcnt1_i32_b64 s10, s[10:11]
	v_mov_b32_e32 v0, s10
	v_mov_b32_e32 v1, 0
	ds_add_u64 v0, v[0:1]
	s_trap 2
.LBB18_1230:
	s_or_b64 exec, exec, s[6:7]
	scratch_load_dword v1, off, s33 offset:300 ; 4-byte Folded Reload
	s_trap 2
	s_waitcnt vmcnt(0)
	v_ashrrev_i32_e32 v0, 31, v1
	v_lshrrev_b32_e32 v0, 26, v0
	ds_read_b64 v[2:3], v0
	v_add_u32_e32 v0, v1, v0
	v_ashrrev_i32_e32 v0, 6, v0
	v_ashrrev_i32_e32 v1, 31, v0
	v_lshl_add_u64 v[0:1], v[46:47], 0, v[0:1]
	s_waitcnt lgkmcnt(0)
	v_cmp_lt_u64_e32 vcc, v[2:3], v[0:1]
	s_and_saveexec_b64 s[6:7], vcc
	s_cbranch_execz .LBB18_1239
; %bb.1231:
	s_mov_b32 s22, 0
	s_mov_b64 s[10:11], 0
                                        ; implicit-def: $sgpr12_sgpr13
                                        ; implicit-def: $sgpr14_sgpr15
	s_branch .LBB18_1233
.LBB18_1232:                            ;   in Loop: Header=BB18_1233 Depth=1
	s_or_b64 exec, exec, s[20:21]
	s_and_b64 s[16:17], exec, s[18:19]
	s_or_b64 s[10:11], s[16:17], s[10:11]
	s_andn2_b64 s[12:13], s[12:13], exec
	s_and_b64 s[16:17], s[14:15], exec
	s_or_b64 s[12:13], s[12:13], s[16:17]
	s_andn2_b64 exec, exec, s[10:11]
	s_cbranch_execz .LBB18_1237
.LBB18_1233:                            ; =>This Inner Loop Header: Depth=1
	s_add_i32 s22, s22, 1
	s_cmpk_lg_i32 s22, 0x2710
	s_cselect_b64 s[16:17], -1, 0
	s_and_b64 vcc, exec, s[16:17]
                                        ; implicit-def: $sgpr20_sgpr21
	s_cbranch_vccnz .LBB18_1235
; %bb.1234:                             ;   in Loop: Header=BB18_1233 Depth=1
	s_trap 2
	ds_read_b64 v[2:3], v0
	s_andn2_b64 s[16:17], s[16:17], exec
	s_mov_b32 s22, 0
	s_mov_b64 s[20:21], -1
	s_waitcnt lgkmcnt(0)
	flat_load_dword v2, v[2:3] sc0 sc1
	s_waitcnt vmcnt(0) lgkmcnt(0)
	buffer_inv sc0 sc1
	v_cmp_eq_u32_e32 vcc, 0, v2
	s_and_b64 s[18:19], vcc, exec
	s_or_b64 s[16:17], s[16:17], s[18:19]
.LBB18_1235:                            ;   in Loop: Header=BB18_1233 Depth=1
	s_andn2_b64 s[14:15], s[14:15], exec
	s_and_b64 s[20:21], s[20:21], exec
	s_mov_b64 s[18:19], -1
	s_or_b64 s[14:15], s[14:15], s[20:21]
	s_and_saveexec_b64 s[20:21], s[16:17]
	s_cbranch_execz .LBB18_1232
; %bb.1236:                             ;   in Loop: Header=BB18_1233 Depth=1
	s_sleep 1
	s_trap 2
	ds_read_b64 v[2:3], v0
	s_andn2_b64 s[14:15], s[14:15], exec
	s_waitcnt lgkmcnt(0)
	v_cmp_ge_u64_e32 vcc, v[2:3], v[0:1]
	s_orn2_b64 s[18:19], vcc, exec
	s_branch .LBB18_1232
.LBB18_1237:
	s_or_b64 exec, exec, s[10:11]
	s_and_saveexec_b64 s[10:11], s[12:13]
	s_xor_b64 s[10:11], exec, s[10:11]
	s_cbranch_execz .LBB18_1239
; %bb.1238:
	v_mov_b32_e32 v0, 1
	ds_write_b32 v0, v0
	s_trap 2
.LBB18_1239:
	s_or_b64 exec, exec, s[6:7]
	;;#ASMSTART
	s_wakeup
	;;#ASMEND
.LBB18_1240:
	s_or_b64 exec, exec, s[4:5]
.LBB18_1241:
	s_andn2_saveexec_b64 s[2:3], s[2:3]
	s_cbranch_execz .LBB18_1243
; %bb.1242:
	s_waitcnt lgkmcnt(0)
	s_barrier
.LBB18_1243:
	s_or_b64 exec, exec, s[0:1]
.LBB18_1244:
	s_andn2_saveexec_b64 s[22:23], s[30:31]
	s_cbranch_execz .LBB18_1246
; %bb.1245:
	s_getpc_b64 s[0:1]
	s_add_u32 s0, s0, __PRETTY_FUNCTION__._ZN10PrimitivesI6__half8FuncProdIS0_E12FanSymmetricILi1EELi0E11ProtoSimpleILi2ELi2ELi1ELi4ELi0ELi0EELi0ELb0ELi0ELi0ELi1EEC2EiiPKiS9_PKvPvmhhhP15ncclDevWorkCollP14ncclDevWorkP2pii@rel32@lo+4
	s_addc_u32 s1, s1, __PRETTY_FUNCTION__._ZN10PrimitivesI6__half8FuncProdIS0_E12FanSymmetricILi1EELi0E11ProtoSimpleILi2ELi2ELi1ELi4ELi0ELi0EELi0ELb0ELi0ELi0ELi1EEC2EiiPKiS9_PKvPvmhhhP15ncclDevWorkCollP14ncclDevWorkP2pii@rel32@hi+12
	v_mov_b32_e32 v0, s0
	v_mov_b32_e32 v1, s1
	s_getpc_b64 s[2:3]
	s_add_u32 s2, s2, __assert_fail@rel32@lo+4
	s_addc_u32 s3, s3, __assert_fail@rel32@hi+12
	s_swappc_b64 s[30:31], s[2:3]
	; divergent unreachable
.LBB18_1246:
	s_or_b64 exec, exec, s[22:23]
	scratch_load_dword a63, off, s33        ; 4-byte Folded Reload
	scratch_load_dword a62, off, s33 offset:4 ; 4-byte Folded Reload
	scratch_load_dword a61, off, s33 offset:8 ; 4-byte Folded Reload
	;; [unrolled: 1-line block ×45, first 2 shown]
	v_readlane_b32 s30, v62, 2
	v_readlane_b32 s31, v62, 3
	;; [unrolled: 1-line block ×69, first 2 shown]
	s_or_saveexec_b64 s[2:3], -1
	scratch_load_dword v63, off, s33 offset:328 ; 4-byte Folded Reload
	scratch_load_dword v62, off, s33 offset:332 ; 4-byte Folded Reload
	s_mov_b64 exec, s[2:3]
	s_addk_i32 s32, 0xfea0
	s_mov_b32 s33, s0
	s_waitcnt vmcnt(0) lgkmcnt(0)
	s_setpc_b64 s[30:31]
.Lfunc_end18:
	.size	_ZN12_GLOBAL__N_17runRingI6__half8FuncProdIS1_E11ProtoSimpleILi2ELi2ELi1ELi4ELi0ELi0EELi0ELi1ELi4ELi0EEEviiP15ncclDevWorkColl, .Lfunc_end18-_ZN12_GLOBAL__N_17runRingI6__half8FuncProdIS1_E11ProtoSimpleILi2ELi2ELi1ELi4ELi0ELi0EELi0ELi1ELi4ELi0EEEviiP15ncclDevWorkColl
                                        ; -- End function
	.section	.AMDGPU.csdata,"",@progbits
; Function info:
; codeLenInByte = 53800
; NumSgprs: 106
; NumVgprs: 64
; NumAgprs: 64
; TotalNumVgprs: 128
; ScratchSize: 416
; MemoryBound: 1
	.text
	.p2align	2                               ; -- Begin function _Z48ncclDevFunc_AllReduce_RING_SIMPLE_Prod_f16_1_0_4v
	.type	_Z48ncclDevFunc_AllReduce_RING_SIMPLE_Prod_f16_1_0_4v,@function
_Z48ncclDevFunc_AllReduce_RING_SIMPLE_Prod_f16_1_0_4v: ; @_Z48ncclDevFunc_AllReduce_RING_SIMPLE_Prod_f16_1_0_4v
; %bb.0:
	s_waitcnt vmcnt(0) expcnt(0) lgkmcnt(0)
	s_mov_b32 s0, s33
	s_mov_b32 s33, s32
	s_or_saveexec_b64 s[2:3], -1
	scratch_store_dword off, a32, s33 offset:20 ; 4-byte Folded Spill
	scratch_store_dword off, v63, s33 offset:24 ; 4-byte Folded Spill
	;; [unrolled: 1-line block ×5, first 2 shown]
	s_mov_b64 exec, s[2:3]
	v_writelane_b32 v46, s0, 6
	v_writelane_b32 v46, s100, 4
	;; [unrolled: 1-line block ×3, first 2 shown]
	s_add_i32 s32, s32, 48
	scratch_store_dword off, v40, s33 offset:16 ; 4-byte Folded Spill
	scratch_store_dword off, v41, s33 offset:12 ; 4-byte Folded Spill
	;; [unrolled: 1-line block ×4, first 2 shown]
	scratch_store_dword off, v62, s33       ; 4-byte Folded Spill
	v_writelane_b32 v45, s34, 0
	v_writelane_b32 v45, s35, 1
	;; [unrolled: 1-line block ×67, first 2 shown]
	s_nop 1
	v_writelane_b32 v46, s31, 3
	s_trap 2
	ds_read_b32 v0, v0
                                        ; implicit-def: $vgpr44 : SGPR spill to VGPR lane
	v_mov_b32_e32 v40, v31
	v_writelane_b32 v44, s12, 0
	v_writelane_b32 v44, s8, 1
	s_waitcnt lgkmcnt(0)
	v_cmp_gt_i32_e32 vcc, 1, v0
	v_writelane_b32 v44, s9, 2
	s_cbranch_vccnz .LBB19_11
; %bb.1:
	s_mov_b32 s99, 0
	v_and_b32_e32 v41, 0x3ff, v40
	v_mov_b32_e32 v43, 6
	s_branch .LBB19_3
.LBB19_2:                               ;   in Loop: Header=BB19_3 Depth=1
	s_or_b64 exec, exec, s[4:5]
	s_trap 2
	ds_read_b32 v0, v0
	s_add_i32 s99, s99, 1
	s_waitcnt lgkmcnt(0)
	v_cmp_lt_i32_e32 vcc, s99, v0
	s_cbranch_vccz .LBB19_11
.LBB19_3:                               ; =>This Inner Loop Header: Depth=1
	s_trap 2
	ds_read_b32 v0, v0
	s_cmp_eq_u32 s99, 0
	s_cbranch_scc1 .LBB19_6
; %bb.4:                                ;   in Loop: Header=BB19_3 Depth=1
	s_trap 2
	s_waitcnt lgkmcnt(0)
	ds_read_b32 v1, v0
	s_waitcnt lgkmcnt(0)
	v_xor_b32_e32 v1, v1, v0
	v_and_b32_e32 v1, 0xff0000, v1
	v_cmp_eq_u32_e32 vcc, 0, v1
	s_cbranch_vccnz .LBB19_6
; %bb.5:                                ;   in Loop: Header=BB19_3 Depth=1
	s_barrier
	ds_read_b32 v0, v0
.LBB19_6:                               ;   in Loop: Header=BB19_3 Depth=1
	s_waitcnt lgkmcnt(0)
	v_lshlrev_b32_sdwa v42, v43, v0 dst_sel:DWORD dst_unused:UNUSED_PAD src0_sel:DWORD src1_sel:BYTE_2
	v_cmp_lt_u32_e32 vcc, v41, v42
	s_and_saveexec_b64 s[4:5], vcc
	s_cbranch_execz .LBB19_2
; %bb.7:                                ;   in Loop: Header=BB19_3 Depth=1
	v_cmp_lt_i32_e32 vcc, -1, v0
	s_mov_b64 s[0:1], -1
	v_writelane_b32 v44, s4, 3
	s_nop 1
	v_writelane_b32 v44, s5, 4
	s_cbranch_vccnz .LBB19_9
; %bb.8:                                ;   in Loop: Header=BB19_3 Depth=1
	v_readlane_b32 s8, v44, 1
	s_mov_b64 s[4:5], src_shared_base
	s_getpc_b64 s[0:1]
	s_add_u32 s0, s0, _ZN12_GLOBAL__N_17runRingI6__half8FuncProdIS1_E11ProtoSimpleILi1ELi4ELi1ELi4ELi0ELi0EELi0ELi1ELi4ELi0EEEviiP15ncclDevWorkColl@rel32@lo+4
	s_addc_u32 s1, s1, _ZN12_GLOBAL__N_17runRingI6__half8FuncProdIS1_E11ProtoSimpleILi1ELi4ELi1ELi4ELi0ELi0EELi0ELi1ELi4ELi0EEEviiP15ncclDevWorkColl@rel32@hi+12
	v_readlane_b32 s9, v44, 2
	v_readlane_b32 s12, v44, 0
	v_mov_b32_e32 v31, v40
	v_mov_b32_e32 v0, v41
	;; [unrolled: 1-line block ×4, first 2 shown]
	s_or_saveexec_b64 s[100:101], -1
	v_accvgpr_write_b32 a32, v44
	s_mov_b64 exec, s[100:101]
	s_swappc_b64 s[30:31], s[0:1]
	s_or_saveexec_b64 s[100:101], -1
	v_accvgpr_read_b32 v44, a32
	s_mov_b64 exec, s[100:101]
	v_readlane_b32 s4, v44, 3
	v_readlane_b32 s5, v44, 4
	s_mov_b64 s[0:1], 0
.LBB19_9:                               ;   in Loop: Header=BB19_3 Depth=1
	s_andn2_b64 vcc, exec, s[0:1]
	s_cbranch_vccnz .LBB19_2
; %bb.10:                               ;   in Loop: Header=BB19_3 Depth=1
	v_readlane_b32 s8, v44, 1
	s_mov_b64 s[4:5], src_shared_base
	s_getpc_b64 s[0:1]
	s_add_u32 s0, s0, _ZN12_GLOBAL__N_17runRingI6__half8FuncProdIS1_E11ProtoSimpleILi2ELi2ELi1ELi4ELi0ELi0EELi0ELi1ELi4ELi0EEEviiP15ncclDevWorkColl@rel32@lo+4
	s_addc_u32 s1, s1, _ZN12_GLOBAL__N_17runRingI6__half8FuncProdIS1_E11ProtoSimpleILi2ELi2ELi1ELi4ELi0ELi0EELi0ELi1ELi4ELi0EEEviiP15ncclDevWorkColl@rel32@hi+12
	v_readlane_b32 s9, v44, 2
	v_readlane_b32 s12, v44, 0
	v_mov_b32_e32 v31, v40
	v_mov_b32_e32 v0, v41
	v_mov_b32_e32 v1, v42
	v_mov_b32_e32 v3, s5
	v_writelane_b32 v44, s99, 5
	s_or_saveexec_b64 s[100:101], -1
	v_accvgpr_write_b32 a32, v44
	s_mov_b64 exec, s[100:101]
	s_swappc_b64 s[30:31], s[0:1]
	s_or_saveexec_b64 s[100:101], -1
	v_accvgpr_read_b32 v44, a32
	s_mov_b64 exec, s[100:101]
	v_readlane_b32 s4, v44, 3
	v_readlane_b32 s5, v44, 4
	;; [unrolled: 1-line block ×3, first 2 shown]
	s_branch .LBB19_2
.LBB19_11:
	scratch_load_dword v62, off, s33        ; 4-byte Folded Reload
	scratch_load_dword v43, off, s33 offset:4 ; 4-byte Folded Reload
	scratch_load_dword v42, off, s33 offset:8 ; 4-byte Folded Reload
	;; [unrolled: 1-line block ×4, first 2 shown]
	v_readlane_b32 s30, v46, 2
	v_readlane_b32 s31, v46, 3
	;; [unrolled: 1-line block ×71, first 2 shown]
	s_or_saveexec_b64 s[2:3], -1
	scratch_load_dword a32, off, s33 offset:20 ; 4-byte Folded Reload
	scratch_load_dword v63, off, s33 offset:24 ; 4-byte Folded Reload
	scratch_load_dword v44, off, s33 offset:28 ; 4-byte Folded Reload
	scratch_load_dword v45, off, s33 offset:32 ; 4-byte Folded Reload
	scratch_load_dword v46, off, s33 offset:36 ; 4-byte Folded Reload
	s_mov_b64 exec, s[2:3]
	s_addk_i32 s32, 0xffd0
	s_mov_b32 s33, s0
	s_waitcnt vmcnt(0)
	s_setpc_b64 s[30:31]
.Lfunc_end19:
	.size	_Z48ncclDevFunc_AllReduce_RING_SIMPLE_Prod_f16_1_0_4v, .Lfunc_end19-_Z48ncclDevFunc_AllReduce_RING_SIMPLE_Prod_f16_1_0_4v
                                        ; -- End function
	.section	.AMDGPU.csdata,"",@progbits
; Function info:
; codeLenInByte = 1844
; NumSgprs: 108
; NumVgprs: 64
; NumAgprs: 64
; TotalNumVgprs: 128
; ScratchSize: 464
; MemoryBound: 0
	.text
	.p2alignl 6, 3212836864
	.fill 256, 4, 3212836864
	.type	__const.__assert_fail.fmt,@object ; @__const.__assert_fail.fmt
	.section	.rodata.str1.16,"aMS",@progbits,1
	.p2align	4, 0x0
__const.__assert_fail.fmt:
	.asciz	"%s:%u: %s: Device-side assertion `%s' failed.\n"
	.size	__const.__assert_fail.fmt, 47

	.type	.str.1,@object                  ; @.str.1
	.section	.rodata.str1.1,"aMS",@progbits,1
.str.1:
	.asciz	"2*(nrecv+nsend) <= nthreads"
	.size	.str.1, 28

	.type	.str.2,@object                  ; @.str.2
.str.2:
	.asciz	"/root/src/amdgpu-assembly/repos/ROCm__rccl/hipify/src/device/prims_simple.h"
	.size	.str.2, 76

	.type	__PRETTY_FUNCTION__._ZN10PrimitivesI6__half8FuncProdIS0_E12FanSymmetricILi1EELi0E11ProtoSimpleILi1ELi4ELi0ELi1ELi0ELi0EELi0ELb0ELi0ELi0ELi0EEC2EiiPKiS9_PKvPvmhhhP15ncclDevWorkCollP14ncclDevWorkP2pii,@object ; @__PRETTY_FUNCTION__._ZN10PrimitivesI6__half8FuncProdIS0_E12FanSymmetricILi1EELi0E11ProtoSimpleILi1ELi4ELi0ELi1ELi0ELi0EELi0ELb0ELi0ELi0ELi0EEC2EiiPKiS9_PKvPvmhhhP15ncclDevWorkCollP14ncclDevWorkP2pii
__PRETTY_FUNCTION__._ZN10PrimitivesI6__half8FuncProdIS0_E12FanSymmetricILi1EELi0E11ProtoSimpleILi1ELi4ELi0ELi1ELi0ELi0EELi0ELb0ELi0ELi0ELi0EEC2EiiPKiS9_PKvPvmhhhP15ncclDevWorkCollP14ncclDevWorkP2pii:
	.asciz	"Primitives<__half, FuncProd<__half>, FanSymmetric<1>, 0, ProtoSimple<1, 4, 0, 1>, 0>::Primitives(int, int, const int *, const int *, const void *, void *, uint64_t, uint8_t, uint8_t, uint8_t, struct ncclDevWorkColl *, struct ncclDevWorkP2p *, int, int) [T = __half, RedOp = FuncProd<__half>, Fan = FanSymmetric<1>, Direct = 0, Proto = ProtoSimple<1, 4, 0, 1>, P2p = 0, isNetOffload = false, Metadata = 0, Pipeline = 0, useAcc = 0]"
	.size	__PRETTY_FUNCTION__._ZN10PrimitivesI6__half8FuncProdIS0_E12FanSymmetricILi1EELi0E11ProtoSimpleILi1ELi4ELi0ELi1ELi0ELi0EELi0ELb0ELi0ELi0ELi0EEC2EiiPKiS9_PKvPvmhhhP15ncclDevWorkCollP14ncclDevWorkP2pii, 431

	.type	__PRETTY_FUNCTION__._ZN10PrimitivesI6__half8FuncProdIS0_E12FanSymmetricILi1EELi0E11ProtoSimpleILi2ELi2ELi0ELi1ELi0ELi0EELi0ELb0ELi0ELi0ELi0EEC2EiiPKiS9_PKvPvmhhhP15ncclDevWorkCollP14ncclDevWorkP2pii,@object ; @__PRETTY_FUNCTION__._ZN10PrimitivesI6__half8FuncProdIS0_E12FanSymmetricILi1EELi0E11ProtoSimpleILi2ELi2ELi0ELi1ELi0ELi0EELi0ELb0ELi0ELi0ELi0EEC2EiiPKiS9_PKvPvmhhhP15ncclDevWorkCollP14ncclDevWorkP2pii
__PRETTY_FUNCTION__._ZN10PrimitivesI6__half8FuncProdIS0_E12FanSymmetricILi1EELi0E11ProtoSimpleILi2ELi2ELi0ELi1ELi0ELi0EELi0ELb0ELi0ELi0ELi0EEC2EiiPKiS9_PKvPvmhhhP15ncclDevWorkCollP14ncclDevWorkP2pii:
	.asciz	"Primitives<__half, FuncProd<__half>, FanSymmetric<1>, 0, ProtoSimple<2, 2, 0, 1>, 0>::Primitives(int, int, const int *, const int *, const void *, void *, uint64_t, uint8_t, uint8_t, uint8_t, struct ncclDevWorkColl *, struct ncclDevWorkP2p *, int, int) [T = __half, RedOp = FuncProd<__half>, Fan = FanSymmetric<1>, Direct = 0, Proto = ProtoSimple<2, 2, 0, 1>, P2p = 0, isNetOffload = false, Metadata = 0, Pipeline = 0, useAcc = 0]"
	.size	__PRETTY_FUNCTION__._ZN10PrimitivesI6__half8FuncProdIS0_E12FanSymmetricILi1EELi0E11ProtoSimpleILi2ELi2ELi0ELi1ELi0ELi0EELi0ELb0ELi0ELi0ELi0EEC2EiiPKiS9_PKvPvmhhhP15ncclDevWorkCollP14ncclDevWorkP2pii, 431

	.type	__PRETTY_FUNCTION__._ZN10PrimitivesI6__half8FuncProdIS0_E12FanSymmetricILi1EELi0E11ProtoSimpleILi1ELi4ELi1ELi1ELi0ELi0EELi0ELb0ELi0ELi0ELi1EEC2EiiPKiS9_PKvPvmhhhP15ncclDevWorkCollP14ncclDevWorkP2pii,@object ; @__PRETTY_FUNCTION__._ZN10PrimitivesI6__half8FuncProdIS0_E12FanSymmetricILi1EELi0E11ProtoSimpleILi1ELi4ELi1ELi1ELi0ELi0EELi0ELb0ELi0ELi0ELi1EEC2EiiPKiS9_PKvPvmhhhP15ncclDevWorkCollP14ncclDevWorkP2pii
__PRETTY_FUNCTION__._ZN10PrimitivesI6__half8FuncProdIS0_E12FanSymmetricILi1EELi0E11ProtoSimpleILi1ELi4ELi1ELi1ELi0ELi0EELi0ELb0ELi0ELi0ELi1EEC2EiiPKiS9_PKvPvmhhhP15ncclDevWorkCollP14ncclDevWorkP2pii:
	.asciz	"Primitives<__half, FuncProd<__half>, FanSymmetric<1>, 0, ProtoSimple<1, 4, 1, 1>, 0, false, 0, 0, 1>::Primitives(int, int, const int *, const int *, const void *, void *, uint64_t, uint8_t, uint8_t, uint8_t, struct ncclDevWorkColl *, struct ncclDevWorkP2p *, int, int) [T = __half, RedOp = FuncProd<__half>, Fan = FanSymmetric<1>, Direct = 0, Proto = ProtoSimple<1, 4, 1, 1>, P2p = 0, isNetOffload = false, Metadata = 0, Pipeline = 0, useAcc = 1]"
	.size	__PRETTY_FUNCTION__._ZN10PrimitivesI6__half8FuncProdIS0_E12FanSymmetricILi1EELi0E11ProtoSimpleILi1ELi4ELi1ELi1ELi0ELi0EELi0ELb0ELi0ELi0ELi1EEC2EiiPKiS9_PKvPvmhhhP15ncclDevWorkCollP14ncclDevWorkP2pii, 447

	.type	__PRETTY_FUNCTION__._ZN10PrimitivesI6__half8FuncProdIS0_E12FanSymmetricILi1EELi0E11ProtoSimpleILi2ELi2ELi1ELi1ELi0ELi0EELi0ELb0ELi0ELi0ELi1EEC2EiiPKiS9_PKvPvmhhhP15ncclDevWorkCollP14ncclDevWorkP2pii,@object ; @__PRETTY_FUNCTION__._ZN10PrimitivesI6__half8FuncProdIS0_E12FanSymmetricILi1EELi0E11ProtoSimpleILi2ELi2ELi1ELi1ELi0ELi0EELi0ELb0ELi0ELi0ELi1EEC2EiiPKiS9_PKvPvmhhhP15ncclDevWorkCollP14ncclDevWorkP2pii
__PRETTY_FUNCTION__._ZN10PrimitivesI6__half8FuncProdIS0_E12FanSymmetricILi1EELi0E11ProtoSimpleILi2ELi2ELi1ELi1ELi0ELi0EELi0ELb0ELi0ELi0ELi1EEC2EiiPKiS9_PKvPvmhhhP15ncclDevWorkCollP14ncclDevWorkP2pii:
	.asciz	"Primitives<__half, FuncProd<__half>, FanSymmetric<1>, 0, ProtoSimple<2, 2, 1, 1>, 0, false, 0, 0, 1>::Primitives(int, int, const int *, const int *, const void *, void *, uint64_t, uint8_t, uint8_t, uint8_t, struct ncclDevWorkColl *, struct ncclDevWorkP2p *, int, int) [T = __half, RedOp = FuncProd<__half>, Fan = FanSymmetric<1>, Direct = 0, Proto = ProtoSimple<2, 2, 1, 1>, P2p = 0, isNetOffload = false, Metadata = 0, Pipeline = 0, useAcc = 1]"
	.size	__PRETTY_FUNCTION__._ZN10PrimitivesI6__half8FuncProdIS0_E12FanSymmetricILi1EELi0E11ProtoSimpleILi2ELi2ELi1ELi1ELi0ELi0EELi0ELb0ELi0ELi0ELi1EEC2EiiPKiS9_PKvPvmhhhP15ncclDevWorkCollP14ncclDevWorkP2pii, 447

	.type	__PRETTY_FUNCTION__._ZN10PrimitivesI6__half8FuncProdIS0_E12FanSymmetricILi1EELi0E11ProtoSimpleILi1ELi4ELi0ELi2ELi0ELi0EELi0ELb0ELi0ELi0ELi0EEC2EiiPKiS9_PKvPvmhhhP15ncclDevWorkCollP14ncclDevWorkP2pii,@object ; @__PRETTY_FUNCTION__._ZN10PrimitivesI6__half8FuncProdIS0_E12FanSymmetricILi1EELi0E11ProtoSimpleILi1ELi4ELi0ELi2ELi0ELi0EELi0ELb0ELi0ELi0ELi0EEC2EiiPKiS9_PKvPvmhhhP15ncclDevWorkCollP14ncclDevWorkP2pii
__PRETTY_FUNCTION__._ZN10PrimitivesI6__half8FuncProdIS0_E12FanSymmetricILi1EELi0E11ProtoSimpleILi1ELi4ELi0ELi2ELi0ELi0EELi0ELb0ELi0ELi0ELi0EEC2EiiPKiS9_PKvPvmhhhP15ncclDevWorkCollP14ncclDevWorkP2pii:
	.asciz	"Primitives<__half, FuncProd<__half>, FanSymmetric<1>, 0, ProtoSimple<1, 4, 0, 2>, 0>::Primitives(int, int, const int *, const int *, const void *, void *, uint64_t, uint8_t, uint8_t, uint8_t, struct ncclDevWorkColl *, struct ncclDevWorkP2p *, int, int) [T = __half, RedOp = FuncProd<__half>, Fan = FanSymmetric<1>, Direct = 0, Proto = ProtoSimple<1, 4, 0, 2>, P2p = 0, isNetOffload = false, Metadata = 0, Pipeline = 0, useAcc = 0]"
	.size	__PRETTY_FUNCTION__._ZN10PrimitivesI6__half8FuncProdIS0_E12FanSymmetricILi1EELi0E11ProtoSimpleILi1ELi4ELi0ELi2ELi0ELi0EELi0ELb0ELi0ELi0ELi0EEC2EiiPKiS9_PKvPvmhhhP15ncclDevWorkCollP14ncclDevWorkP2pii, 431

	.type	__PRETTY_FUNCTION__._ZN10PrimitivesI6__half8FuncProdIS0_E12FanSymmetricILi1EELi0E11ProtoSimpleILi2ELi2ELi0ELi2ELi0ELi0EELi0ELb0ELi0ELi0ELi0EEC2EiiPKiS9_PKvPvmhhhP15ncclDevWorkCollP14ncclDevWorkP2pii,@object ; @__PRETTY_FUNCTION__._ZN10PrimitivesI6__half8FuncProdIS0_E12FanSymmetricILi1EELi0E11ProtoSimpleILi2ELi2ELi0ELi2ELi0ELi0EELi0ELb0ELi0ELi0ELi0EEC2EiiPKiS9_PKvPvmhhhP15ncclDevWorkCollP14ncclDevWorkP2pii
__PRETTY_FUNCTION__._ZN10PrimitivesI6__half8FuncProdIS0_E12FanSymmetricILi1EELi0E11ProtoSimpleILi2ELi2ELi0ELi2ELi0ELi0EELi0ELb0ELi0ELi0ELi0EEC2EiiPKiS9_PKvPvmhhhP15ncclDevWorkCollP14ncclDevWorkP2pii:
	.asciz	"Primitives<__half, FuncProd<__half>, FanSymmetric<1>, 0, ProtoSimple<2, 2, 0, 2>, 0>::Primitives(int, int, const int *, const int *, const void *, void *, uint64_t, uint8_t, uint8_t, uint8_t, struct ncclDevWorkColl *, struct ncclDevWorkP2p *, int, int) [T = __half, RedOp = FuncProd<__half>, Fan = FanSymmetric<1>, Direct = 0, Proto = ProtoSimple<2, 2, 0, 2>, P2p = 0, isNetOffload = false, Metadata = 0, Pipeline = 0, useAcc = 0]"
	.size	__PRETTY_FUNCTION__._ZN10PrimitivesI6__half8FuncProdIS0_E12FanSymmetricILi1EELi0E11ProtoSimpleILi2ELi2ELi0ELi2ELi0ELi0EELi0ELb0ELi0ELi0ELi0EEC2EiiPKiS9_PKvPvmhhhP15ncclDevWorkCollP14ncclDevWorkP2pii, 431

	.type	__PRETTY_FUNCTION__._ZN10PrimitivesI6__half8FuncProdIS0_E12FanSymmetricILi1EELi0E11ProtoSimpleILi1ELi4ELi1ELi2ELi0ELi0EELi0ELb0ELi0ELi0ELi1EEC2EiiPKiS9_PKvPvmhhhP15ncclDevWorkCollP14ncclDevWorkP2pii,@object ; @__PRETTY_FUNCTION__._ZN10PrimitivesI6__half8FuncProdIS0_E12FanSymmetricILi1EELi0E11ProtoSimpleILi1ELi4ELi1ELi2ELi0ELi0EELi0ELb0ELi0ELi0ELi1EEC2EiiPKiS9_PKvPvmhhhP15ncclDevWorkCollP14ncclDevWorkP2pii
__PRETTY_FUNCTION__._ZN10PrimitivesI6__half8FuncProdIS0_E12FanSymmetricILi1EELi0E11ProtoSimpleILi1ELi4ELi1ELi2ELi0ELi0EELi0ELb0ELi0ELi0ELi1EEC2EiiPKiS9_PKvPvmhhhP15ncclDevWorkCollP14ncclDevWorkP2pii:
	.asciz	"Primitives<__half, FuncProd<__half>, FanSymmetric<1>, 0, ProtoSimple<1, 4, 1, 2>, 0, false, 0, 0, 1>::Primitives(int, int, const int *, const int *, const void *, void *, uint64_t, uint8_t, uint8_t, uint8_t, struct ncclDevWorkColl *, struct ncclDevWorkP2p *, int, int) [T = __half, RedOp = FuncProd<__half>, Fan = FanSymmetric<1>, Direct = 0, Proto = ProtoSimple<1, 4, 1, 2>, P2p = 0, isNetOffload = false, Metadata = 0, Pipeline = 0, useAcc = 1]"
	.size	__PRETTY_FUNCTION__._ZN10PrimitivesI6__half8FuncProdIS0_E12FanSymmetricILi1EELi0E11ProtoSimpleILi1ELi4ELi1ELi2ELi0ELi0EELi0ELb0ELi0ELi0ELi1EEC2EiiPKiS9_PKvPvmhhhP15ncclDevWorkCollP14ncclDevWorkP2pii, 447

	.type	__PRETTY_FUNCTION__._ZN10PrimitivesI6__half8FuncProdIS0_E12FanSymmetricILi1EELi0E11ProtoSimpleILi2ELi2ELi1ELi2ELi0ELi0EELi0ELb0ELi0ELi0ELi1EEC2EiiPKiS9_PKvPvmhhhP15ncclDevWorkCollP14ncclDevWorkP2pii,@object ; @__PRETTY_FUNCTION__._ZN10PrimitivesI6__half8FuncProdIS0_E12FanSymmetricILi1EELi0E11ProtoSimpleILi2ELi2ELi1ELi2ELi0ELi0EELi0ELb0ELi0ELi0ELi1EEC2EiiPKiS9_PKvPvmhhhP15ncclDevWorkCollP14ncclDevWorkP2pii
__PRETTY_FUNCTION__._ZN10PrimitivesI6__half8FuncProdIS0_E12FanSymmetricILi1EELi0E11ProtoSimpleILi2ELi2ELi1ELi2ELi0ELi0EELi0ELb0ELi0ELi0ELi1EEC2EiiPKiS9_PKvPvmhhhP15ncclDevWorkCollP14ncclDevWorkP2pii:
	.asciz	"Primitives<__half, FuncProd<__half>, FanSymmetric<1>, 0, ProtoSimple<2, 2, 1, 2>, 0, false, 0, 0, 1>::Primitives(int, int, const int *, const int *, const void *, void *, uint64_t, uint8_t, uint8_t, uint8_t, struct ncclDevWorkColl *, struct ncclDevWorkP2p *, int, int) [T = __half, RedOp = FuncProd<__half>, Fan = FanSymmetric<1>, Direct = 0, Proto = ProtoSimple<2, 2, 1, 2>, P2p = 0, isNetOffload = false, Metadata = 0, Pipeline = 0, useAcc = 1]"
	.size	__PRETTY_FUNCTION__._ZN10PrimitivesI6__half8FuncProdIS0_E12FanSymmetricILi1EELi0E11ProtoSimpleILi2ELi2ELi1ELi2ELi0ELi0EELi0ELb0ELi0ELi0ELi1EEC2EiiPKiS9_PKvPvmhhhP15ncclDevWorkCollP14ncclDevWorkP2pii, 447

	.type	__PRETTY_FUNCTION__._ZN10PrimitivesI6__half8FuncProdIS0_E12FanSymmetricILi1EELi0E11ProtoSimpleILi1ELi4ELi0ELi4ELi0ELi0EELi0ELb0ELi0ELi0ELi0EEC2EiiPKiS9_PKvPvmhhhP15ncclDevWorkCollP14ncclDevWorkP2pii,@object ; @__PRETTY_FUNCTION__._ZN10PrimitivesI6__half8FuncProdIS0_E12FanSymmetricILi1EELi0E11ProtoSimpleILi1ELi4ELi0ELi4ELi0ELi0EELi0ELb0ELi0ELi0ELi0EEC2EiiPKiS9_PKvPvmhhhP15ncclDevWorkCollP14ncclDevWorkP2pii
__PRETTY_FUNCTION__._ZN10PrimitivesI6__half8FuncProdIS0_E12FanSymmetricILi1EELi0E11ProtoSimpleILi1ELi4ELi0ELi4ELi0ELi0EELi0ELb0ELi0ELi0ELi0EEC2EiiPKiS9_PKvPvmhhhP15ncclDevWorkCollP14ncclDevWorkP2pii:
	.asciz	"Primitives<__half, FuncProd<__half>, FanSymmetric<1>, 0, ProtoSimple<1, 4, 0, 4>, 0>::Primitives(int, int, const int *, const int *, const void *, void *, uint64_t, uint8_t, uint8_t, uint8_t, struct ncclDevWorkColl *, struct ncclDevWorkP2p *, int, int) [T = __half, RedOp = FuncProd<__half>, Fan = FanSymmetric<1>, Direct = 0, Proto = ProtoSimple<1, 4, 0, 4>, P2p = 0, isNetOffload = false, Metadata = 0, Pipeline = 0, useAcc = 0]"
	.size	__PRETTY_FUNCTION__._ZN10PrimitivesI6__half8FuncProdIS0_E12FanSymmetricILi1EELi0E11ProtoSimpleILi1ELi4ELi0ELi4ELi0ELi0EELi0ELb0ELi0ELi0ELi0EEC2EiiPKiS9_PKvPvmhhhP15ncclDevWorkCollP14ncclDevWorkP2pii, 431

	.type	__PRETTY_FUNCTION__._ZN10PrimitivesI6__half8FuncProdIS0_E12FanSymmetricILi1EELi0E11ProtoSimpleILi2ELi2ELi0ELi4ELi0ELi0EELi0ELb0ELi0ELi0ELi0EEC2EiiPKiS9_PKvPvmhhhP15ncclDevWorkCollP14ncclDevWorkP2pii,@object ; @__PRETTY_FUNCTION__._ZN10PrimitivesI6__half8FuncProdIS0_E12FanSymmetricILi1EELi0E11ProtoSimpleILi2ELi2ELi0ELi4ELi0ELi0EELi0ELb0ELi0ELi0ELi0EEC2EiiPKiS9_PKvPvmhhhP15ncclDevWorkCollP14ncclDevWorkP2pii
__PRETTY_FUNCTION__._ZN10PrimitivesI6__half8FuncProdIS0_E12FanSymmetricILi1EELi0E11ProtoSimpleILi2ELi2ELi0ELi4ELi0ELi0EELi0ELb0ELi0ELi0ELi0EEC2EiiPKiS9_PKvPvmhhhP15ncclDevWorkCollP14ncclDevWorkP2pii:
	.asciz	"Primitives<__half, FuncProd<__half>, FanSymmetric<1>, 0, ProtoSimple<2, 2, 0, 4>, 0>::Primitives(int, int, const int *, const int *, const void *, void *, uint64_t, uint8_t, uint8_t, uint8_t, struct ncclDevWorkColl *, struct ncclDevWorkP2p *, int, int) [T = __half, RedOp = FuncProd<__half>, Fan = FanSymmetric<1>, Direct = 0, Proto = ProtoSimple<2, 2, 0, 4>, P2p = 0, isNetOffload = false, Metadata = 0, Pipeline = 0, useAcc = 0]"
	.size	__PRETTY_FUNCTION__._ZN10PrimitivesI6__half8FuncProdIS0_E12FanSymmetricILi1EELi0E11ProtoSimpleILi2ELi2ELi0ELi4ELi0ELi0EELi0ELb0ELi0ELi0ELi0EEC2EiiPKiS9_PKvPvmhhhP15ncclDevWorkCollP14ncclDevWorkP2pii, 431

	.type	__PRETTY_FUNCTION__._ZN10PrimitivesI6__half8FuncProdIS0_E12FanSymmetricILi1EELi0E11ProtoSimpleILi1ELi4ELi1ELi4ELi0ELi0EELi0ELb0ELi0ELi0ELi1EEC2EiiPKiS9_PKvPvmhhhP15ncclDevWorkCollP14ncclDevWorkP2pii,@object ; @__PRETTY_FUNCTION__._ZN10PrimitivesI6__half8FuncProdIS0_E12FanSymmetricILi1EELi0E11ProtoSimpleILi1ELi4ELi1ELi4ELi0ELi0EELi0ELb0ELi0ELi0ELi1EEC2EiiPKiS9_PKvPvmhhhP15ncclDevWorkCollP14ncclDevWorkP2pii
__PRETTY_FUNCTION__._ZN10PrimitivesI6__half8FuncProdIS0_E12FanSymmetricILi1EELi0E11ProtoSimpleILi1ELi4ELi1ELi4ELi0ELi0EELi0ELb0ELi0ELi0ELi1EEC2EiiPKiS9_PKvPvmhhhP15ncclDevWorkCollP14ncclDevWorkP2pii:
	.asciz	"Primitives<__half, FuncProd<__half>, FanSymmetric<1>, 0, ProtoSimple<1, 4, 1, 4>, 0, false, 0, 0, 1>::Primitives(int, int, const int *, const int *, const void *, void *, uint64_t, uint8_t, uint8_t, uint8_t, struct ncclDevWorkColl *, struct ncclDevWorkP2p *, int, int) [T = __half, RedOp = FuncProd<__half>, Fan = FanSymmetric<1>, Direct = 0, Proto = ProtoSimple<1, 4, 1, 4>, P2p = 0, isNetOffload = false, Metadata = 0, Pipeline = 0, useAcc = 1]"
	.size	__PRETTY_FUNCTION__._ZN10PrimitivesI6__half8FuncProdIS0_E12FanSymmetricILi1EELi0E11ProtoSimpleILi1ELi4ELi1ELi4ELi0ELi0EELi0ELb0ELi0ELi0ELi1EEC2EiiPKiS9_PKvPvmhhhP15ncclDevWorkCollP14ncclDevWorkP2pii, 447

	.type	__PRETTY_FUNCTION__._ZN10PrimitivesI6__half8FuncProdIS0_E12FanSymmetricILi1EELi0E11ProtoSimpleILi2ELi2ELi1ELi4ELi0ELi0EELi0ELb0ELi0ELi0ELi1EEC2EiiPKiS9_PKvPvmhhhP15ncclDevWorkCollP14ncclDevWorkP2pii,@object ; @__PRETTY_FUNCTION__._ZN10PrimitivesI6__half8FuncProdIS0_E12FanSymmetricILi1EELi0E11ProtoSimpleILi2ELi2ELi1ELi4ELi0ELi0EELi0ELb0ELi0ELi0ELi1EEC2EiiPKiS9_PKvPvmhhhP15ncclDevWorkCollP14ncclDevWorkP2pii
__PRETTY_FUNCTION__._ZN10PrimitivesI6__half8FuncProdIS0_E12FanSymmetricILi1EELi0E11ProtoSimpleILi2ELi2ELi1ELi4ELi0ELi0EELi0ELb0ELi0ELi0ELi1EEC2EiiPKiS9_PKvPvmhhhP15ncclDevWorkCollP14ncclDevWorkP2pii:
	.asciz	"Primitives<__half, FuncProd<__half>, FanSymmetric<1>, 0, ProtoSimple<2, 2, 1, 4>, 0, false, 0, 0, 1>::Primitives(int, int, const int *, const int *, const void *, void *, uint64_t, uint8_t, uint8_t, uint8_t, struct ncclDevWorkColl *, struct ncclDevWorkP2p *, int, int) [T = __half, RedOp = FuncProd<__half>, Fan = FanSymmetric<1>, Direct = 0, Proto = ProtoSimple<2, 2, 1, 4>, P2p = 0, isNetOffload = false, Metadata = 0, Pipeline = 0, useAcc = 1]"
	.size	__PRETTY_FUNCTION__._ZN10PrimitivesI6__half8FuncProdIS0_E12FanSymmetricILi1EELi0E11ProtoSimpleILi2ELi2ELi1ELi4ELi0ELi0EELi0ELb0ELi0ELi0ELi1EEC2EiiPKiS9_PKvPvmhhhP15ncclDevWorkCollP14ncclDevWorkP2pii, 447

	.type	__hip_cuid_19bc59fe2317985d,@object ; @__hip_cuid_19bc59fe2317985d
	.section	.bss,"aw",@nobits
	.globl	__hip_cuid_19bc59fe2317985d
__hip_cuid_19bc59fe2317985d:
	.byte	0                               ; 0x0
	.size	__hip_cuid_19bc59fe2317985d, 1

	.ident	"AMD clang version 19.0.0git (https://github.com/RadeonOpenCompute/llvm-project roc-6.4.0 25133 c7fe45cf4b819c5991fe208aaa96edf142730f1d)"
	.section	".note.GNU-stack","",@progbits
	.addrsig
	.addrsig_sym _Z48ncclDevFunc_AllReduce_RING_SIMPLE_Prod_f16_0_0_1v
	.addrsig_sym _Z48ncclDevFunc_AllReduce_RING_SIMPLE_Prod_f16_1_0_1v
	.addrsig_sym _Z48ncclDevFunc_AllReduce_RING_SIMPLE_Prod_f16_0_0_2v
	.addrsig_sym _Z48ncclDevFunc_AllReduce_RING_SIMPLE_Prod_f16_1_0_2v
	.addrsig_sym _Z48ncclDevFunc_AllReduce_RING_SIMPLE_Prod_f16_0_0_4v
	.addrsig_sym _Z48ncclDevFunc_AllReduce_RING_SIMPLE_Prod_f16_1_0_4v
	.addrsig_sym ncclShmem
	.addrsig_sym __hip_cuid_19bc59fe2317985d
	.amdgpu_metadata
---
amdhsa.kernels:  []
amdhsa.target:   amdgcn-amd-amdhsa--gfx942
amdhsa.version:
  - 1
  - 2
...

	.end_amdgpu_metadata
